;; amdgpu-corpus repo=pytorch/pytorch kind=compiled arch=gfx906 opt=O3
	.amdgcn_target "amdgcn-amd-amdhsa--gfx906"
	.amdhsa_code_object_version 6
	.text
	.p2align	2                               ; -- Begin function _ZZZZN2at6native16asin_kernel_cudaERNS_18TensorIteratorBaseEENKUlvE_clEvENKUlvE_clEvENKUlN3c107complexIdEEE_clES7_
	.type	_ZZZZN2at6native16asin_kernel_cudaERNS_18TensorIteratorBaseEENKUlvE_clEvENKUlvE_clEvENKUlN3c107complexIdEEE_clES7_,@function
_ZZZZN2at6native16asin_kernel_cudaERNS_18TensorIteratorBaseEENKUlvE_clEvENKUlvE_clEvENKUlN3c107complexIdEEE_clES7_: ; @_ZZZZN2at6native16asin_kernel_cudaERNS_18TensorIteratorBaseEENKUlvE_clEvENKUlvE_clEvENKUlN3c107complexIdEEE_clES7_
; %bb.0:
	s_waitcnt vmcnt(0) expcnt(0) lgkmcnt(0)
	v_cmp_o_f64_e32 vcc, v[2:3], v[0:1]
	s_and_saveexec_b64 s[4:5], vcc
	s_xor_b64 s[10:11], exec, s[4:5]
	s_cbranch_execnz .LBB0_3
; %bb.1:
	s_andn2_saveexec_b64 s[4:5], s[10:11]
	s_cbranch_execnz .LBB0_88
.LBB0_2:
	s_or_b64 exec, exec, s[4:5]
	s_waitcnt lgkmcnt(0)
	s_setpc_b64 s[30:31]
.LBB0_3:
	v_max_f64 v[8:9], |v[2:3]|, |v[2:3]|
	v_max_f64 v[4:5], |v[0:1]|, |v[0:1]|
	s_mov_b32 s4, 0
	s_mov_b32 s5, 0x43300000
	v_max_f64 v[6:7], v[4:5], v[8:9]
	v_cmp_nlt_f64_e32 vcc, s[4:5], v[6:7]
	s_and_saveexec_b64 s[4:5], vcc
	s_xor_b64 s[8:9], exec, s[4:5]
	s_cbranch_execz .LBB0_65
; %bb.4:
	v_cmp_neq_f64_e32 vcc, 0, v[2:3]
	v_cmp_neq_f64_e64 s[4:5], 0, v[0:1]
	s_or_b64 s[4:5], vcc, s[4:5]
	s_and_saveexec_b64 s[12:13], s[4:5]
	s_cbranch_execz .LBB0_64
; %bb.5:
	s_mov_b64 s[4:5], src_private_base
	s_lshr_b32 s4, s32, 6
	v_mov_b32_e32 v4, s4
	v_mov_b32_e32 v6, 0xd800000
	;; [unrolled: 1-line block ×3, first 2 shown]
	flat_store_dword v[4:5], v6
	s_waitcnt vmcnt(0)
	flat_load_dword v4, v[4:5] glc
	s_waitcnt vmcnt(0)
	s_lshr_b32 s4, s32, 6
	s_add_i32 s4, s4, 4
	s_waitcnt lgkmcnt(0)
	v_add_f32_e32 v6, 1.0, v4
	v_mov_b32_e32 v4, s4
	v_mov_b32_e32 v5, s5
	flat_store_dword v[4:5], v6
	s_waitcnt vmcnt(0)
	flat_load_dword v4, v[4:5] glc
	s_waitcnt vmcnt(0)
	s_mov_b32 s4, 0x1409212f
	s_mov_b32 s5, 0x3e43988e
	v_cmp_nlt_f64_e64 s[6:7], |v[2:3]|, s[4:5]
	v_cmp_nlt_f64_e64 s[4:5], |v[0:1]|, s[4:5]
	s_or_b64 s[4:5], s[4:5], s[6:7]
	s_and_saveexec_b64 s[14:15], s[4:5]
	s_cbranch_execz .LBB0_63
; %bb.6:
	v_add_f64 v[6:7], |v[0:1]|, 1.0
	s_waitcnt lgkmcnt(0)
	v_add_f64 v[4:5], |v[0:1]|, -1.0
	s_mov_b32 s6, 0
	s_mov_b32 s7, 0x7ff00000
	v_max_f64 v[10:11], v[8:9], v[6:7]
	v_max_f64 v[8:9], v[8:9], |v[4:5]|
	v_frexp_exp_i32_f64_e32 v24, v[10:11]
	v_frexp_exp_i32_f64_e32 v25, v[8:9]
	v_sub_u32_e32 v12, 0, v24
	v_sub_u32_e32 v14, 0, v25
	v_ldexp_f64 v[8:9], v[6:7], v12
	v_ldexp_f64 v[10:11], |v[4:5]|, v14
	v_ldexp_f64 v[12:13], |v[2:3]|, v12
	;; [unrolled: 1-line block ×3, first 2 shown]
	v_mul_f64 v[8:9], v[8:9], v[8:9]
	v_mul_f64 v[10:11], v[10:11], v[10:11]
	v_fma_f64 v[8:9], v[12:13], v[12:13], v[8:9]
	v_fma_f64 v[10:11], v[14:15], v[14:15], v[10:11]
	v_rsq_f64_e32 v[12:13], v[8:9]
	v_rsq_f64_e32 v[14:15], v[10:11]
	v_cmp_eq_f64_e32 vcc, 0, v[8:9]
	v_cmp_eq_f64_e64 s[4:5], 0, v[10:11]
	v_mul_f64 v[16:17], v[8:9], v[12:13]
	v_mul_f64 v[12:13], v[12:13], 0.5
	v_mul_f64 v[18:19], v[10:11], v[14:15]
	v_mul_f64 v[14:15], v[14:15], 0.5
	v_fma_f64 v[20:21], -v[12:13], v[16:17], 0.5
	v_fma_f64 v[22:23], -v[14:15], v[18:19], 0.5
	v_fma_f64 v[16:17], v[16:17], v[20:21], v[16:17]
	v_fma_f64 v[12:13], v[12:13], v[20:21], v[12:13]
	;; [unrolled: 1-line block ×4, first 2 shown]
	v_fma_f64 v[20:21], -v[16:17], v[16:17], v[8:9]
	v_fma_f64 v[22:23], -v[18:19], v[18:19], v[10:11]
	v_fma_f64 v[12:13], v[20:21], v[12:13], v[16:17]
	v_mov_b32_e32 v16, 0x7ff00000
	v_fma_f64 v[14:15], v[22:23], v[14:15], v[18:19]
	v_cndmask_b32_e32 v9, v13, v9, vcc
	v_cndmask_b32_e32 v8, v12, v8, vcc
	v_cndmask_b32_e64 v11, v15, v11, s[4:5]
	v_cndmask_b32_e64 v10, v14, v10, s[4:5]
	v_ldexp_f64 v[8:9], v[8:9], v24
	v_cmp_neq_f64_e32 vcc, s[6:7], v[6:7]
	v_ldexp_f64 v[10:11], v[10:11], v25
	v_cmp_neq_f64_e64 s[4:5], |v[4:5]|, s[6:7]
	v_mov_b32_e32 v12, 0x3ff00000
	v_and_b32_e32 v13, 0x7fffffff, v3
	v_cndmask_b32_e32 v15, v16, v9, vcc
	v_cndmask_b32_e32 v14, 0, v8, vcc
	v_cndmask_b32_e64 v11, v16, v11, s[4:5]
	v_cndmask_b32_e64 v10, 0, v10, s[4:5]
	v_add_f64 v[8:9], v[14:15], v[10:11]
	s_mov_b32 s4, 0
	s_mov_b32 s5, 0x40240000
                                        ; implicit-def: $vgpr16_vgpr17
	v_mul_f64 v[8:9], v[8:9], 0.5
	v_cmp_ngt_f64_e32 vcc, 1.0, v[8:9]
	v_cndmask_b32_e32 v9, v12, v9, vcc
	v_cndmask_b32_e32 v8, 0, v8, vcc
	v_cmp_ngt_f64_e32 vcc, s[4:5], v[8:9]
	s_and_saveexec_b64 s[4:5], vcc
	s_xor_b64 s[4:5], exec, s[4:5]
	s_cbranch_execz .LBB0_8
; %bb.7:
	v_fma_f64 v[16:17], v[8:9], v[8:9], -1.0
	s_mov_b32 s6, 0
	s_brev_b32 s7, 8
	v_mov_b32_e32 v12, 0x100
	s_mov_b32 s16, 0xbf559e2b
	s_mov_b32 s17, 0x3fc3ab76
	v_cmp_gt_f64_e32 vcc, s[6:7], v[16:17]
	s_mov_b32 s7, 0x3fe55555
	s_mov_b32 s6, 0x55555555
	v_cndmask_b32_e32 v12, 0, v12, vcc
	v_ldexp_f64 v[16:17], v[16:17], v12
	v_mov_b32_e32 v12, 0xffffff80
	v_cndmask_b32_e32 v12, 0, v12, vcc
	v_rsq_f64_e32 v[18:19], v[16:17]
	v_mul_f64 v[20:21], v[16:17], v[18:19]
	v_mul_f64 v[18:19], v[18:19], 0.5
	v_fma_f64 v[22:23], -v[18:19], v[20:21], 0.5
	v_fma_f64 v[20:21], v[20:21], v[22:23], v[20:21]
	v_fma_f64 v[18:19], v[18:19], v[22:23], v[18:19]
	v_fma_f64 v[22:23], -v[20:21], v[20:21], v[16:17]
	v_fma_f64 v[20:21], v[22:23], v[18:19], v[20:21]
	v_fma_f64 v[22:23], -v[20:21], v[20:21], v[16:17]
	v_fma_f64 v[18:19], v[22:23], v[18:19], v[20:21]
	v_mov_b32_e32 v20, 0x260
	v_cmp_class_f64_e32 vcc, v[16:17], v20
	v_ldexp_f64 v[18:19], v[18:19], v12
	v_cndmask_b32_e32 v17, v19, v17, vcc
	v_cndmask_b32_e32 v16, v18, v16, vcc
	v_add_f64 v[16:17], v[8:9], v[16:17]
	v_frexp_mant_f64_e32 v[18:19], v[16:17]
	v_cmp_gt_f64_e32 vcc, s[6:7], v[18:19]
	s_mov_b32 s6, 0x55555780
	v_cndmask_b32_e64 v12, 0, 1, vcc
	v_ldexp_f64 v[18:19], v[18:19], v12
	v_frexp_exp_i32_f64_e32 v12, v[16:17]
	v_add_f64 v[20:21], v[18:19], 1.0
	v_add_f64 v[26:27], v[18:19], -1.0
	v_subbrev_co_u32_e32 v12, vcc, 0, v12, vcc
	v_rcp_f64_e32 v[22:23], v[20:21]
	v_add_f64 v[28:29], v[20:21], -1.0
	v_add_f64 v[18:19], v[18:19], -v[28:29]
	v_fma_f64 v[24:25], -v[20:21], v[22:23], 1.0
	v_fma_f64 v[22:23], v[24:25], v[22:23], v[22:23]
	v_fma_f64 v[24:25], -v[20:21], v[22:23], 1.0
	v_fma_f64 v[22:23], v[24:25], v[22:23], v[22:23]
	v_mul_f64 v[24:25], v[26:27], v[22:23]
	v_mul_f64 v[30:31], v[20:21], v[24:25]
	v_fma_f64 v[20:21], v[24:25], v[20:21], -v[30:31]
	v_fma_f64 v[18:19], v[24:25], v[18:19], v[20:21]
	v_add_f64 v[20:21], v[30:31], v[18:19]
	v_add_f64 v[28:29], v[26:27], -v[20:21]
	v_add_f64 v[30:31], v[20:21], -v[30:31]
	v_add_f64 v[26:27], v[26:27], -v[28:29]
	v_add_f64 v[18:19], v[30:31], -v[18:19]
	v_add_f64 v[20:21], v[26:27], -v[20:21]
	v_mov_b32_e32 v26, 0x6b47b09a
	v_mov_b32_e32 v27, 0x3fc38538
	v_add_f64 v[18:19], v[18:19], v[20:21]
	v_add_f64 v[18:19], v[28:29], v[18:19]
	v_mul_f64 v[18:19], v[22:23], v[18:19]
	v_add_f64 v[20:21], v[24:25], v[18:19]
	v_mul_f64 v[22:23], v[20:21], v[20:21]
	v_fma_f64 v[26:27], v[22:23], s[16:17], v[26:27]
	s_mov_b32 s16, 0xd7f4df2e
	s_mov_b32 s17, 0x3fc7474d
	v_mul_f64 v[28:29], v[20:21], v[22:23]
	v_fma_f64 v[26:27], v[22:23], v[26:27], s[16:17]
	s_mov_b32 s16, 0x16291751
	s_mov_b32 s17, 0x3fcc71c0
	v_fma_f64 v[26:27], v[22:23], v[26:27], s[16:17]
	s_mov_b32 s16, 0x9b27acf1
	s_mov_b32 s17, 0x3fd24924
	;; [unrolled: 3-line block ×3, first 2 shown]
	v_fma_f64 v[26:27], v[22:23], v[26:27], s[16:17]
	v_fma_f64 v[22:23], v[22:23], v[26:27], s[6:7]
	v_ldexp_f64 v[26:27], v[20:21], 1
	v_add_f64 v[20:21], v[20:21], -v[24:25]
	s_mov_b32 s6, 0xfefa39ef
	s_mov_b32 s7, 0x3fe62e42
	v_mul_f64 v[22:23], v[28:29], v[22:23]
	v_cvt_f64_i32_e32 v[28:29], v12
	v_add_f64 v[18:19], v[18:19], -v[20:21]
	v_mov_b32_e32 v12, 0xfff00000
	v_mul_f64 v[30:31], v[28:29], s[6:7]
	v_add_f64 v[24:25], v[26:27], v[22:23]
	v_ldexp_f64 v[18:19], v[18:19], 1
	v_add_f64 v[20:21], v[24:25], -v[26:27]
	v_fma_f64 v[26:27], v[28:29], s[6:7], -v[30:31]
	s_mov_b32 s6, 0x3b39803f
	s_mov_b32 s7, 0x3c7abc9e
	v_add_f64 v[20:21], v[22:23], -v[20:21]
	v_fma_f64 v[22:23], v[28:29], s[6:7], v[26:27]
	s_movk_i32 s6, 0x204
	v_cmp_class_f64_e64 vcc, v[16:17], s6
	v_add_f64 v[18:19], v[18:19], v[20:21]
	v_add_f64 v[20:21], v[30:31], v[22:23]
	;; [unrolled: 1-line block ×3, first 2 shown]
	v_add_f64 v[30:31], v[20:21], -v[30:31]
	v_add_f64 v[28:29], v[20:21], v[26:27]
	v_add_f64 v[24:25], v[26:27], -v[24:25]
	v_add_f64 v[22:23], v[22:23], -v[30:31]
	;; [unrolled: 1-line block ×6, first 2 shown]
	v_add_f64 v[26:27], v[22:23], v[18:19]
	v_add_f64 v[20:21], v[20:21], -v[34:35]
	v_add_f64 v[20:21], v[24:25], v[20:21]
	v_add_f64 v[24:25], v[26:27], -v[22:23]
	;; [unrolled: 2-line block ×3, first 2 shown]
	v_add_f64 v[18:19], v[18:19], -v[24:25]
	v_add_f64 v[30:31], v[28:29], v[20:21]
	v_add_f64 v[22:23], v[22:23], -v[26:27]
	v_add_f64 v[24:25], v[30:31], -v[28:29]
	v_add_f64 v[18:19], v[18:19], v[22:23]
	v_add_f64 v[20:21], v[20:21], -v[24:25]
	v_add_f64 v[18:19], v[18:19], v[20:21]
	v_add_f64 v[18:19], v[30:31], v[18:19]
	v_cndmask_b32_e32 v18, v18, v16, vcc
	v_cndmask_b32_e32 v19, v19, v17, vcc
	v_cmp_neq_f64_e32 vcc, 0, v[16:17]
	v_cndmask_b32_e32 v17, v12, v19, vcc
	v_cndmask_b32_e32 v16, 0, v18, vcc
.LBB0_8:
	s_or_saveexec_b64 s[6:7], s[4:5]
	v_mov_b32_e32 v12, v2
	s_xor_b64 exec, exec, s[6:7]
	s_cbranch_execz .LBB0_30
; %bb.9:
	s_mov_b32 s16, 0
	s_mov_b32 s17, 0x39000000
	v_cmp_neq_f64_e64 s[4:5], |v[0:1]|, 1.0
	v_cmp_nlt_f64_e64 s[16:17], |v[2:3]|, s[16:17]
                                        ; implicit-def: $vgpr16_vgpr17
	s_or_b64 s[4:5], s[4:5], s[16:17]
	s_and_saveexec_b64 s[16:17], s[4:5]
	s_xor_b64 s[16:17], exec, s[16:17]
	s_cbranch_execz .LBB0_27
; %bb.10:
	s_movk_i32 s4, 0xffcc
	v_ldexp_f64 v[16:17], |v[4:5]|, s4
	v_cmp_ge_f64_e64 s[4:5], |v[2:3]|, v[16:17]
                                        ; implicit-def: $vgpr16_vgpr17
	s_and_saveexec_b64 s[18:19], s[4:5]
	s_xor_b64 s[18:19], exec, s[18:19]
	s_cbranch_execz .LBB0_20
; %bb.11:
	v_cmp_neq_f64_e32 vcc, 0, v[6:7]
	v_mov_b32_e32 v17, v13
	v_mov_b32_e32 v16, v12
	s_and_saveexec_b64 s[4:5], vcc
	s_cbranch_execz .LBB0_13
; %bb.12:
	v_mul_f64 v[16:17], v[2:3], v[2:3]
	v_add_f64 v[18:19], v[6:7], v[14:15]
	v_div_scale_f64 v[20:21], s[20:21], v[18:19], v[18:19], v[16:17]
	v_div_scale_f64 v[26:27], vcc, v[16:17], v[18:19], v[16:17]
	v_rcp_f64_e32 v[22:23], v[20:21]
	v_fma_f64 v[24:25], -v[20:21], v[22:23], 1.0
	v_fma_f64 v[22:23], v[22:23], v[24:25], v[22:23]
	v_fma_f64 v[24:25], -v[20:21], v[22:23], 1.0
	v_fma_f64 v[22:23], v[22:23], v[24:25], v[22:23]
	v_mul_f64 v[24:25], v[26:27], v[22:23]
	v_fma_f64 v[20:21], -v[20:21], v[24:25], v[26:27]
	v_div_fmas_f64 v[20:21], v[20:21], v[22:23], v[24:25]
	v_div_fixup_f64 v[16:17], v[20:21], v[18:19], v[16:17]
.LBB0_13:
	s_or_b64 exec, exec, s[4:5]
	v_add_f64 v[20:21], -|v[0:1]|, 1.0
                                        ; implicit-def: $vgpr18_vgpr19
	v_cmp_ngt_f64_e32 vcc, 0, v[20:21]
	s_and_saveexec_b64 s[4:5], vcc
	s_xor_b64 s[4:5], exec, s[4:5]
	s_cbranch_execz .LBB0_17
; %bb.14:
	v_cmp_neq_f64_e32 vcc, 0, v[20:21]
	v_mov_b32_e32 v19, v13
	v_mov_b32_e32 v18, v12
	s_and_saveexec_b64 s[20:21], vcc
	s_cbranch_execz .LBB0_16
; %bb.15:
	v_mul_f64 v[18:19], v[2:3], v[2:3]
	v_add_f64 v[20:21], v[20:21], v[10:11]
	v_div_scale_f64 v[22:23], s[22:23], v[20:21], v[20:21], v[18:19]
	v_div_scale_f64 v[28:29], vcc, v[18:19], v[20:21], v[18:19]
	v_rcp_f64_e32 v[24:25], v[22:23]
	v_fma_f64 v[26:27], -v[22:23], v[24:25], 1.0
	v_fma_f64 v[24:25], v[24:25], v[26:27], v[24:25]
	v_fma_f64 v[26:27], -v[22:23], v[24:25], 1.0
	v_fma_f64 v[24:25], v[24:25], v[26:27], v[24:25]
	v_mul_f64 v[26:27], v[28:29], v[24:25]
	v_fma_f64 v[22:23], -v[22:23], v[26:27], v[28:29]
	v_div_fmas_f64 v[22:23], v[22:23], v[24:25], v[26:27]
	v_div_fixup_f64 v[18:19], v[22:23], v[20:21], v[18:19]
.LBB0_16:
	s_or_b64 exec, exec, s[20:21]
                                        ; implicit-def: $vgpr20_vgpr21
.LBB0_17:
	s_andn2_saveexec_b64 s[4:5], s[4:5]
; %bb.18:
	v_add_f64 v[18:19], v[10:11], -v[20:21]
; %bb.19:
	s_or_b64 exec, exec, s[4:5]
	v_mul_f64 v[18:19], v[18:19], 0.5
	v_add_f64 v[20:21], v[8:9], 1.0
	s_mov_b32 s4, 0
	s_brev_b32 s5, 8
	s_mov_b32 s20, 0xbf559e2b
	s_mov_b32 s21, 0x3fc3ab76
	v_fma_f64 v[16:17], v[16:17], 0.5, v[18:19]
	v_mul_f64 v[18:19], v[20:21], v[16:17]
	v_mov_b32_e32 v20, 0x100
	v_cmp_gt_f64_e32 vcc, s[4:5], v[18:19]
	s_mov_b32 s5, 0x3fe55555
	s_mov_b32 s4, 0x55555555
	v_cndmask_b32_e32 v20, 0, v20, vcc
	v_ldexp_f64 v[18:19], v[18:19], v20
	v_rsq_f64_e32 v[20:21], v[18:19]
	v_mul_f64 v[22:23], v[18:19], v[20:21]
	v_mul_f64 v[20:21], v[20:21], 0.5
	v_fma_f64 v[24:25], -v[20:21], v[22:23], 0.5
	v_fma_f64 v[22:23], v[22:23], v[24:25], v[22:23]
	v_fma_f64 v[20:21], v[20:21], v[24:25], v[20:21]
	v_fma_f64 v[24:25], -v[22:23], v[22:23], v[18:19]
	v_fma_f64 v[22:23], v[24:25], v[20:21], v[22:23]
	v_fma_f64 v[24:25], -v[22:23], v[22:23], v[18:19]
	v_fma_f64 v[20:21], v[24:25], v[20:21], v[22:23]
	v_mov_b32_e32 v22, 0xffffff80
	v_mov_b32_e32 v23, 0x260
	v_cndmask_b32_e32 v22, 0, v22, vcc
	v_cmp_class_f64_e32 vcc, v[18:19], v23
	v_ldexp_f64 v[20:21], v[20:21], v22
	v_cndmask_b32_e32 v19, v21, v19, vcc
	v_cndmask_b32_e32 v18, v20, v18, vcc
	v_add_f64 v[17:18], v[16:17], v[18:19]
	v_add_f64 v[19:20], v[17:18], 1.0
	v_frexp_mant_f64_e32 v[23:24], v[19:20]
	v_frexp_exp_i32_f64_e32 v16, v[19:20]
	v_add_f64 v[21:22], v[19:20], -1.0
	v_cmp_gt_f64_e32 vcc, s[4:5], v[23:24]
	s_mov_b32 s4, 0x55555780
	v_add_f64 v[25:26], v[21:22], -v[19:20]
	v_add_f64 v[21:22], v[17:18], -v[21:22]
	v_subbrev_co_u32_e32 v16, vcc, 0, v16, vcc
	v_sub_u32_e32 v27, 0, v16
	v_ldexp_f64 v[19:20], v[19:20], v27
	v_add_f64 v[23:24], v[25:26], 1.0
	v_cmp_nge_f64_e32 vcc, -1.0, v[17:18]
	v_add_f64 v[25:26], v[19:20], 1.0
	v_add_f64 v[21:22], v[21:22], v[23:24]
	v_add_f64 v[31:32], v[19:20], -1.0
	v_add_f64 v[23:24], v[25:26], -1.0
	v_ldexp_f64 v[21:22], v[21:22], v27
	v_add_f64 v[33:34], v[31:32], 1.0
	v_add_f64 v[23:24], v[19:20], -v[23:24]
	v_add_f64 v[19:20], v[19:20], -v[33:34]
	v_add_f64 v[23:24], v[21:22], v[23:24]
	v_add_f64 v[19:20], v[21:22], v[19:20]
	;; [unrolled: 1-line block ×4, first 2 shown]
	v_rcp_f64_e32 v[29:30], v[27:28]
	v_add_f64 v[25:26], v[27:28], -v[25:26]
	v_add_f64 v[31:32], v[33:34], -v[31:32]
	v_add_f64 v[23:24], v[23:24], -v[25:26]
	v_add_f64 v[19:20], v[19:20], -v[31:32]
	v_fma_f64 v[35:36], -v[27:28], v[29:30], 1.0
	v_fma_f64 v[29:30], v[35:36], v[29:30], v[29:30]
	v_fma_f64 v[21:22], -v[27:28], v[29:30], 1.0
	v_fma_f64 v[21:22], v[21:22], v[29:30], v[29:30]
	v_mul_f64 v[29:30], v[33:34], v[21:22]
	v_mul_f64 v[35:36], v[27:28], v[29:30]
	v_fma_f64 v[25:26], v[29:30], v[27:28], -v[35:36]
	v_fma_f64 v[25:26], v[29:30], v[23:24], v[25:26]
	v_add_f64 v[37:38], v[35:36], v[25:26]
	v_add_f64 v[48:49], v[33:34], -v[37:38]
	v_add_f64 v[31:32], v[37:38], -v[35:36]
	;; [unrolled: 1-line block ×5, first 2 shown]
	v_add_f64 v[19:20], v[19:20], v[33:34]
	v_add_f64 v[19:20], v[25:26], v[19:20]
	;; [unrolled: 1-line block ×3, first 2 shown]
	v_mul_f64 v[31:32], v[21:22], v[25:26]
	v_add_f64 v[37:38], v[48:49], -v[25:26]
	v_mul_f64 v[33:34], v[27:28], v[31:32]
	v_add_f64 v[19:20], v[19:20], v[37:38]
	v_fma_f64 v[27:28], v[31:32], v[27:28], -v[33:34]
	v_fma_f64 v[23:24], v[31:32], v[23:24], v[27:28]
	v_add_f64 v[27:28], v[33:34], v[23:24]
	v_add_f64 v[35:36], v[25:26], -v[27:28]
	v_add_f64 v[33:34], v[27:28], -v[33:34]
	;; [unrolled: 1-line block ×5, first 2 shown]
	v_mov_b32_e32 v27, 0x6b47b09a
	v_mov_b32_e32 v28, 0x3fc38538
	v_add_f64 v[19:20], v[19:20], v[25:26]
	v_add_f64 v[25:26], v[29:30], v[31:32]
	v_add_f64 v[19:20], v[23:24], v[19:20]
	v_add_f64 v[23:24], v[25:26], -v[29:30]
	v_add_f64 v[19:20], v[35:36], v[19:20]
	v_add_f64 v[23:24], v[31:32], -v[23:24]
	v_mul_f64 v[19:20], v[21:22], v[19:20]
	v_add_f64 v[19:20], v[23:24], v[19:20]
	v_add_f64 v[21:22], v[25:26], v[19:20]
	v_mul_f64 v[23:24], v[21:22], v[21:22]
	v_fma_f64 v[27:28], v[23:24], s[20:21], v[27:28]
	s_mov_b32 s20, 0xd7f4df2e
	s_mov_b32 s21, 0x3fc7474d
	v_mul_f64 v[29:30], v[21:22], v[23:24]
	v_fma_f64 v[27:28], v[23:24], v[27:28], s[20:21]
	s_mov_b32 s20, 0x16291751
	s_mov_b32 s21, 0x3fcc71c0
	v_fma_f64 v[27:28], v[23:24], v[27:28], s[20:21]
	s_mov_b32 s20, 0x9b27acf1
	s_mov_b32 s21, 0x3fd24924
	;; [unrolled: 3-line block ×3, first 2 shown]
	v_fma_f64 v[27:28], v[23:24], v[27:28], s[20:21]
	v_fma_f64 v[23:24], v[23:24], v[27:28], s[4:5]
	v_ldexp_f64 v[27:28], v[21:22], 1
	v_add_f64 v[21:22], v[21:22], -v[25:26]
	s_mov_b32 s4, 0xfefa39ef
	s_mov_b32 s5, 0x3fe62e42
	v_mul_f64 v[23:24], v[29:30], v[23:24]
	v_cvt_f64_i32_e32 v[29:30], v16
	v_add_f64 v[19:20], v[19:20], -v[21:22]
	v_mov_b32_e32 v16, 0x7ff00000
	v_mul_f64 v[31:32], v[29:30], s[4:5]
	v_add_f64 v[25:26], v[27:28], v[23:24]
	v_ldexp_f64 v[19:20], v[19:20], 1
	v_add_f64 v[21:22], v[25:26], -v[27:28]
	v_fma_f64 v[27:28], v[29:30], s[4:5], -v[31:32]
	s_mov_b32 s4, 0x3b39803f
	s_mov_b32 s5, 0x3c7abc9e
	v_add_f64 v[21:22], v[23:24], -v[21:22]
	v_fma_f64 v[23:24], v[29:30], s[4:5], v[27:28]
	s_mov_b32 s4, 0
	s_mov_b32 s5, 0x7ff00000
	v_cmp_neq_f64_e64 s[4:5], s[4:5], v[17:18]
	v_add_f64 v[19:20], v[19:20], v[21:22]
	v_add_f64 v[21:22], v[31:32], v[23:24]
	s_and_b64 vcc, vcc, s[4:5]
	v_add_f64 v[27:28], v[25:26], v[19:20]
	v_add_f64 v[31:32], v[21:22], -v[31:32]
	v_add_f64 v[29:30], v[21:22], v[27:28]
	v_add_f64 v[25:26], v[27:28], -v[25:26]
	v_add_f64 v[23:24], v[23:24], -v[31:32]
	;; [unrolled: 1-line block ×6, first 2 shown]
	v_add_f64 v[27:28], v[23:24], v[19:20]
	v_add_f64 v[21:22], v[21:22], -v[35:36]
	v_add_f64 v[21:22], v[25:26], v[21:22]
	v_add_f64 v[25:26], v[27:28], -v[23:24]
	;; [unrolled: 2-line block ×3, first 2 shown]
	v_add_f64 v[19:20], v[19:20], -v[25:26]
	v_add_f64 v[31:32], v[29:30], v[21:22]
	v_add_f64 v[23:24], v[23:24], -v[27:28]
	v_add_f64 v[25:26], v[31:32], -v[29:30]
	v_add_f64 v[19:20], v[19:20], v[23:24]
	v_add_f64 v[21:22], v[21:22], -v[25:26]
	v_add_f64 v[19:20], v[19:20], v[21:22]
	v_mov_b32_e32 v21, 0x7ff80000
	v_mov_b32_e32 v22, 0xfff00000
	v_add_f64 v[19:20], v[31:32], v[19:20]
	v_cndmask_b32_e64 v20, v16, v20, s[4:5]
	v_cndmask_b32_e32 v16, 0, v19, vcc
	v_cmp_ngt_f64_e32 vcc, -1.0, v[17:18]
	v_cndmask_b32_e32 v19, v21, v20, vcc
	v_cmp_neq_f64_e32 vcc, -1.0, v[17:18]
	v_cndmask_b32_e32 v17, v22, v19, vcc
.LBB0_20:
	s_andn2_saveexec_b64 s[18:19], s[18:19]
	s_cbranch_execz .LBB0_26
; %bb.21:
	v_cmp_nlt_f64_e64 s[4:5], |v[0:1]|, 1.0
                                        ; implicit-def: $vgpr16_vgpr17
	s_and_saveexec_b64 s[20:21], s[4:5]
	s_xor_b64 s[20:21], exec, s[20:21]
	s_cbranch_execz .LBB0_23
; %bb.22:
	v_mul_f64 v[16:17], v[4:5], v[6:7]
	s_mov_b32 s4, 0
	s_brev_b32 s5, 8
	v_mov_b32_e32 v18, 0x100
	s_mov_b32 s22, 0xbf559e2b
	s_mov_b32 s23, 0x3fc3ab76
	v_cmp_gt_f64_e32 vcc, s[4:5], v[16:17]
	s_mov_b32 s5, 0x3fe55555
	s_mov_b32 s4, 0x55555555
	v_cndmask_b32_e32 v18, 0, v18, vcc
	v_ldexp_f64 v[16:17], v[16:17], v18
	v_rsq_f64_e32 v[18:19], v[16:17]
	v_mul_f64 v[20:21], v[16:17], v[18:19]
	v_mul_f64 v[18:19], v[18:19], 0.5
	v_fma_f64 v[22:23], -v[18:19], v[20:21], 0.5
	v_fma_f64 v[20:21], v[20:21], v[22:23], v[20:21]
	v_fma_f64 v[18:19], v[18:19], v[22:23], v[18:19]
	v_fma_f64 v[22:23], -v[20:21], v[20:21], v[16:17]
	v_fma_f64 v[20:21], v[22:23], v[18:19], v[20:21]
	v_fma_f64 v[22:23], -v[20:21], v[20:21], v[16:17]
	v_fma_f64 v[18:19], v[22:23], v[18:19], v[20:21]
	v_mov_b32_e32 v20, 0xffffff80
	v_mov_b32_e32 v21, 0x260
	v_cndmask_b32_e32 v20, 0, v20, vcc
	v_cmp_class_f64_e32 vcc, v[16:17], v21
	v_ldexp_f64 v[18:19], v[18:19], v20
	v_cndmask_b32_e32 v17, v19, v17, vcc
	v_cndmask_b32_e32 v16, v18, v16, vcc
	v_add_f64 v[17:18], v[4:5], v[16:17]
	v_add_f64 v[19:20], v[17:18], 1.0
	v_frexp_mant_f64_e32 v[23:24], v[19:20]
	v_frexp_exp_i32_f64_e32 v16, v[19:20]
	v_add_f64 v[21:22], v[19:20], -1.0
	v_cmp_gt_f64_e32 vcc, s[4:5], v[23:24]
	s_mov_b32 s4, 0x55555780
	v_add_f64 v[25:26], v[21:22], -v[19:20]
	v_add_f64 v[21:22], v[17:18], -v[21:22]
	v_subbrev_co_u32_e32 v16, vcc, 0, v16, vcc
	v_sub_u32_e32 v27, 0, v16
	v_ldexp_f64 v[19:20], v[19:20], v27
	v_add_f64 v[23:24], v[25:26], 1.0
	v_cmp_nge_f64_e32 vcc, -1.0, v[17:18]
	v_add_f64 v[25:26], v[19:20], 1.0
	v_add_f64 v[21:22], v[21:22], v[23:24]
	v_add_f64 v[31:32], v[19:20], -1.0
	v_add_f64 v[23:24], v[25:26], -1.0
	v_ldexp_f64 v[21:22], v[21:22], v27
	v_add_f64 v[33:34], v[31:32], 1.0
	v_add_f64 v[23:24], v[19:20], -v[23:24]
	v_add_f64 v[19:20], v[19:20], -v[33:34]
	v_add_f64 v[23:24], v[21:22], v[23:24]
	v_add_f64 v[19:20], v[21:22], v[19:20]
	;; [unrolled: 1-line block ×4, first 2 shown]
	v_rcp_f64_e32 v[29:30], v[27:28]
	v_add_f64 v[25:26], v[27:28], -v[25:26]
	v_add_f64 v[31:32], v[33:34], -v[31:32]
	;; [unrolled: 1-line block ×4, first 2 shown]
	v_fma_f64 v[35:36], -v[27:28], v[29:30], 1.0
	v_fma_f64 v[29:30], v[35:36], v[29:30], v[29:30]
	v_fma_f64 v[21:22], -v[27:28], v[29:30], 1.0
	v_fma_f64 v[21:22], v[21:22], v[29:30], v[29:30]
	v_mul_f64 v[29:30], v[33:34], v[21:22]
	v_mul_f64 v[35:36], v[27:28], v[29:30]
	v_fma_f64 v[25:26], v[29:30], v[27:28], -v[35:36]
	v_fma_f64 v[25:26], v[29:30], v[23:24], v[25:26]
	v_add_f64 v[37:38], v[35:36], v[25:26]
	v_add_f64 v[48:49], v[33:34], -v[37:38]
	v_add_f64 v[31:32], v[37:38], -v[35:36]
	;; [unrolled: 1-line block ×5, first 2 shown]
	v_add_f64 v[19:20], v[19:20], v[33:34]
	v_add_f64 v[19:20], v[25:26], v[19:20]
	;; [unrolled: 1-line block ×3, first 2 shown]
	v_mul_f64 v[31:32], v[21:22], v[25:26]
	v_add_f64 v[37:38], v[48:49], -v[25:26]
	v_mul_f64 v[33:34], v[27:28], v[31:32]
	v_add_f64 v[19:20], v[19:20], v[37:38]
	v_fma_f64 v[27:28], v[31:32], v[27:28], -v[33:34]
	v_fma_f64 v[23:24], v[31:32], v[23:24], v[27:28]
	v_add_f64 v[27:28], v[33:34], v[23:24]
	v_add_f64 v[35:36], v[25:26], -v[27:28]
	v_add_f64 v[33:34], v[27:28], -v[33:34]
	;; [unrolled: 1-line block ×5, first 2 shown]
	v_mov_b32_e32 v27, 0x6b47b09a
	v_mov_b32_e32 v28, 0x3fc38538
	v_add_f64 v[19:20], v[19:20], v[25:26]
	v_add_f64 v[25:26], v[29:30], v[31:32]
	;; [unrolled: 1-line block ×3, first 2 shown]
	v_add_f64 v[23:24], v[25:26], -v[29:30]
	v_add_f64 v[19:20], v[35:36], v[19:20]
	v_add_f64 v[23:24], v[31:32], -v[23:24]
	v_mul_f64 v[19:20], v[21:22], v[19:20]
	v_add_f64 v[19:20], v[23:24], v[19:20]
	v_add_f64 v[21:22], v[25:26], v[19:20]
	v_mul_f64 v[23:24], v[21:22], v[21:22]
	v_fma_f64 v[27:28], v[23:24], s[22:23], v[27:28]
	s_mov_b32 s22, 0xd7f4df2e
	s_mov_b32 s23, 0x3fc7474d
	v_mul_f64 v[29:30], v[21:22], v[23:24]
	v_fma_f64 v[27:28], v[23:24], v[27:28], s[22:23]
	s_mov_b32 s22, 0x16291751
	s_mov_b32 s23, 0x3fcc71c0
	v_fma_f64 v[27:28], v[23:24], v[27:28], s[22:23]
	s_mov_b32 s22, 0x9b27acf1
	s_mov_b32 s23, 0x3fd24924
	;; [unrolled: 3-line block ×3, first 2 shown]
	v_fma_f64 v[27:28], v[23:24], v[27:28], s[22:23]
	v_fma_f64 v[23:24], v[23:24], v[27:28], s[4:5]
	v_ldexp_f64 v[27:28], v[21:22], 1
	v_add_f64 v[21:22], v[21:22], -v[25:26]
	s_mov_b32 s4, 0xfefa39ef
	s_mov_b32 s5, 0x3fe62e42
	v_mul_f64 v[23:24], v[29:30], v[23:24]
	v_cvt_f64_i32_e32 v[29:30], v16
	v_add_f64 v[19:20], v[19:20], -v[21:22]
	v_mov_b32_e32 v16, 0x7ff00000
	v_mul_f64 v[31:32], v[29:30], s[4:5]
	v_add_f64 v[25:26], v[27:28], v[23:24]
	v_ldexp_f64 v[19:20], v[19:20], 1
	v_add_f64 v[21:22], v[25:26], -v[27:28]
	v_fma_f64 v[27:28], v[29:30], s[4:5], -v[31:32]
	s_mov_b32 s4, 0x3b39803f
	s_mov_b32 s5, 0x3c7abc9e
	v_add_f64 v[21:22], v[23:24], -v[21:22]
	v_fma_f64 v[23:24], v[29:30], s[4:5], v[27:28]
	s_mov_b32 s4, 0
	s_mov_b32 s5, 0x7ff00000
	v_cmp_neq_f64_e64 s[4:5], s[4:5], v[17:18]
	v_add_f64 v[19:20], v[19:20], v[21:22]
	v_add_f64 v[21:22], v[31:32], v[23:24]
	s_and_b64 vcc, vcc, s[4:5]
	v_add_f64 v[27:28], v[25:26], v[19:20]
	v_add_f64 v[31:32], v[21:22], -v[31:32]
	v_add_f64 v[29:30], v[21:22], v[27:28]
	v_add_f64 v[25:26], v[27:28], -v[25:26]
	v_add_f64 v[23:24], v[23:24], -v[31:32]
	;; [unrolled: 1-line block ×6, first 2 shown]
	v_add_f64 v[27:28], v[23:24], v[19:20]
	v_add_f64 v[21:22], v[21:22], -v[35:36]
	v_add_f64 v[21:22], v[25:26], v[21:22]
	v_add_f64 v[25:26], v[27:28], -v[23:24]
	;; [unrolled: 2-line block ×3, first 2 shown]
	v_add_f64 v[19:20], v[19:20], -v[25:26]
	v_add_f64 v[31:32], v[29:30], v[21:22]
	v_add_f64 v[23:24], v[23:24], -v[27:28]
	v_add_f64 v[25:26], v[31:32], -v[29:30]
	v_add_f64 v[19:20], v[19:20], v[23:24]
	v_add_f64 v[21:22], v[21:22], -v[25:26]
	v_add_f64 v[19:20], v[19:20], v[21:22]
	v_mov_b32_e32 v21, 0x7ff80000
	v_mov_b32_e32 v22, 0xfff00000
	v_add_f64 v[19:20], v[31:32], v[19:20]
	v_cndmask_b32_e64 v20, v16, v20, s[4:5]
	v_cndmask_b32_e32 v16, 0, v19, vcc
	v_cmp_ngt_f64_e32 vcc, -1.0, v[17:18]
	v_cndmask_b32_e32 v19, v21, v20, vcc
	v_cmp_neq_f64_e32 vcc, -1.0, v[17:18]
	v_cndmask_b32_e32 v17, v22, v19, vcc
.LBB0_23:
	s_andn2_saveexec_b64 s[4:5], s[20:21]
	s_cbranch_execz .LBB0_25
; %bb.24:
	v_add_f64 v[16:17], -|v[0:1]|, 1.0
	s_mov_b32 s20, 0
	s_brev_b32 s21, 8
	v_mov_b32_e32 v18, 0x100
	v_mul_f64 v[16:17], v[16:17], v[6:7]
	v_cmp_gt_f64_e32 vcc, s[20:21], v[16:17]
	v_cndmask_b32_e32 v18, 0, v18, vcc
	v_ldexp_f64 v[16:17], v[16:17], v18
	v_rsq_f64_e32 v[18:19], v[16:17]
	v_mul_f64 v[20:21], v[16:17], v[18:19]
	v_mul_f64 v[18:19], v[18:19], 0.5
	v_fma_f64 v[22:23], -v[18:19], v[20:21], 0.5
	v_fma_f64 v[20:21], v[20:21], v[22:23], v[20:21]
	v_fma_f64 v[18:19], v[18:19], v[22:23], v[18:19]
	v_fma_f64 v[22:23], -v[20:21], v[20:21], v[16:17]
	v_fma_f64 v[20:21], v[22:23], v[18:19], v[20:21]
	v_fma_f64 v[22:23], -v[20:21], v[20:21], v[16:17]
	v_fma_f64 v[18:19], v[22:23], v[18:19], v[20:21]
	v_mov_b32_e32 v20, 0xffffff80
	v_mov_b32_e32 v21, 0x260
	v_cndmask_b32_e32 v20, 0, v20, vcc
	v_cmp_class_f64_e32 vcc, v[16:17], v21
	v_and_b32_e32 v21, 0x7fffffff, v3
	v_ldexp_f64 v[18:19], v[18:19], v20
	v_mov_b32_e32 v20, v2
	v_cndmask_b32_e32 v17, v19, v17, vcc
	v_cndmask_b32_e32 v16, v18, v16, vcc
	v_div_scale_f64 v[18:19], s[20:21], v[16:17], v[16:17], v[20:21]
	v_div_scale_f64 v[20:21], vcc, v[20:21], v[16:17], v[20:21]
	v_rcp_f64_e32 v[22:23], v[18:19]
	v_fma_f64 v[24:25], -v[18:19], v[22:23], 1.0
	v_fma_f64 v[22:23], v[22:23], v[24:25], v[22:23]
	v_fma_f64 v[24:25], -v[18:19], v[22:23], 1.0
	v_fma_f64 v[22:23], v[22:23], v[24:25], v[22:23]
	v_mul_f64 v[24:25], v[20:21], v[22:23]
	v_fma_f64 v[18:19], -v[18:19], v[24:25], v[20:21]
	v_div_fmas_f64 v[18:19], v[18:19], v[22:23], v[24:25]
	v_div_fixup_f64 v[16:17], v[18:19], v[16:17], |v[2:3]|
.LBB0_25:
	s_or_b64 exec, exec, s[4:5]
.LBB0_26:
	s_or_b64 exec, exec, s[18:19]
.LBB0_27:
	s_andn2_saveexec_b64 s[4:5], s[16:17]
	s_cbranch_execz .LBB0_29
; %bb.28:
	s_mov_b32 s16, 0
	s_brev_b32 s17, 8
	v_cmp_lt_f64_e64 vcc, |v[2:3]|, s[16:17]
	v_mov_b32_e32 v16, 0x100
	v_cndmask_b32_e32 v16, 0, v16, vcc
	v_ldexp_f64 v[16:17], |v[2:3]|, v16
	v_rsq_f64_e32 v[18:19], v[16:17]
	v_mul_f64 v[20:21], v[16:17], v[18:19]
	v_mul_f64 v[18:19], v[18:19], 0.5
	v_fma_f64 v[22:23], -v[18:19], v[20:21], 0.5
	v_fma_f64 v[20:21], v[20:21], v[22:23], v[20:21]
	v_fma_f64 v[18:19], v[18:19], v[22:23], v[18:19]
	v_fma_f64 v[22:23], -v[20:21], v[20:21], v[16:17]
	v_fma_f64 v[20:21], v[22:23], v[18:19], v[20:21]
	v_fma_f64 v[22:23], -v[20:21], v[20:21], v[16:17]
	v_fma_f64 v[18:19], v[22:23], v[18:19], v[20:21]
	v_mov_b32_e32 v20, 0xffffff80
	v_mov_b32_e32 v21, 0x260
	v_cndmask_b32_e32 v20, 0, v20, vcc
	v_cmp_class_f64_e32 vcc, v[16:17], v21
	v_ldexp_f64 v[18:19], v[18:19], v20
	v_cndmask_b32_e32 v17, v19, v17, vcc
	v_cndmask_b32_e32 v16, v18, v16, vcc
.LBB0_29:
	s_or_b64 exec, exec, s[4:5]
.LBB0_30:
	s_or_b64 exec, exec, s[6:7]
	s_mov_b32 s4, 0
	s_mov_b32 s5, 0x20200000
	v_cmp_nlt_f64_e64 s[6:7], |v[0:1]|, s[4:5]
                                        ; implicit-def: $sgpr4_sgpr5
                                        ; implicit-def: $vgpr18_vgpr19
                                        ; implicit-def: $vgpr22_vgpr23
                                        ; implicit-def: $vgpr20_vgpr21
	s_and_saveexec_b64 s[16:17], s[6:7]
	s_xor_b64 s[6:7], exec, s[16:17]
	s_cbranch_execz .LBB0_54
; %bb.31:
	v_and_b32_e32 v21, 0x7fffffff, v1
	v_mov_b32_e32 v20, v0
	v_div_scale_f64 v[18:19], s[4:5], v[8:9], v[8:9], v[20:21]
	v_div_scale_f64 v[26:27], vcc, v[20:21], v[8:9], v[20:21]
	s_mov_b32 s4, 0x703afb7f
	s_mov_b32 s5, 0x3fe488ce
	v_rcp_f64_e32 v[22:23], v[18:19]
	v_fma_f64 v[24:25], -v[18:19], v[22:23], 1.0
	v_fma_f64 v[22:23], v[22:23], v[24:25], v[22:23]
	v_fma_f64 v[24:25], -v[18:19], v[22:23], 1.0
	v_fma_f64 v[22:23], v[22:23], v[24:25], v[22:23]
	v_mul_f64 v[24:25], v[26:27], v[22:23]
	v_fma_f64 v[18:19], -v[18:19], v[24:25], v[26:27]
	v_div_fmas_f64 v[18:19], v[18:19], v[22:23], v[24:25]
                                        ; implicit-def: $vgpr22_vgpr23
	v_div_fixup_f64 v[18:19], v[18:19], v[8:9], |v[0:1]|
	v_cmp_lt_f64_e32 vcc, s[4:5], v[18:19]
	s_mov_b64 s[4:5], 0
	s_and_saveexec_b64 s[16:17], vcc
	s_cbranch_execz .LBB0_53
; %bb.32:
	s_mov_b32 s18, 0
	s_mov_b32 s19, 0x3c400000
	v_cmp_neq_f64_e64 s[4:5], |v[0:1]|, 1.0
	v_cmp_nlt_f64_e64 s[18:19], |v[2:3]|, s[18:19]
                                        ; implicit-def: $vgpr22_vgpr23
	s_or_b64 s[4:5], s[4:5], s[18:19]
	s_and_saveexec_b64 s[18:19], s[4:5]
	s_xor_b64 s[4:5], exec, s[18:19]
	s_cbranch_execz .LBB0_50
; %bb.33:
	s_movk_i32 s18, 0xffcc
	v_ldexp_f64 v[22:23], |v[4:5]|, s18
	v_cmp_ge_f64_e64 s[18:19], |v[2:3]|, v[22:23]
                                        ; implicit-def: $vgpr22_vgpr23
	s_and_saveexec_b64 s[20:21], s[18:19]
	s_xor_b64 s[18:19], exec, s[20:21]
	s_cbranch_execz .LBB0_43
; %bb.34:
	v_cmp_neq_f64_e32 vcc, 0, v[6:7]
	v_mov_b32_e32 v23, v13
	v_mov_b32_e32 v22, v12
	s_and_saveexec_b64 s[20:21], vcc
	s_cbranch_execz .LBB0_36
; %bb.35:
	v_mul_f64 v[22:23], v[2:3], v[2:3]
	v_add_f64 v[6:7], v[6:7], v[14:15]
	v_div_scale_f64 v[14:15], s[22:23], v[6:7], v[6:7], v[22:23]
	v_div_scale_f64 v[28:29], vcc, v[22:23], v[6:7], v[22:23]
	v_rcp_f64_e32 v[24:25], v[14:15]
	v_fma_f64 v[26:27], -v[14:15], v[24:25], 1.0
	v_fma_f64 v[24:25], v[24:25], v[26:27], v[24:25]
	v_fma_f64 v[26:27], -v[14:15], v[24:25], 1.0
	v_fma_f64 v[24:25], v[24:25], v[26:27], v[24:25]
	v_mul_f64 v[26:27], v[28:29], v[24:25]
	v_fma_f64 v[14:15], -v[14:15], v[26:27], v[28:29]
	v_div_fmas_f64 v[14:15], v[14:15], v[24:25], v[26:27]
	v_div_fixup_f64 v[22:23], v[14:15], v[6:7], v[22:23]
.LBB0_36:
	s_or_b64 exec, exec, s[20:21]
	v_cmp_ngt_f64_e32 vcc, 0, v[4:5]
	s_and_saveexec_b64 s[20:21], vcc
	s_xor_b64 s[20:21], exec, s[20:21]
	s_cbranch_execz .LBB0_40
; %bb.37:
	v_cmp_neq_f64_e32 vcc, 0, v[4:5]
	s_and_saveexec_b64 s[22:23], vcc
	s_cbranch_execz .LBB0_39
; %bb.38:
	v_mul_f64 v[6:7], v[2:3], v[2:3]
	v_add_f64 v[4:5], v[4:5], v[10:11]
	v_div_scale_f64 v[10:11], s[24:25], v[4:5], v[4:5], v[6:7]
	v_div_scale_f64 v[24:25], vcc, v[6:7], v[4:5], v[6:7]
	v_rcp_f64_e32 v[12:13], v[10:11]
	v_fma_f64 v[14:15], -v[10:11], v[12:13], 1.0
	v_fma_f64 v[12:13], v[12:13], v[14:15], v[12:13]
	v_fma_f64 v[14:15], -v[10:11], v[12:13], 1.0
	v_fma_f64 v[12:13], v[12:13], v[14:15], v[12:13]
	v_mul_f64 v[14:15], v[24:25], v[12:13]
	v_fma_f64 v[10:11], -v[10:11], v[14:15], v[24:25]
	v_div_fmas_f64 v[10:11], v[10:11], v[12:13], v[14:15]
	v_div_fixup_f64 v[12:13], v[10:11], v[4:5], v[6:7]
.LBB0_39:
	s_or_b64 exec, exec, s[22:23]
                                        ; implicit-def: $vgpr10_vgpr11
                                        ; implicit-def: $vgpr4_vgpr5
.LBB0_40:
	s_andn2_saveexec_b64 s[20:21], s[20:21]
; %bb.41:
	v_add_f64 v[12:13], v[10:11], -v[4:5]
; %bb.42:
	s_or_b64 exec, exec, s[20:21]
	v_mul_f64 v[4:5], v[12:13], 0.5
	v_add_f64 v[6:7], |v[0:1]|, v[8:9]
	s_mov_b32 s20, 0
	s_brev_b32 s21, 8
	v_fma_f64 v[4:5], v[22:23], 0.5, v[4:5]
	v_mul_f64 v[4:5], v[6:7], v[4:5]
	v_mov_b32_e32 v6, 0x100
	v_cmp_gt_f64_e32 vcc, s[20:21], v[4:5]
	v_cndmask_b32_e32 v6, 0, v6, vcc
	v_ldexp_f64 v[4:5], v[4:5], v6
	v_rsq_f64_e32 v[6:7], v[4:5]
	v_mul_f64 v[8:9], v[4:5], v[6:7]
	v_mul_f64 v[6:7], v[6:7], 0.5
	v_fma_f64 v[10:11], -v[6:7], v[8:9], 0.5
	v_fma_f64 v[8:9], v[8:9], v[10:11], v[8:9]
	v_fma_f64 v[6:7], v[6:7], v[10:11], v[6:7]
	v_fma_f64 v[10:11], -v[8:9], v[8:9], v[4:5]
	v_fma_f64 v[8:9], v[10:11], v[6:7], v[8:9]
	v_fma_f64 v[10:11], -v[8:9], v[8:9], v[4:5]
	v_fma_f64 v[6:7], v[10:11], v[6:7], v[8:9]
	v_mov_b32_e32 v8, 0xffffff80
	v_mov_b32_e32 v9, 0x260
	v_cndmask_b32_e32 v8, 0, v8, vcc
	v_cmp_class_f64_e32 vcc, v[4:5], v9
	v_ldexp_f64 v[6:7], v[6:7], v8
	v_cndmask_b32_e32 v23, v7, v5, vcc
	v_cndmask_b32_e32 v22, v6, v4, vcc
                                        ; implicit-def: $vgpr6_vgpr7
                                        ; implicit-def: $vgpr4_vgpr5
.LBB0_43:
	s_andn2_saveexec_b64 s[18:19], s[18:19]
	s_cbranch_execz .LBB0_49
; %bb.44:
	v_cmp_ngt_f64_e64 s[20:21], |v[0:1]|, 1.0
                                        ; implicit-def: $vgpr22_vgpr23
	s_and_saveexec_b64 s[22:23], s[20:21]
	s_xor_b64 s[20:21], exec, s[22:23]
	s_cbranch_execz .LBB0_46
; %bb.45:
	v_add_f64 v[4:5], -|v[0:1]|, 1.0
	s_mov_b32 s22, 0
	s_brev_b32 s23, 8
	v_mul_f64 v[4:5], v[4:5], v[6:7]
	v_mov_b32_e32 v6, 0x100
	v_cmp_gt_f64_e32 vcc, s[22:23], v[4:5]
	v_cndmask_b32_e32 v6, 0, v6, vcc
	v_ldexp_f64 v[4:5], v[4:5], v6
	v_rsq_f64_e32 v[6:7], v[4:5]
	v_mul_f64 v[8:9], v[4:5], v[6:7]
	v_mul_f64 v[6:7], v[6:7], 0.5
	v_fma_f64 v[10:11], -v[6:7], v[8:9], 0.5
	v_fma_f64 v[8:9], v[8:9], v[10:11], v[8:9]
	v_fma_f64 v[6:7], v[6:7], v[10:11], v[6:7]
	v_fma_f64 v[10:11], -v[8:9], v[8:9], v[4:5]
	v_fma_f64 v[8:9], v[10:11], v[6:7], v[8:9]
	v_fma_f64 v[10:11], -v[8:9], v[8:9], v[4:5]
	v_fma_f64 v[6:7], v[10:11], v[6:7], v[8:9]
	v_mov_b32_e32 v8, 0xffffff80
	v_mov_b32_e32 v9, 0x260
	v_cndmask_b32_e32 v8, 0, v8, vcc
	v_cmp_class_f64_e32 vcc, v[4:5], v9
	v_ldexp_f64 v[6:7], v[6:7], v8
	v_cndmask_b32_e32 v23, v7, v5, vcc
	v_cndmask_b32_e32 v22, v6, v4, vcc
                                        ; implicit-def: $vgpr6_vgpr7
                                        ; implicit-def: $vgpr4_vgpr5
.LBB0_46:
	s_andn2_saveexec_b64 s[20:21], s[20:21]
	s_cbranch_execz .LBB0_48
; %bb.47:
	v_mul_f64 v[4:5], v[6:7], v[4:5]
	s_mov_b32 s22, 0
	s_brev_b32 s23, 8
	v_mov_b32_e32 v6, 0x100
	s_movk_i32 s24, 0x6a
	v_ldexp_f64 v[20:21], |v[0:1]|, s24
	v_cmp_gt_f64_e32 vcc, s[22:23], v[4:5]
	v_cndmask_b32_e32 v6, 0, v6, vcc
	v_ldexp_f64 v[4:5], v[4:5], v6
	v_rsq_f64_e32 v[6:7], v[4:5]
	v_mul_f64 v[8:9], v[4:5], v[6:7]
	v_mul_f64 v[6:7], v[6:7], 0.5
	v_fma_f64 v[10:11], -v[6:7], v[8:9], 0.5
	v_fma_f64 v[8:9], v[8:9], v[10:11], v[8:9]
	v_fma_f64 v[6:7], v[6:7], v[10:11], v[6:7]
	v_fma_f64 v[10:11], -v[8:9], v[8:9], v[4:5]
	v_fma_f64 v[8:9], v[10:11], v[6:7], v[8:9]
	v_fma_f64 v[10:11], -v[8:9], v[8:9], v[4:5]
	v_fma_f64 v[6:7], v[10:11], v[6:7], v[8:9]
	v_ldexp_f64 v[8:9], |v[2:3]|, s24
	v_mov_b32_e32 v10, 0xffffff80
	v_mov_b32_e32 v11, 0x260
	v_cndmask_b32_e32 v10, 0, v10, vcc
	v_cmp_class_f64_e32 vcc, v[4:5], v11
	v_ldexp_f64 v[6:7], v[6:7], v10
	v_mul_f64 v[8:9], |v[0:1]|, v[8:9]
	v_cndmask_b32_e32 v5, v7, v5, vcc
	v_cndmask_b32_e32 v4, v6, v4, vcc
	v_div_scale_f64 v[6:7], s[22:23], v[4:5], v[4:5], v[8:9]
	v_rcp_f64_e32 v[10:11], v[6:7]
	v_fma_f64 v[12:13], -v[6:7], v[10:11], 1.0
	v_fma_f64 v[10:11], v[10:11], v[12:13], v[10:11]
	v_div_scale_f64 v[12:13], vcc, v[8:9], v[4:5], v[8:9]
	v_fma_f64 v[14:15], -v[6:7], v[10:11], 1.0
	v_fma_f64 v[10:11], v[10:11], v[14:15], v[10:11]
	v_mul_f64 v[14:15], v[12:13], v[10:11]
	v_fma_f64 v[6:7], -v[6:7], v[14:15], v[12:13]
	v_div_fmas_f64 v[6:7], v[6:7], v[10:11], v[14:15]
	v_div_fixup_f64 v[22:23], v[6:7], v[4:5], v[8:9]
.LBB0_48:
	s_or_b64 exec, exec, s[20:21]
.LBB0_49:
	s_or_b64 exec, exec, s[18:19]
                                        ; implicit-def: $vgpr8_vgpr9
.LBB0_50:
	s_andn2_saveexec_b64 s[18:19], s[4:5]
	s_cbranch_execz .LBB0_52
; %bb.51:
	v_add_f64 v[4:5], v[8:9], 1.0
	s_mov_b32 s4, 0
	s_brev_b32 s5, 8
	v_cmp_lt_f64_e64 vcc, |v[2:3]|, s[4:5]
	v_mov_b32_e32 v8, 0x100
	v_mul_f64 v[4:5], v[4:5], 0.5
	v_cndmask_b32_e32 v6, 0, v8, vcc
	v_ldexp_f64 v[6:7], |v[2:3]|, v6
	v_cmp_gt_f64_e64 s[4:5], s[4:5], v[4:5]
	v_cndmask_b32_e64 v2, 0, v8, s[4:5]
	v_ldexp_f64 v[4:5], v[4:5], v2
	v_rsq_f64_e32 v[8:9], v[6:7]
	v_mov_b32_e32 v2, 0xffffff80
	v_rsq_f64_e32 v[10:11], v[4:5]
	v_mul_f64 v[12:13], v[6:7], v[8:9]
	v_mul_f64 v[8:9], v[8:9], 0.5
	v_mul_f64 v[14:15], v[4:5], v[10:11]
	v_mul_f64 v[10:11], v[10:11], 0.5
	v_fma_f64 v[20:21], -v[8:9], v[12:13], 0.5
	v_fma_f64 v[22:23], -v[10:11], v[14:15], 0.5
	v_fma_f64 v[12:13], v[12:13], v[20:21], v[12:13]
	v_fma_f64 v[8:9], v[8:9], v[20:21], v[8:9]
	;; [unrolled: 1-line block ×3, first 2 shown]
	v_fma_f64 v[20:21], -v[12:13], v[12:13], v[6:7]
	v_fma_f64 v[10:11], v[10:11], v[22:23], v[10:11]
	v_fma_f64 v[22:23], -v[14:15], v[14:15], v[4:5]
	v_fma_f64 v[12:13], v[20:21], v[8:9], v[12:13]
	v_fma_f64 v[14:15], v[22:23], v[10:11], v[14:15]
	v_fma_f64 v[20:21], -v[12:13], v[12:13], v[6:7]
	v_fma_f64 v[22:23], -v[14:15], v[14:15], v[4:5]
	v_fma_f64 v[8:9], v[20:21], v[8:9], v[12:13]
	v_mov_b32_e32 v12, 0x260
	v_cndmask_b32_e32 v13, 0, v2, vcc
	v_cndmask_b32_e64 v2, 0, v2, s[4:5]
	v_cmp_class_f64_e32 vcc, v[6:7], v12
	v_cmp_class_f64_e64 s[4:5], v[4:5], v12
	v_mov_b32_e32 v20, 0
	v_fma_f64 v[10:11], v[22:23], v[10:11], v[14:15]
	v_ldexp_f64 v[8:9], v[8:9], v13
	v_mov_b32_e32 v21, 0x3ff00000
	v_ldexp_f64 v[10:11], v[10:11], v2
	v_cndmask_b32_e32 v7, v9, v7, vcc
	v_cndmask_b32_e32 v6, v8, v6, vcc
	v_cndmask_b32_e64 v5, v11, v5, s[4:5]
	v_cndmask_b32_e64 v4, v10, v4, s[4:5]
	v_mul_f64 v[22:23], v[6:7], v[4:5]
.LBB0_52:
	s_or_b64 exec, exec, s[18:19]
	s_mov_b64 s[4:5], exec
.LBB0_53:
	s_or_b64 exec, exec, s[16:17]
                                        ; implicit-def: $vgpr8_vgpr9
.LBB0_54:
	s_andn2_saveexec_b64 s[6:7], s[6:7]
	s_cbranch_execz .LBB0_56
; %bb.55:
	v_ldexp_f64 v[22:23], v[8:9], 53
	v_ldexp_f64 v[20:21], |v[0:1]|, 53
	s_or_b64 s[4:5], s[4:5], exec
                                        ; implicit-def: $vgpr18_vgpr19
.LBB0_56:
	s_or_b64 exec, exec, s[6:7]
	s_xor_b64 s[4:5], s[4:5], -1
                                        ; implicit-def: $vgpr6_vgpr7
	s_and_saveexec_b64 s[6:7], s[4:5]
	s_xor_b64 s[4:5], exec, s[6:7]
	s_cbranch_execz .LBB0_60
; %bb.57:
	v_fma_f64 v[4:5], |v[18:19]|, -0.5, 0.5
	v_mul_f64 v[6:7], v[18:19], v[18:19]
	v_cmp_ge_f64_e64 vcc, |v[18:19]|, 0.5
	s_mov_b32 s6, 0x9fea6a70
	v_mov_b32_e32 v8, 0x78a05eaf
	v_mov_b32_e32 v9, 0xbf90a5a3
	s_mov_b32 s7, 0x3fa05985
	v_cndmask_b32_e32 v7, v7, v5, vcc
	v_cndmask_b32_e32 v6, v6, v4, vcc
	v_fma_f64 v[8:9], v[6:7], s[6:7], v[8:9]
	s_mov_b32 s6, 0x37024d6a
	s_mov_b32 s7, 0x3f940521
	v_fma_f64 v[8:9], v[6:7], v[8:9], s[6:7]
	s_mov_b32 s6, 0x98a70509
	s_mov_b32 s7, 0x3f7ab3a0
	;; [unrolled: 3-line block ×10, first 2 shown]
	v_fma_f64 v[8:9], v[6:7], v[8:9], s[6:7]
	v_mul_f64 v[8:9], v[6:7], v[8:9]
	v_fma_f64 v[6:7], |v[18:19]|, v[8:9], |v[18:19]|
	s_and_saveexec_b64 s[6:7], vcc
	s_cbranch_execz .LBB0_59
; %bb.58:
	v_rsq_f64_e32 v[6:7], v[4:5]
	v_cmp_eq_f64_e32 vcc, 0, v[4:5]
	s_mov_b32 s16, 0x54442d18
	s_mov_b32 s17, 0x3fe921fb
	v_mov_b32_e32 v0, 0x3ff921fb
	v_mov_b32_e32 v2, 0x54442d18
	v_mul_f64 v[10:11], v[4:5], v[6:7]
	v_mul_f64 v[6:7], v[6:7], 0.5
	v_fma_f64 v[12:13], -v[6:7], v[10:11], 0.5
	v_fma_f64 v[10:11], v[10:11], v[12:13], v[10:11]
	v_fma_f64 v[6:7], v[6:7], v[12:13], v[6:7]
	v_fma_f64 v[12:13], -v[10:11], v[10:11], v[4:5]
	v_fma_f64 v[6:7], v[12:13], v[6:7], v[10:11]
	v_cndmask_b32_e32 v7, v7, v5, vcc
	v_cndmask_b32_e32 v6, v6, v4, vcc
	v_add_f64 v[10:11], v[6:7], v[6:7]
	v_mul_f64 v[12:13], v[6:7], v[6:7]
	v_rcp_f64_e32 v[14:15], v[10:11]
	v_add_f64 v[20:21], v[4:5], -v[12:13]
	v_fma_f64 v[24:25], v[6:7], v[6:7], -v[12:13]
	v_add_f64 v[4:5], v[4:5], -v[20:21]
	v_fma_f64 v[22:23], -v[10:11], v[14:15], 1.0
	v_add_f64 v[4:5], v[4:5], -v[12:13]
	v_fma_f64 v[12:13], v[22:23], v[14:15], v[14:15]
	v_add_f64 v[4:5], v[4:5], -v[24:25]
	v_fma_f64 v[14:15], -v[10:11], v[12:13], 1.0
	v_add_f64 v[4:5], v[20:21], v[4:5]
	v_fma_f64 v[12:13], v[14:15], v[12:13], v[12:13]
	v_mul_f64 v[14:15], v[4:5], v[12:13]
	v_fma_f64 v[4:5], -v[10:11], v[14:15], v[4:5]
	v_fma_f64 v[4:5], v[4:5], v[12:13], v[14:15]
	v_cndmask_b32_e64 v5, v5, 0, vcc
	v_cndmask_b32_e64 v4, v4, 0, vcc
	v_add_f64 v[10:11], v[6:7], v[4:5]
	v_cmp_neq_f64_e64 vcc, |v[18:19]|, 1.0
	v_add_f64 v[6:7], v[10:11], -v[6:7]
	v_mul_f64 v[12:13], v[8:9], v[10:11]
	v_add_f64 v[4:5], v[4:5], -v[6:7]
	v_fma_f64 v[6:7], v[10:11], v[8:9], -v[12:13]
	v_fma_f64 v[6:7], v[4:5], v[8:9], v[6:7]
	v_add_f64 v[8:9], v[12:13], v[6:7]
	v_add_f64 v[14:15], v[10:11], v[8:9]
	v_add_f64 v[12:13], v[8:9], -v[12:13]
	v_add_f64 v[10:11], v[14:15], -v[10:11]
	;; [unrolled: 1-line block ×4, first 2 shown]
	v_add_f64 v[4:5], v[4:5], v[6:7]
	v_add_f64 v[4:5], v[4:5], v[8:9]
	;; [unrolled: 1-line block ×3, first 2 shown]
	v_add_f64 v[8:9], -v[6:7], s[16:17]
	v_add_f64 v[12:13], v[6:7], -v[14:15]
	v_add_f64 v[10:11], -v[8:9], s[16:17]
	s_mov_b32 s16, 0x33145c07
	s_mov_b32 s17, 0x3c81a626
	v_add_f64 v[4:5], v[12:13], -v[4:5]
	v_add_f64 v[6:7], v[10:11], -v[6:7]
	v_add_f64 v[6:7], v[6:7], s[16:17]
	v_add_f64 v[4:5], v[4:5], v[6:7]
	;; [unrolled: 1-line block ×4, first 2 shown]
	v_cndmask_b32_e32 v7, v0, v5, vcc
	v_cndmask_b32_e32 v6, v2, v4, vcc
.LBB0_59:
	s_or_b64 exec, exec, s[6:7]
	s_brev_b32 s6, -2
	v_bfi_b32 v7, s6, v7, v19
                                        ; implicit-def: $vgpr20_vgpr21
                                        ; implicit-def: $vgpr22_vgpr23
.LBB0_60:
	s_andn2_saveexec_b64 s[16:17], s[4:5]
	s_cbranch_execz .LBB0_62
; %bb.61:
	v_max_f64 v[4:5], v[20:21], v[20:21]
	v_max_f64 v[6:7], |v[22:23]|, |v[22:23]|
	s_mov_b32 s6, 0
	s_mov_b32 s7, 0x7ff00000
	s_movk_i32 s18, 0x204
	v_cmp_class_f64_e64 s[18:19], v[22:23], s18
	v_mov_b32_e32 v0, 0x3fe921fb
	v_mov_b32_e32 v2, 0x4002d97c
	v_max_f64 v[8:9], v[6:7], v[4:5]
	v_min_f64 v[4:5], v[6:7], v[4:5]
	v_div_scale_f64 v[6:7], s[4:5], v[8:9], v[8:9], v[4:5]
	s_mov_b32 s4, 0xb5e68a13
	s_mov_b32 s5, 0x3eeba404
	v_rcp_f64_e32 v[10:11], v[6:7]
	v_fma_f64 v[12:13], -v[6:7], v[10:11], 1.0
	v_fma_f64 v[10:11], v[10:11], v[12:13], v[10:11]
	v_div_scale_f64 v[12:13], vcc, v[4:5], v[8:9], v[4:5]
	v_fma_f64 v[14:15], -v[6:7], v[10:11], 1.0
	v_fma_f64 v[10:11], v[10:11], v[14:15], v[10:11]
	v_mul_f64 v[14:15], v[12:13], v[10:11]
	v_fma_f64 v[6:7], -v[6:7], v[14:15], v[12:13]
	v_div_fmas_f64 v[6:7], v[6:7], v[10:11], v[14:15]
	v_cmp_lt_f64_e64 vcc, |v[22:23]|, v[20:21]
	v_mov_b32_e32 v10, 0x7ff80000
	v_div_fixup_f64 v[4:5], v[6:7], v[8:9], v[4:5]
	v_mov_b32_e32 v8, 0xbd3237f4
	v_mov_b32_e32 v9, 0xbf23e260
	v_mul_f64 v[6:7], v[4:5], v[4:5]
	v_fma_f64 v[8:9], v[6:7], s[4:5], v[8:9]
	s_mov_b32 s4, 0x69efb384
	s_mov_b32 s5, 0x3f4b2bb0
	v_fma_f64 v[8:9], v[6:7], v[8:9], s[4:5]
	s_mov_b32 s4, 0xaf56de9b
	s_mov_b32 s5, 0xbf67952d
	v_fma_f64 v[8:9], v[6:7], v[8:9], s[4:5]
	s_mov_b32 s4, 0xa595c56f
	s_mov_b32 s5, 0x3f7d6d43
	v_fma_f64 v[8:9], v[6:7], v[8:9], s[4:5]
	s_mov_b32 s4, 0xa57d9582
	s_mov_b32 s5, 0xbf8c6ea4
	v_fma_f64 v[8:9], v[6:7], v[8:9], s[4:5]
	s_mov_b32 s4, 0x5f08b19f
	s_mov_b32 s5, 0x3f967e29
	v_fma_f64 v[8:9], v[6:7], v[8:9], s[4:5]
	s_mov_b32 s4, 0xfc27006a
	s_mov_b32 s5, 0xbf9e9ae6
	v_fma_f64 v[8:9], v[6:7], v[8:9], s[4:5]
	s_mov_b32 s4, 0x5711927a
	s_mov_b32 s5, 0x3fa2c15b
	v_fma_f64 v[8:9], v[6:7], v[8:9], s[4:5]
	s_mov_b32 s4, 0xe82d3ff0
	s_mov_b32 s5, 0xbfa59976
	v_fma_f64 v[8:9], v[6:7], v[8:9], s[4:5]
	s_mov_b32 s4, 0x6ef28734
	s_mov_b32 s5, 0x3fa82d5d
	v_fma_f64 v[8:9], v[6:7], v[8:9], s[4:5]
	s_mov_b32 s4, 0x6a214619
	s_mov_b32 s5, 0xbfaae5ce
	v_fma_f64 v[8:9], v[6:7], v[8:9], s[4:5]
	s_mov_b32 s4, 0x8427b883
	s_mov_b32 s5, 0x3fae1bb4
	v_fma_f64 v[8:9], v[6:7], v[8:9], s[4:5]
	s_mov_b32 s4, 0x8b207f05
	s_mov_b32 s5, 0xbfb110e4
	v_fma_f64 v[8:9], v[6:7], v[8:9], s[4:5]
	s_mov_b32 s4, 0x57b87036
	s_mov_b32 s5, 0x3fb3b136
	v_fma_f64 v[8:9], v[6:7], v[8:9], s[4:5]
	s_mov_b32 s4, 0x19378e4f
	s_mov_b32 s5, 0xbfb745d1
	v_fma_f64 v[8:9], v[6:7], v[8:9], s[4:5]
	s_mov_b32 s4, 0x17e1913c
	s_mov_b32 s5, 0x3fbc71c7
	v_fma_f64 v[8:9], v[6:7], v[8:9], s[4:5]
	s_mov_b32 s4, 0x92376b7d
	s_mov_b32 s5, 0xbfc24924
	v_fma_f64 v[8:9], v[6:7], v[8:9], s[4:5]
	s_mov_b32 s4, 0x999952cc
	s_mov_b32 s5, 0x3fc99999
	v_fma_f64 v[8:9], v[6:7], v[8:9], s[4:5]
	s_mov_b32 s4, 0x55555523
	s_mov_b32 s5, 0xbfd55555
	v_fma_f64 v[8:9], v[6:7], v[8:9], s[4:5]
	s_mov_b32 s4, 0x54442d18
	s_mov_b32 s5, 0x3ff921fb
	v_mul_f64 v[6:7], v[6:7], v[8:9]
	v_mov_b32_e32 v8, 0x54442d18
	v_ashrrev_i32_e32 v9, 31, v23
	v_fma_f64 v[4:5], v[4:5], v[6:7], v[4:5]
	v_add_f64 v[6:7], -v[4:5], s[4:5]
	s_mov_b32 s5, 0x400921fb
	v_cndmask_b32_e32 v5, v5, v7, vcc
	v_cndmask_b32_e32 v4, v4, v6, vcc
	v_add_f64 v[6:7], -v[4:5], s[4:5]
	v_cmp_eq_f64_e32 vcc, s[6:7], v[20:21]
	v_cmp_eq_f64_e64 s[6:7], 0, v[20:21]
	v_cmp_gt_i32_e64 s[4:5], 0, v23
	v_cndmask_b32_e64 v0, v0, v2, s[4:5]
	v_and_b32_e32 v2, 0x400921fb, v9
	v_cndmask_b32_e64 v5, v5, v7, s[4:5]
	v_mov_b32_e32 v7, 0x7f3321d2
	v_and_b32_e32 v5, 0x7fffffff, v5
	v_cndmask_b32_e64 v7, v8, v7, s[4:5]
	v_and_b32_e32 v8, 0x54442d18, v9
	v_cndmask_b32_e64 v4, v4, v6, s[4:5]
	v_cndmask_b32_e64 v2, v5, v2, s[6:7]
	v_cndmask_b32_e64 v4, v4, v8, s[6:7]
	s_and_b64 vcc, vcc, s[18:19]
	v_cndmask_b32_e32 v4, v4, v7, vcc
	v_cndmask_b32_e32 v0, v2, v0, vcc
	v_cmp_o_f64_e32 vcc, v[22:23], v[22:23]
	v_cndmask_b32_e32 v7, v10, v0, vcc
	v_cndmask_b32_e32 v6, 0, v4, vcc
.LBB0_62:
	s_or_b64 exec, exec, s[16:17]
	s_brev_b32 s4, -2
	v_bfi_b32 v17, s4, v17, v3
	v_bfi_b32 v7, s4, v7, v1
	v_mov_b32_e32 v0, v6
	v_mov_b32_e32 v2, v16
	;; [unrolled: 1-line block ×4, first 2 shown]
.LBB0_63:
	s_or_b64 exec, exec, s[14:15]
.LBB0_64:
	s_or_b64 exec, exec, s[12:13]
                                        ; implicit-def: $vgpr4_vgpr5
                                        ; implicit-def: $vgpr8_vgpr9
                                        ; implicit-def: $vgpr6_vgpr7
.LBB0_65:
	s_andn2_saveexec_b64 s[12:13], s[8:9]
	s_cbranch_execz .LBB0_87
; %bb.66:
	v_cmp_lt_i64_e32 vcc, -1, v[2:3]
                                        ; implicit-def: $vgpr12_vgpr13
                                        ; implicit-def: $vgpr10_vgpr11
	s_and_saveexec_b64 s[4:5], vcc
	s_xor_b64 s[8:9], exec, s[4:5]
	s_cbranch_execz .LBB0_76
; %bb.67:
	v_cmp_lt_f64_e64 s[4:5], |v[2:3]|, |v[0:1]|
	v_and_b32_e32 v16, 0x7fffffff, v3
	v_and_b32_e32 v17, 0x7fffffff, v1
	s_mov_b32 s6, -1
	s_mov_b32 s7, 0x7fdfffff
                                        ; implicit-def: $sgpr14_sgpr15
                                        ; implicit-def: $vgpr10_vgpr11
                                        ; implicit-def: $vgpr12_vgpr13
	v_cndmask_b32_e64 v15, v16, v17, s[4:5]
	v_cndmask_b32_e64 v14, v2, v0, s[4:5]
	v_cmp_nlt_f64_e32 vcc, s[6:7], v[14:15]
	s_and_saveexec_b64 s[6:7], vcc
	s_xor_b64 s[16:17], exec, s[6:7]
	s_cbranch_execz .LBB0_73
; %bb.68:
	s_mov_b32 s6, 0
	s_mov_b32 s7, 0x20200000
	v_cmp_nlt_f64_e32 vcc, s[6:7], v[14:15]
	s_mov_b32 s6, 0
	v_cndmask_b32_e64 v17, v17, v16, s[4:5]
	v_cndmask_b32_e64 v16, v0, v2, s[4:5]
	s_brev_b32 s7, 4
	v_cmp_ngt_f64_e64 s[6:7], s[6:7], v[16:17]
                                        ; implicit-def: $sgpr14_sgpr15
                                        ; implicit-def: $vgpr10_vgpr11
                                        ; implicit-def: $vgpr12_vgpr13
	s_and_b64 s[6:7], vcc, s[6:7]
	s_and_saveexec_b64 s[18:19], s[6:7]
	s_xor_b64 s[18:19], exec, s[18:19]
	s_cbranch_execz .LBB0_70
; %bb.69:
	v_mul_f64 v[10:11], v[16:17], v[16:17]
	s_mov_b32 s15, 0x3fe55555
	s_mov_b32 s14, 0x55555555
	s_waitcnt lgkmcnt(0)
	v_min_f64 v[4:5], v[8:9], v[4:5]
	s_mov_b32 s22, 0xb5e68a13
	s_mov_b32 s23, 0x3eeba404
	v_fma_f64 v[10:11], v[14:15], v[14:15], v[10:11]
	v_frexp_mant_f64_e32 v[12:13], v[10:11]
	v_cmp_gt_f64_e64 s[6:7], s[14:15], v[12:13]
	s_mov_b32 s14, 0x55555780
	v_cndmask_b32_e64 v14, 0, 1, s[6:7]
	v_ldexp_f64 v[12:13], v[12:13], v14
	v_add_f64 v[14:15], v[12:13], 1.0
	v_add_f64 v[20:21], v[12:13], -1.0
	v_rcp_f64_e32 v[16:17], v[14:15]
	v_add_f64 v[22:23], v[14:15], -1.0
	v_add_f64 v[8:9], v[12:13], -v[22:23]
	v_fma_f64 v[18:19], -v[14:15], v[16:17], 1.0
	v_fma_f64 v[16:17], v[18:19], v[16:17], v[16:17]
	v_fma_f64 v[18:19], -v[14:15], v[16:17], 1.0
	v_fma_f64 v[16:17], v[18:19], v[16:17], v[16:17]
	v_mul_f64 v[18:19], v[20:21], v[16:17]
	v_mul_f64 v[24:25], v[14:15], v[18:19]
	v_fma_f64 v[12:13], v[18:19], v[14:15], -v[24:25]
	v_div_scale_f64 v[14:15], s[20:21], v[6:7], v[6:7], v[4:5]
	s_mov_b32 s20, 0xbf559e2b
	s_mov_b32 s21, 0x3fc3ab76
	v_fma_f64 v[8:9], v[18:19], v[8:9], v[12:13]
	v_add_f64 v[12:13], v[24:25], v[8:9]
	v_rcp_f64_e32 v[22:23], v[14:15]
	v_add_f64 v[26:27], v[20:21], -v[12:13]
	v_add_f64 v[24:25], v[12:13], -v[24:25]
	;; [unrolled: 1-line block ×3, first 2 shown]
	v_fma_f64 v[28:29], -v[14:15], v[22:23], 1.0
	v_add_f64 v[8:9], v[24:25], -v[8:9]
	v_mov_b32_e32 v24, 0x6b47b09a
	v_mov_b32_e32 v25, 0x3fc38538
	v_add_f64 v[12:13], v[20:21], -v[12:13]
	v_fma_f64 v[20:21], v[22:23], v[28:29], v[22:23]
	v_add_f64 v[8:9], v[8:9], v[12:13]
	v_div_scale_f64 v[12:13], vcc, v[4:5], v[6:7], v[4:5]
	v_fma_f64 v[22:23], -v[14:15], v[20:21], 1.0
	v_add_f64 v[8:9], v[26:27], v[8:9]
	v_fma_f64 v[20:21], v[20:21], v[22:23], v[20:21]
	v_mul_f64 v[8:9], v[16:17], v[8:9]
	v_mul_f64 v[16:17], v[12:13], v[20:21]
	v_add_f64 v[22:23], v[18:19], v[8:9]
	v_fma_f64 v[12:13], -v[14:15], v[16:17], v[12:13]
	v_mul_f64 v[14:15], v[22:23], v[22:23]
	v_add_f64 v[18:19], v[22:23], -v[18:19]
	v_div_fmas_f64 v[12:13], v[12:13], v[20:21], v[16:17]
	v_fma_f64 v[16:17], v[14:15], s[20:21], v[24:25]
	s_mov_b32 s20, 0xd7f4df2e
	s_mov_b32 s21, 0x3fc7474d
	v_mul_f64 v[20:21], v[22:23], v[14:15]
	v_frexp_exp_i32_f64_e32 v24, v[10:11]
	v_add_f64 v[8:9], v[8:9], -v[18:19]
	v_fma_f64 v[16:17], v[14:15], v[16:17], s[20:21]
	s_mov_b32 s20, 0x16291751
	s_mov_b32 s21, 0x3fcc71c0
	v_div_fixup_f64 v[4:5], v[12:13], v[6:7], v[4:5]
	v_ldexp_f64 v[8:9], v[8:9], 1
	v_fma_f64 v[6:7], v[14:15], v[16:17], s[20:21]
	s_mov_b32 s20, 0x9b27acf1
	s_mov_b32 s21, 0x3fd24924
	v_mul_f64 v[12:13], v[4:5], v[4:5]
	v_mov_b32_e32 v16, 0xbd3237f4
	v_mov_b32_e32 v17, 0xbf23e260
	v_fma_f64 v[6:7], v[14:15], v[6:7], s[20:21]
	s_mov_b32 s20, 0x998ef7b6
	s_mov_b32 s21, 0x3fd99999
	v_fma_f64 v[16:17], v[12:13], s[22:23], v[16:17]
	v_fma_f64 v[6:7], v[14:15], v[6:7], s[20:21]
	s_mov_b32 s20, 0x69efb384
	s_mov_b32 s21, 0x3f4b2bb0
	v_fma_f64 v[16:17], v[12:13], v[16:17], s[20:21]
	s_mov_b32 s20, 0xa595c56f
	s_mov_b32 s21, 0x3f7d6d43
	;; [unrolled: 3-line block ×3, first 2 shown]
	v_fma_f64 v[14:15], v[12:13], v[16:17], s[14:15]
	v_ldexp_f64 v[16:17], v[22:23], 1
	v_subbrev_co_u32_e64 v22, vcc, 0, v24, s[6:7]
	v_cvt_f64_i32_e32 v[22:23], v22
	v_mul_f64 v[6:7], v[20:21], v[6:7]
	s_mov_b32 s14, 0xfefa39ef
	s_mov_b32 s6, 0xa57d9582
	v_fma_f64 v[14:15], v[12:13], v[14:15], s[20:21]
	s_mov_b32 s15, 0x3fe62e42
	s_mov_b32 s7, 0xbf8c6ea4
	v_mul_f64 v[24:25], v[22:23], s[14:15]
	v_add_f64 v[20:21], v[16:17], v[6:7]
	v_fma_f64 v[14:15], v[12:13], v[14:15], s[6:7]
	s_mov_b32 s6, 0x5f08b19f
	s_mov_b32 s7, 0x3f967e29
	v_fma_f64 v[18:19], v[22:23], s[14:15], -v[24:25]
	s_mov_b32 s14, 0xfc27006a
	v_add_f64 v[16:17], v[20:21], -v[16:17]
	s_mov_b32 s15, 0xbf9e9ae6
	v_fma_f64 v[14:15], v[12:13], v[14:15], s[6:7]
	s_mov_b32 s6, 0x3b39803f
	s_mov_b32 s7, 0x3c7abc9e
	v_add_f64 v[6:7], v[6:7], -v[16:17]
	v_fma_f64 v[16:17], v[22:23], s[6:7], v[18:19]
	s_mov_b32 s6, 0x5711927a
	v_fma_f64 v[14:15], v[12:13], v[14:15], s[14:15]
	s_mov_b32 s7, 0x3fa2c15b
	s_movk_i32 s14, 0x204
	v_cmp_class_f64_e64 vcc, v[10:11], s14
	v_add_f64 v[6:7], v[8:9], v[6:7]
	v_fma_f64 v[8:9], v[12:13], v[14:15], s[6:7]
	v_add_f64 v[14:15], v[24:25], v[16:17]
	s_mov_b32 s6, 0xe82d3ff0
	s_mov_b32 s7, 0xbfa59976
	v_add_f64 v[18:19], v[20:21], v[6:7]
	v_fma_f64 v[8:9], v[12:13], v[8:9], s[6:7]
	s_mov_b32 s6, 0x6ef28734
	s_mov_b32 s7, 0x3fa82d5d
	v_add_f64 v[24:25], v[14:15], -v[24:25]
	v_add_f64 v[22:23], v[14:15], v[18:19]
	v_add_f64 v[20:21], v[18:19], -v[20:21]
	v_fma_f64 v[8:9], v[12:13], v[8:9], s[6:7]
	s_mov_b32 s6, 0x6a214619
	s_mov_b32 s7, 0xbfaae5ce
	v_add_f64 v[16:17], v[16:17], -v[24:25]
	v_add_f64 v[26:27], v[22:23], -v[14:15]
	;; [unrolled: 1-line block ×3, first 2 shown]
	v_fma_f64 v[8:9], v[12:13], v[8:9], s[6:7]
	s_mov_b32 s6, 0x8427b883
	s_mov_b32 s7, 0x3fae1bb4
	v_add_f64 v[28:29], v[22:23], -v[26:27]
	v_add_f64 v[18:19], v[18:19], -v[26:27]
	v_add_f64 v[20:21], v[16:17], v[6:7]
	v_fma_f64 v[8:9], v[12:13], v[8:9], s[6:7]
	s_mov_b32 s6, 0x8b207f05
	s_mov_b32 s7, 0xbfb110e4
	v_add_f64 v[14:15], v[14:15], -v[28:29]
	v_fma_f64 v[8:9], v[12:13], v[8:9], s[6:7]
	s_mov_b32 s6, 0x57b87036
	s_mov_b32 s7, 0x3fb3b136
	v_add_f64 v[14:15], v[18:19], v[14:15]
	v_add_f64 v[18:19], v[20:21], -v[16:17]
	v_fma_f64 v[8:9], v[12:13], v[8:9], s[6:7]
	s_mov_b32 s6, 0x19378e4f
	s_mov_b32 s7, 0xbfb745d1
	v_add_f64 v[14:15], v[20:21], v[14:15]
	v_add_f64 v[20:21], v[20:21], -v[18:19]
	v_add_f64 v[6:7], v[6:7], -v[18:19]
	v_fma_f64 v[8:9], v[12:13], v[8:9], s[6:7]
	s_mov_b32 s6, 0x17e1913c
	s_mov_b32 s7, 0x3fbc71c7
	v_add_f64 v[24:25], v[22:23], v[14:15]
	v_add_f64 v[16:17], v[16:17], -v[20:21]
	v_fma_f64 v[8:9], v[12:13], v[8:9], s[6:7]
	s_mov_b32 s6, 0x92376b7d
	s_mov_b32 s7, 0xbfc24924
	v_add_f64 v[18:19], v[24:25], -v[22:23]
	v_add_f64 v[6:7], v[6:7], v[16:17]
	v_fma_f64 v[8:9], v[12:13], v[8:9], s[6:7]
	s_mov_b32 s6, 0x999952cc
	s_mov_b32 s7, 0x3fc99999
	v_add_f64 v[14:15], v[14:15], -v[18:19]
	v_fma_f64 v[8:9], v[12:13], v[8:9], s[6:7]
	s_mov_b32 s6, 0x55555523
	s_mov_b32 s7, 0xbfd55555
	v_add_f64 v[6:7], v[6:7], v[14:15]
	v_mov_b32_e32 v14, 0xfff00000
	v_fma_f64 v[8:9], v[12:13], v[8:9], s[6:7]
	v_cmp_class_f64_e64 s[6:7], v[0:1], s14
	v_cmp_class_f64_e64 s[14:15], v[2:3], s14
	v_add_f64 v[6:7], v[24:25], v[6:7]
	v_mul_f64 v[8:9], v[12:13], v[8:9]
	s_and_b64 s[14:15], s[6:7], s[14:15]
	v_cndmask_b32_e32 v7, v7, v11, vcc
	v_cndmask_b32_e32 v6, v6, v10, vcc
	v_mul_f64 v[6:7], v[6:7], 0.5
	v_cmp_neq_f64_e32 vcc, 0, v[10:11]
	v_fma_f64 v[12:13], v[4:5], v[8:9], v[4:5]
                                        ; implicit-def: $vgpr8_vgpr9
                                        ; implicit-def: $vgpr4_vgpr5
	v_cndmask_b32_e32 v11, v14, v7, vcc
	v_cndmask_b32_e32 v10, 0, v6, vcc
                                        ; implicit-def: $vgpr6_vgpr7
.LBB0_70:
	s_andn2_saveexec_b64 s[18:19], s[18:19]
	s_cbranch_execz .LBB0_72
; %bb.71:
	v_frexp_exp_i32_f64_e32 v18, v[6:7]
	s_movk_i32 s26, 0x204
	v_cmp_class_f64_e64 s[20:21], v[2:3], s26
	v_cmp_class_f64_e64 s[22:23], v[0:1], s26
	s_mov_b32 s25, 0x3fe55555
	s_mov_b32 s24, 0x55555555
	s_waitcnt lgkmcnt(0)
	v_min_f64 v[4:5], v[8:9], v[4:5]
	s_mov_b32 s40, 0xb5e68a13
	v_sub_u32_e32 v12, 0, v18
	v_ldexp_f64 v[10:11], |v[0:1]|, v12
	v_ldexp_f64 v[12:13], |v[2:3]|, v12
	s_mov_b32 s41, 0x3eeba404
	v_div_scale_f64 v[24:25], s[28:29], v[6:7], v[6:7], v[4:5]
	s_mov_b32 s28, 0xbf559e2b
	v_mul_f64 v[10:11], v[10:11], v[10:11]
	s_mov_b32 s29, 0x3fc3ab76
	v_fma_f64 v[10:11], v[12:13], v[12:13], v[10:11]
	v_rsq_f64_e32 v[12:13], v[10:11]
	v_cmp_eq_f64_e32 vcc, 0, v[10:11]
	v_mul_f64 v[14:15], v[10:11], v[12:13]
	v_mul_f64 v[12:13], v[12:13], 0.5
	v_fma_f64 v[16:17], -v[12:13], v[14:15], 0.5
	v_fma_f64 v[14:15], v[14:15], v[16:17], v[14:15]
	v_fma_f64 v[12:13], v[12:13], v[16:17], v[12:13]
	v_fma_f64 v[16:17], -v[14:15], v[14:15], v[10:11]
	v_fma_f64 v[12:13], v[16:17], v[12:13], v[14:15]
	v_cndmask_b32_e32 v11, v13, v11, vcc
	v_cndmask_b32_e32 v10, v12, v10, vcc
	v_ldexp_f64 v[10:11], v[10:11], v18
	v_mov_b32_e32 v12, 0x7ff00000
	s_or_b64 vcc, s[22:23], s[20:21]
	v_cndmask_b32_e32 v15, v11, v12, vcc
	v_cndmask_b32_e64 v14, v10, 0, vcc
	v_frexp_mant_f64_e32 v[10:11], v[14:15]
	v_cmp_gt_f64_e64 s[6:7], s[24:25], v[10:11]
	s_mov_b32 s24, 0x55555780
	v_cndmask_b32_e64 v12, 0, 1, s[6:7]
	v_ldexp_f64 v[10:11], v[10:11], v12
	v_add_f64 v[12:13], v[10:11], 1.0
	v_add_f64 v[20:21], v[10:11], -1.0
	v_rcp_f64_e32 v[16:17], v[12:13]
	v_add_f64 v[8:9], v[12:13], -1.0
	v_add_f64 v[8:9], v[10:11], -v[8:9]
	v_fma_f64 v[18:19], -v[12:13], v[16:17], 1.0
	v_fma_f64 v[16:17], v[18:19], v[16:17], v[16:17]
	v_fma_f64 v[18:19], -v[12:13], v[16:17], 1.0
	v_fma_f64 v[16:17], v[18:19], v[16:17], v[16:17]
	v_mul_f64 v[18:19], v[20:21], v[16:17]
	v_mul_f64 v[22:23], v[12:13], v[18:19]
	v_fma_f64 v[10:11], v[18:19], v[12:13], -v[22:23]
	v_fma_f64 v[8:9], v[18:19], v[8:9], v[10:11]
	v_rcp_f64_e32 v[10:11], v[24:25]
	v_add_f64 v[12:13], v[22:23], v[8:9]
	v_add_f64 v[26:27], v[20:21], -v[12:13]
	v_fma_f64 v[28:29], -v[24:25], v[10:11], 1.0
	v_add_f64 v[22:23], v[12:13], -v[22:23]
	v_add_f64 v[20:21], v[20:21], -v[26:27]
	v_fma_f64 v[10:11], v[10:11], v[28:29], v[10:11]
	v_add_f64 v[8:9], v[22:23], -v[8:9]
	v_add_f64 v[12:13], v[20:21], -v[12:13]
	v_div_scale_f64 v[20:21], vcc, v[4:5], v[6:7], v[4:5]
	v_fma_f64 v[22:23], -v[24:25], v[10:11], 1.0
	v_add_f64 v[8:9], v[8:9], v[12:13]
	v_fma_f64 v[10:11], v[10:11], v[22:23], v[10:11]
	v_add_f64 v[8:9], v[26:27], v[8:9]
	v_mul_f64 v[12:13], v[20:21], v[10:11]
	v_mul_f64 v[8:9], v[16:17], v[8:9]
	v_fma_f64 v[16:17], -v[24:25], v[12:13], v[20:21]
	v_add_f64 v[20:21], v[18:19], v[8:9]
	v_div_fmas_f64 v[10:11], v[16:17], v[10:11], v[12:13]
	v_mov_b32_e32 v16, 0x6b47b09a
	v_mov_b32_e32 v17, 0x3fc38538
	v_mul_f64 v[12:13], v[20:21], v[20:21]
	v_add_f64 v[18:19], v[20:21], -v[18:19]
	v_fma_f64 v[16:17], v[12:13], s[28:29], v[16:17]
	s_mov_b32 s28, 0xd7f4df2e
	s_mov_b32 s29, 0x3fc7474d
	v_div_fixup_f64 v[4:5], v[10:11], v[6:7], v[4:5]
	v_mul_f64 v[22:23], v[20:21], v[12:13]
	v_add_f64 v[8:9], v[8:9], -v[18:19]
	v_fma_f64 v[6:7], v[12:13], v[16:17], s[28:29]
	s_mov_b32 s28, 0x16291751
	s_mov_b32 s29, 0x3fcc71c0
	v_mul_f64 v[10:11], v[4:5], v[4:5]
	v_mov_b32_e32 v16, 0xbd3237f4
	v_mov_b32_e32 v17, 0xbf23e260
	v_ldexp_f64 v[8:9], v[8:9], 1
	v_fma_f64 v[6:7], v[12:13], v[6:7], s[28:29]
	s_mov_b32 s28, 0x9b27acf1
	s_mov_b32 s29, 0x3fd24924
	v_fma_f64 v[16:17], v[10:11], s[40:41], v[16:17]
	s_mov_b32 s40, 0x69efb384
	s_mov_b32 s41, 0x3f4b2bb0
	;; [unrolled: 3-line block ×3, first 2 shown]
	v_fma_f64 v[16:17], v[10:11], v[16:17], s[40:41]
	v_fma_f64 v[6:7], v[12:13], v[6:7], s[28:29]
	s_mov_b32 s28, 0xaf56de9b
	s_mov_b32 s29, 0xbf67952d
	v_fma_f64 v[16:17], v[10:11], v[16:17], s[28:29]
	s_mov_b32 s28, 0xa57d9582
	s_mov_b32 s29, 0xbf8c6ea4
	v_fma_f64 v[6:7], v[12:13], v[6:7], s[24:25]
	s_mov_b32 s24, 0xa595c56f
	s_mov_b32 s25, 0x3f7d6d43
	v_fma_f64 v[12:13], v[10:11], v[16:17], s[24:25]
	v_ldexp_f64 v[16:17], v[20:21], 1
	s_mov_b32 s24, 0xfefa39ef
	s_mov_b32 s25, 0x3fe62e42
	v_mul_f64 v[6:7], v[22:23], v[6:7]
	v_frexp_exp_i32_f64_e32 v22, v[14:15]
	v_fma_f64 v[12:13], v[10:11], v[12:13], s[28:29]
	v_add_f64 v[20:21], v[16:17], v[6:7]
	v_subbrev_co_u32_e64 v22, vcc, 0, v22, s[6:7]
	v_cvt_f64_i32_e32 v[22:23], v22
	s_mov_b32 s6, 0x5f08b19f
	s_mov_b32 s7, 0x3f967e29
	v_fma_f64 v[12:13], v[10:11], v[12:13], s[6:7]
	v_mul_f64 v[24:25], v[22:23], s[24:25]
	v_add_f64 v[16:17], v[20:21], -v[16:17]
	s_mov_b32 s6, 0xfc27006a
	s_mov_b32 s7, 0xbf9e9ae6
	v_cmp_class_f64_e64 vcc, v[14:15], s26
	v_fma_f64 v[12:13], v[10:11], v[12:13], s[6:7]
	v_fma_f64 v[18:19], v[22:23], s[24:25], -v[24:25]
	v_add_f64 v[6:7], v[6:7], -v[16:17]
	s_mov_b32 s6, 0x3b39803f
	s_mov_b32 s24, 0x5711927a
	;; [unrolled: 1-line block ×4, first 2 shown]
	v_fma_f64 v[12:13], v[10:11], v[12:13], s[24:25]
	v_fma_f64 v[16:17], v[22:23], s[6:7], v[18:19]
	v_add_f64 v[6:7], v[8:9], v[6:7]
	s_mov_b32 s6, 0xe82d3ff0
	s_mov_b32 s7, 0xbfa59976
	v_fma_f64 v[8:9], v[10:11], v[12:13], s[6:7]
	v_add_f64 v[12:13], v[24:25], v[16:17]
	v_add_f64 v[18:19], v[20:21], v[6:7]
	s_mov_b32 s6, 0x6ef28734
	s_mov_b32 s7, 0x3fa82d5d
	v_fma_f64 v[8:9], v[10:11], v[8:9], s[6:7]
	s_mov_b32 s6, 0x6a214619
	v_add_f64 v[22:23], v[12:13], v[18:19]
	s_mov_b32 s7, 0xbfaae5ce
	v_add_f64 v[24:25], v[12:13], -v[24:25]
	v_add_f64 v[20:21], v[18:19], -v[20:21]
	v_fma_f64 v[8:9], v[10:11], v[8:9], s[6:7]
	s_mov_b32 s6, 0x8427b883
	v_add_f64 v[26:27], v[22:23], -v[12:13]
	s_mov_b32 s7, 0x3fae1bb4
	v_add_f64 v[16:17], v[16:17], -v[24:25]
	v_add_f64 v[6:7], v[6:7], -v[20:21]
	v_fma_f64 v[8:9], v[10:11], v[8:9], s[6:7]
	s_mov_b32 s6, 0x8b207f05
	v_add_f64 v[28:29], v[22:23], -v[26:27]
	s_mov_b32 s7, 0xbfb110e4
	v_add_f64 v[18:19], v[18:19], -v[26:27]
	v_add_f64 v[20:21], v[16:17], v[6:7]
	v_fma_f64 v[8:9], v[10:11], v[8:9], s[6:7]
	s_mov_b32 s6, 0x57b87036
	v_add_f64 v[12:13], v[12:13], -v[28:29]
	s_mov_b32 s7, 0x3fb3b136
	v_fma_f64 v[8:9], v[10:11], v[8:9], s[6:7]
	s_mov_b32 s6, 0x19378e4f
	v_add_f64 v[12:13], v[18:19], v[12:13]
	s_mov_b32 s7, 0xbfb745d1
	v_add_f64 v[18:19], v[20:21], -v[16:17]
	v_fma_f64 v[8:9], v[10:11], v[8:9], s[6:7]
	s_mov_b32 s6, 0x17e1913c
	v_add_f64 v[12:13], v[20:21], v[12:13]
	s_mov_b32 s7, 0x3fbc71c7
	v_add_f64 v[20:21], v[20:21], -v[18:19]
	v_add_f64 v[6:7], v[6:7], -v[18:19]
	v_fma_f64 v[8:9], v[10:11], v[8:9], s[6:7]
	s_mov_b32 s6, 0x92376b7d
	v_add_f64 v[24:25], v[22:23], v[12:13]
	s_mov_b32 s7, 0xbfc24924
	v_add_f64 v[16:17], v[16:17], -v[20:21]
	v_fma_f64 v[8:9], v[10:11], v[8:9], s[6:7]
	s_mov_b32 s6, 0x999952cc
	v_add_f64 v[18:19], v[24:25], -v[22:23]
	s_mov_b32 s7, 0x3fc99999
	v_add_f64 v[6:7], v[6:7], v[16:17]
	v_fma_f64 v[8:9], v[10:11], v[8:9], s[6:7]
	s_mov_b32 s6, 0x55555523
	v_add_f64 v[12:13], v[12:13], -v[18:19]
	s_mov_b32 s7, 0xbfd55555
	v_fma_f64 v[8:9], v[10:11], v[8:9], s[6:7]
	s_andn2_b64 s[6:7], s[14:15], exec
	v_add_f64 v[6:7], v[6:7], v[12:13]
	s_and_b64 s[14:15], s[22:23], s[20:21]
	s_and_b64 s[14:15], s[14:15], exec
	s_or_b64 s[14:15], s[6:7], s[14:15]
	v_mul_f64 v[8:9], v[10:11], v[8:9]
	v_mov_b32_e32 v10, 0x7ff80000
	v_add_f64 v[6:7], v[24:25], v[6:7]
	v_mov_b32_e32 v11, 0xfff00000
	v_fma_f64 v[12:13], v[4:5], v[8:9], v[4:5]
	v_cndmask_b32_e32 v4, v6, v14, vcc
	v_cndmask_b32_e32 v5, v7, v15, vcc
	v_cmp_ngt_f64_e32 vcc, 0, v[14:15]
	v_cndmask_b32_e32 v5, v10, v5, vcc
	v_cmp_nge_f64_e32 vcc, 0, v[14:15]
	v_cndmask_b32_e32 v10, 0, v4, vcc
	v_cmp_neq_f64_e32 vcc, 0, v[14:15]
	v_cndmask_b32_e32 v11, v11, v5, vcc
.LBB0_72:
	s_or_b64 exec, exec, s[18:19]
                                        ; implicit-def: $vgpr8_vgpr9
                                        ; implicit-def: $vgpr4_vgpr5
                                        ; implicit-def: $vgpr6_vgpr7
.LBB0_73:
	s_andn2_saveexec_b64 s[16:17], s[16:17]
	s_cbranch_execz .LBB0_75
; %bb.74:
	s_mov_b32 s18, 0x8b145769
	s_mov_b32 s19, 0x4005bf0a
	v_div_scale_f64 v[10:11], s[6:7], s[18:19], s[18:19], v[2:3]
	v_div_scale_f64 v[12:13], s[6:7], s[18:19], s[18:19], v[0:1]
	;; [unrolled: 1-line block ×3, first 2 shown]
	s_movk_i32 s20, 0x204
	s_waitcnt lgkmcnt(0)
	v_min_f64 v[4:5], v[8:9], v[4:5]
	s_andn2_b64 s[14:15], s[14:15], exec
	v_rcp_f64_e32 v[14:15], v[10:11]
	v_rcp_f64_e32 v[16:17], v[12:13]
	v_fma_f64 v[18:19], -v[10:11], v[14:15], 1.0
	v_fma_f64 v[20:21], -v[12:13], v[16:17], 1.0
	v_fma_f64 v[14:15], v[14:15], v[18:19], v[14:15]
	v_div_scale_f64 v[18:19], vcc, v[2:3], s[18:19], v[2:3]
	v_fma_f64 v[16:17], v[16:17], v[20:21], v[16:17]
	v_fma_f64 v[20:21], -v[10:11], v[14:15], 1.0
	v_fma_f64 v[24:25], -v[12:13], v[16:17], 1.0
	v_fma_f64 v[14:15], v[14:15], v[20:21], v[14:15]
	v_fma_f64 v[16:17], v[16:17], v[24:25], v[16:17]
	v_mul_f64 v[20:21], v[18:19], v[14:15]
	v_mul_f64 v[24:25], v[22:23], v[16:17]
	v_fma_f64 v[10:11], -v[10:11], v[20:21], v[18:19]
	v_fma_f64 v[12:13], -v[12:13], v[24:25], v[22:23]
	v_div_fmas_f64 v[10:11], v[10:11], v[14:15], v[20:21]
	s_mov_b64 vcc, s[6:7]
	s_mov_b32 s6, 0
	v_div_fmas_f64 v[12:13], v[12:13], v[16:17], v[24:25]
	s_mov_b32 s7, 0x7ff00000
	v_div_fixup_f64 v[10:11], v[10:11], s[18:19], v[2:3]
	v_div_fixup_f64 v[12:13], v[12:13], s[18:19], v[0:1]
	v_cmp_eq_f64_e64 s[6:7], s[6:7], v[10:11]
	v_max_f64 v[14:15], v[10:11], |v[12:13]|
	v_cmp_class_f64_e64 s[18:19], v[12:13], s20
	v_frexp_exp_i32_f64_e32 v22, v[14:15]
	v_sub_u32_e32 v16, 0, v22
	v_ldexp_f64 v[14:15], |v[12:13]|, v16
	v_ldexp_f64 v[16:17], v[10:11], v16
	v_mov_b32_e32 v12, 0x7ff00000
	v_mul_f64 v[14:15], v[14:15], v[14:15]
	v_fma_f64 v[14:15], v[16:17], v[16:17], v[14:15]
	v_rsq_f64_e32 v[16:17], v[14:15]
	v_cmp_eq_f64_e32 vcc, 0, v[14:15]
	v_mul_f64 v[18:19], v[14:15], v[16:17]
	v_mul_f64 v[16:17], v[16:17], 0.5
	v_fma_f64 v[20:21], -v[16:17], v[18:19], 0.5
	v_fma_f64 v[18:19], v[18:19], v[20:21], v[18:19]
	v_fma_f64 v[16:17], v[16:17], v[20:21], v[16:17]
	v_fma_f64 v[20:21], -v[18:19], v[18:19], v[14:15]
	v_fma_f64 v[16:17], v[20:21], v[16:17], v[18:19]
	v_cndmask_b32_e32 v11, v17, v15, vcc
	v_cndmask_b32_e32 v10, v16, v14, vcc
	v_ldexp_f64 v[10:11], v[10:11], v22
	s_or_b64 vcc, s[6:7], s[18:19]
	s_mov_b32 s19, 0x3fe55555
	s_mov_b32 s18, 0x55555555
	v_cndmask_b32_e32 v15, v11, v12, vcc
	v_cndmask_b32_e64 v14, v10, 0, vcc
	v_frexp_mant_f64_e32 v[10:11], v[14:15]
	v_cmp_gt_f64_e64 s[6:7], s[18:19], v[10:11]
	s_mov_b32 s18, 0x55555780
	v_cndmask_b32_e64 v12, 0, 1, s[6:7]
	v_ldexp_f64 v[10:11], v[10:11], v12
	v_add_f64 v[12:13], v[10:11], 1.0
	v_add_f64 v[20:21], v[10:11], -1.0
	v_rcp_f64_e32 v[16:17], v[12:13]
	v_add_f64 v[22:23], v[12:13], -1.0
	v_add_f64 v[8:9], v[10:11], -v[22:23]
	v_fma_f64 v[18:19], -v[12:13], v[16:17], 1.0
	v_fma_f64 v[16:17], v[18:19], v[16:17], v[16:17]
	v_fma_f64 v[18:19], -v[12:13], v[16:17], 1.0
	v_fma_f64 v[16:17], v[18:19], v[16:17], v[16:17]
	v_mul_f64 v[18:19], v[20:21], v[16:17]
	v_mul_f64 v[24:25], v[12:13], v[18:19]
	v_fma_f64 v[10:11], v[18:19], v[12:13], -v[24:25]
	v_div_scale_f64 v[12:13], s[22:23], v[6:7], v[6:7], v[4:5]
	s_mov_b32 s22, 0xbf559e2b
	s_mov_b32 s23, 0x3fc3ab76
	v_fma_f64 v[8:9], v[18:19], v[8:9], v[10:11]
	v_add_f64 v[10:11], v[24:25], v[8:9]
	v_rcp_f64_e32 v[22:23], v[12:13]
	v_add_f64 v[26:27], v[20:21], -v[10:11]
	v_add_f64 v[24:25], v[10:11], -v[24:25]
	v_add_f64 v[20:21], v[20:21], -v[26:27]
	v_fma_f64 v[28:29], -v[12:13], v[22:23], 1.0
	v_add_f64 v[8:9], v[24:25], -v[8:9]
	v_mov_b32_e32 v24, 0x6b47b09a
	v_mov_b32_e32 v25, 0x3fc38538
	v_add_f64 v[10:11], v[20:21], -v[10:11]
	v_fma_f64 v[20:21], v[22:23], v[28:29], v[22:23]
	v_add_f64 v[8:9], v[8:9], v[10:11]
	v_div_scale_f64 v[10:11], vcc, v[4:5], v[6:7], v[4:5]
	v_fma_f64 v[22:23], -v[12:13], v[20:21], 1.0
	v_add_f64 v[8:9], v[26:27], v[8:9]
	v_fma_f64 v[20:21], v[20:21], v[22:23], v[20:21]
	v_mul_f64 v[8:9], v[16:17], v[8:9]
	v_mul_f64 v[16:17], v[10:11], v[20:21]
	v_add_f64 v[22:23], v[18:19], v[8:9]
	v_fma_f64 v[10:11], -v[12:13], v[16:17], v[10:11]
	v_mul_f64 v[12:13], v[22:23], v[22:23]
	v_add_f64 v[18:19], v[22:23], -v[18:19]
	v_div_fmas_f64 v[10:11], v[10:11], v[20:21], v[16:17]
	v_fma_f64 v[16:17], v[12:13], s[22:23], v[24:25]
	s_mov_b32 s22, 0xd7f4df2e
	s_mov_b32 s23, 0x3fc7474d
	v_mul_f64 v[20:21], v[22:23], v[12:13]
	v_frexp_exp_i32_f64_e32 v24, v[14:15]
	v_add_f64 v[8:9], v[8:9], -v[18:19]
	v_fma_f64 v[16:17], v[12:13], v[16:17], s[22:23]
	s_mov_b32 s22, 0x16291751
	s_mov_b32 s23, 0x3fcc71c0
	v_div_fixup_f64 v[4:5], v[10:11], v[6:7], v[4:5]
	v_ldexp_f64 v[8:9], v[8:9], 1
	v_fma_f64 v[6:7], v[12:13], v[16:17], s[22:23]
	s_mov_b32 s22, 0x9b27acf1
	s_mov_b32 s23, 0x3fd24924
	v_mul_f64 v[10:11], v[4:5], v[4:5]
	v_mov_b32_e32 v16, 0xbd3237f4
	v_mov_b32_e32 v17, 0xbf23e260
	v_fma_f64 v[6:7], v[12:13], v[6:7], s[22:23]
	s_mov_b32 s22, 0xb5e68a13
	s_mov_b32 s23, 0x3eeba404
	v_fma_f64 v[16:17], v[10:11], s[22:23], v[16:17]
	s_mov_b32 s22, 0x998ef7b6
	s_mov_b32 s23, 0x3fd99999
	v_fma_f64 v[6:7], v[12:13], v[6:7], s[22:23]
	s_mov_b32 s22, 0x69efb384
	s_mov_b32 s23, 0x3f4b2bb0
	v_fma_f64 v[16:17], v[10:11], v[16:17], s[22:23]
	s_mov_b32 s22, 0xa595c56f
	s_mov_b32 s23, 0x3f7d6d43
	v_fma_f64 v[6:7], v[12:13], v[6:7], s[18:19]
	s_mov_b32 s18, 0xaf56de9b
	s_mov_b32 s19, 0xbf67952d
	v_fma_f64 v[12:13], v[10:11], v[16:17], s[18:19]
	v_ldexp_f64 v[16:17], v[22:23], 1
	v_subbrev_co_u32_e64 v22, vcc, 0, v24, s[6:7]
	v_cvt_f64_i32_e32 v[22:23], v22
	v_mul_f64 v[6:7], v[20:21], v[6:7]
	s_mov_b32 s18, 0xfefa39ef
	s_mov_b32 s19, 0x3fe62e42
	v_fma_f64 v[12:13], v[10:11], v[12:13], s[22:23]
	s_mov_b32 s22, 0xa57d9582
	s_mov_b32 s23, 0xbf8c6ea4
	v_mul_f64 v[24:25], v[22:23], s[18:19]
	s_mov_b32 s6, 0x5f08b19f
	v_add_f64 v[20:21], v[16:17], v[6:7]
	s_mov_b32 s7, 0x3f967e29
	v_cmp_class_f64_e64 vcc, v[14:15], s20
	v_fma_f64 v[12:13], v[10:11], v[12:13], s[22:23]
	v_fma_f64 v[18:19], v[22:23], s[18:19], -v[24:25]
	v_cmp_class_f64_e64 s[18:19], v[2:3], s20
	v_add_f64 v[16:17], v[20:21], -v[16:17]
	v_fma_f64 v[12:13], v[10:11], v[12:13], s[6:7]
	s_mov_b32 s6, 0xfc27006a
	s_mov_b32 s7, 0xbf9e9ae6
	v_add_f64 v[6:7], v[6:7], -v[16:17]
	v_fma_f64 v[12:13], v[10:11], v[12:13], s[6:7]
	s_mov_b32 s6, 0x3b39803f
	s_mov_b32 s7, 0x3c7abc9e
	v_fma_f64 v[16:17], v[22:23], s[6:7], v[18:19]
	s_mov_b32 s6, 0x5711927a
	v_add_f64 v[6:7], v[8:9], v[6:7]
	s_mov_b32 s7, 0x3fa2c15b
	v_fma_f64 v[8:9], v[10:11], v[12:13], s[6:7]
	s_mov_b32 s6, 0xe82d3ff0
	s_mov_b32 s7, 0xbfa59976
	v_add_f64 v[12:13], v[24:25], v[16:17]
	v_add_f64 v[18:19], v[20:21], v[6:7]
	v_fma_f64 v[8:9], v[10:11], v[8:9], s[6:7]
	s_mov_b32 s6, 0x6ef28734
	s_mov_b32 s7, 0x3fa82d5d
	v_add_f64 v[24:25], v[12:13], -v[24:25]
	v_add_f64 v[22:23], v[12:13], v[18:19]
	v_add_f64 v[20:21], v[18:19], -v[20:21]
	v_fma_f64 v[8:9], v[10:11], v[8:9], s[6:7]
	s_mov_b32 s6, 0x6a214619
	s_mov_b32 s7, 0xbfaae5ce
	v_add_f64 v[16:17], v[16:17], -v[24:25]
	v_add_f64 v[26:27], v[22:23], -v[12:13]
	;; [unrolled: 1-line block ×3, first 2 shown]
	v_fma_f64 v[8:9], v[10:11], v[8:9], s[6:7]
	s_mov_b32 s6, 0x8427b883
	s_mov_b32 s7, 0x3fae1bb4
	v_add_f64 v[28:29], v[22:23], -v[26:27]
	v_add_f64 v[18:19], v[18:19], -v[26:27]
	v_add_f64 v[20:21], v[16:17], v[6:7]
	v_fma_f64 v[8:9], v[10:11], v[8:9], s[6:7]
	s_mov_b32 s6, 0x8b207f05
	s_mov_b32 s7, 0xbfb110e4
	v_add_f64 v[12:13], v[12:13], -v[28:29]
	v_fma_f64 v[8:9], v[10:11], v[8:9], s[6:7]
	s_mov_b32 s6, 0x57b87036
	s_mov_b32 s7, 0x3fb3b136
	v_add_f64 v[12:13], v[18:19], v[12:13]
	v_add_f64 v[18:19], v[20:21], -v[16:17]
	v_fma_f64 v[8:9], v[10:11], v[8:9], s[6:7]
	s_mov_b32 s6, 0x19378e4f
	s_mov_b32 s7, 0xbfb745d1
	v_add_f64 v[12:13], v[20:21], v[12:13]
	v_add_f64 v[20:21], v[20:21], -v[18:19]
	v_add_f64 v[6:7], v[6:7], -v[18:19]
	v_fma_f64 v[8:9], v[10:11], v[8:9], s[6:7]
	s_mov_b32 s6, 0x17e1913c
	s_mov_b32 s7, 0x3fbc71c7
	v_add_f64 v[24:25], v[22:23], v[12:13]
	v_add_f64 v[16:17], v[16:17], -v[20:21]
	v_fma_f64 v[8:9], v[10:11], v[8:9], s[6:7]
	s_mov_b32 s6, 0x92376b7d
	s_mov_b32 s7, 0xbfc24924
	v_add_f64 v[18:19], v[24:25], -v[22:23]
	v_add_f64 v[6:7], v[6:7], v[16:17]
	v_fma_f64 v[8:9], v[10:11], v[8:9], s[6:7]
	s_mov_b32 s6, 0x999952cc
	s_mov_b32 s7, 0x3fc99999
	v_add_f64 v[12:13], v[12:13], -v[18:19]
	v_fma_f64 v[8:9], v[10:11], v[8:9], s[6:7]
	s_mov_b32 s6, 0x55555523
	s_mov_b32 s7, 0xbfd55555
	v_add_f64 v[6:7], v[6:7], v[12:13]
	v_fma_f64 v[8:9], v[10:11], v[8:9], s[6:7]
	v_cmp_class_f64_e64 s[6:7], v[0:1], s20
	v_add_f64 v[6:7], v[24:25], v[6:7]
	v_mul_f64 v[8:9], v[10:11], v[8:9]
	v_mov_b32_e32 v10, 0x7ff80000
	s_and_b64 s[6:7], s[6:7], s[18:19]
	v_mov_b32_e32 v11, 0xfff00000
	s_and_b64 s[6:7], s[6:7], exec
	v_cndmask_b32_e32 v7, v7, v15, vcc
	v_cndmask_b32_e32 v6, v6, v14, vcc
	v_add_f64 v[6:7], v[6:7], 1.0
	v_cmp_ngt_f64_e32 vcc, 0, v[14:15]
	v_fma_f64 v[12:13], v[4:5], v[8:9], v[4:5]
	s_or_b64 s[14:15], s[14:15], s[6:7]
	v_cndmask_b32_e32 v4, v10, v7, vcc
	v_cmp_nge_f64_e32 vcc, 0, v[14:15]
	v_cndmask_b32_e32 v10, 0, v6, vcc
	v_cmp_neq_f64_e32 vcc, 0, v[14:15]
	v_cndmask_b32_e32 v11, v11, v4, vcc
.LBB0_75:
	s_or_b64 exec, exec, s[16:17]
	s_mov_b32 s6, 0x54442d18
	s_mov_b32 s7, 0x3ff921fb
	s_waitcnt lgkmcnt(0)
	v_add_f64 v[4:5], -v[12:13], s[6:7]
	s_mov_b32 s7, 0x400921fb
	v_mov_b32_e32 v8, 0x3fe921fb
	v_mov_b32_e32 v9, 0x4002d97c
	v_cmp_gt_i32_e32 vcc, 0, v3
	v_cndmask_b32_e32 v8, v8, v9, vcc
	v_cndmask_b32_e64 v5, v13, v5, s[4:5]
	v_cndmask_b32_e64 v4, v12, v4, s[4:5]
	v_add_f64 v[6:7], -v[4:5], s[6:7]
	v_cmp_eq_f64_e64 s[4:5], 0, v[0:1]
	v_ashrrev_i32_e32 v13, 31, v3
	v_mov_b32_e32 v12, 0x54442d18
	v_and_b32_e32 v9, 0x400921fb, v13
	s_brev_b32 s6, -2
	v_cndmask_b32_e32 v5, v5, v7, vcc
	v_mov_b32_e32 v7, 0x7f3321d2
	v_cndmask_b32_e32 v7, v12, v7, vcc
	v_and_b32_e32 v12, 0x54442d18, v13
	v_cndmask_b32_e32 v4, v4, v6, vcc
	v_cndmask_b32_e64 v5, v5, v9, s[4:5]
	v_cndmask_b32_e64 v5, v5, v8, s[14:15]
	;; [unrolled: 1-line block ×4, first 2 shown]
	v_bfi_b32 v13, s6, v5, v1
                                        ; implicit-def: $vgpr4_vgpr5
.LBB0_76:
	s_andn2_saveexec_b64 s[14:15], s[8:9]
	s_cbranch_execz .LBB0_86
; %bb.77:
	v_cmp_gt_f64_e64 s[4:5], |v[0:1]|, -v[2:3]
	v_and_b32_e32 v12, 0x7fffffff, v1
	v_xor_b32_e32 v14, 0x80000000, v3
	s_mov_b32 s6, -1
	s_mov_b32 s7, 0x7fdfffff
	v_mov_b32_e32 v15, v2
                                        ; implicit-def: $sgpr16_sgpr17
                                        ; implicit-def: $vgpr10_vgpr11
                                        ; implicit-def: $vgpr6_vgpr7
	v_cndmask_b32_e64 v9, v14, v12, s[4:5]
	v_cndmask_b32_e64 v8, v2, v0, s[4:5]
	v_cmp_nlt_f64_e32 vcc, s[6:7], v[8:9]
	s_and_saveexec_b64 s[6:7], vcc
	s_xor_b64 s[18:19], exec, s[6:7]
	s_cbranch_execz .LBB0_83
; %bb.78:
	s_mov_b32 s6, 0
	s_mov_b32 s7, 0x20200000
	v_cmp_nlt_f64_e32 vcc, s[6:7], v[8:9]
	s_mov_b32 s6, 0
	v_cndmask_b32_e64 v13, v12, v14, s[4:5]
	v_cndmask_b32_e64 v12, v0, v15, s[4:5]
	s_brev_b32 s7, 4
	v_cmp_ngt_f64_e64 s[6:7], s[6:7], v[12:13]
                                        ; implicit-def: $sgpr16_sgpr17
                                        ; implicit-def: $vgpr10_vgpr11
                                        ; implicit-def: $vgpr6_vgpr7
	s_and_b64 s[6:7], vcc, s[6:7]
	s_and_saveexec_b64 s[8:9], s[6:7]
	s_xor_b64 s[8:9], exec, s[8:9]
	s_cbranch_execz .LBB0_80
; %bb.79:
	v_mul_f64 v[6:7], v[12:13], v[12:13]
	s_mov_b32 s17, 0x3fe55555
	s_mov_b32 s16, 0x55555555
	v_max_f64 v[19:20], -v[2:3], -v[2:3]
	v_fma_f64 v[6:7], v[8:9], v[8:9], v[6:7]
	s_waitcnt lgkmcnt(0)
	v_max_f64 v[25:26], v[19:20], v[4:5]
	v_min_f64 v[4:5], v[19:20], v[4:5]
	v_frexp_mant_f64_e32 v[8:9], v[6:7]
	v_div_scale_f64 v[19:20], s[20:21], v[25:26], v[25:26], v[4:5]
	s_mov_b32 s20, 0xbf559e2b
	s_mov_b32 s21, 0x3fc3ab76
	v_cmp_gt_f64_e64 s[6:7], s[16:17], v[8:9]
	s_mov_b32 s16, 0x55555780
	v_cndmask_b32_e64 v10, 0, 1, s[6:7]
	v_ldexp_f64 v[8:9], v[8:9], v10
	v_add_f64 v[10:11], v[8:9], 1.0
	v_add_f64 v[17:18], v[8:9], -1.0
	v_rcp_f64_e32 v[12:13], v[10:11]
	v_add_f64 v[21:22], v[10:11], -1.0
	v_add_f64 v[8:9], v[8:9], -v[21:22]
	v_rcp_f64_e32 v[21:22], v[19:20]
	v_fma_f64 v[15:16], -v[10:11], v[12:13], 1.0
	v_fma_f64 v[12:13], v[15:16], v[12:13], v[12:13]
	v_fma_f64 v[29:30], -v[19:20], v[21:22], 1.0
	v_fma_f64 v[15:16], -v[10:11], v[12:13], 1.0
	v_fma_f64 v[12:13], v[15:16], v[12:13], v[12:13]
	v_mul_f64 v[15:16], v[17:18], v[12:13]
	v_mul_f64 v[23:24], v[10:11], v[15:16]
	v_fma_f64 v[10:11], v[15:16], v[10:11], -v[23:24]
	v_fma_f64 v[8:9], v[15:16], v[8:9], v[10:11]
	v_add_f64 v[10:11], v[23:24], v[8:9]
	v_add_f64 v[27:28], v[17:18], -v[10:11]
	v_add_f64 v[23:24], v[10:11], -v[23:24]
	;; [unrolled: 1-line block ×4, first 2 shown]
	v_mov_b32_e32 v23, 0x6b47b09a
	v_mov_b32_e32 v24, 0x3fc38538
	v_add_f64 v[10:11], v[17:18], -v[10:11]
	v_fma_f64 v[17:18], v[21:22], v[29:30], v[21:22]
	v_add_f64 v[8:9], v[8:9], v[10:11]
	v_div_scale_f64 v[10:11], vcc, v[4:5], v[25:26], v[4:5]
	v_fma_f64 v[21:22], -v[19:20], v[17:18], 1.0
	v_add_f64 v[8:9], v[27:28], v[8:9]
	v_fma_f64 v[17:18], v[17:18], v[21:22], v[17:18]
	v_mul_f64 v[8:9], v[12:13], v[8:9]
	v_mul_f64 v[12:13], v[10:11], v[17:18]
	v_add_f64 v[21:22], v[15:16], v[8:9]
	v_fma_f64 v[10:11], -v[19:20], v[12:13], v[10:11]
	v_mul_f64 v[19:20], v[21:22], v[21:22]
	v_add_f64 v[15:16], v[21:22], -v[15:16]
	v_div_fmas_f64 v[10:11], v[10:11], v[17:18], v[12:13]
	v_mov_b32_e32 v17, 0xbd3237f4
	v_mov_b32_e32 v18, 0xbf23e260
	v_fma_f64 v[12:13], v[19:20], s[20:21], v[23:24]
	s_mov_b32 s20, 0xd7f4df2e
	s_mov_b32 s21, 0x3fc7474d
	v_mul_f64 v[23:24], v[21:22], v[19:20]
	v_add_f64 v[8:9], v[8:9], -v[15:16]
	v_fma_f64 v[12:13], v[19:20], v[12:13], s[20:21]
	s_mov_b32 s20, 0x16291751
	s_mov_b32 s21, 0x3fcc71c0
	v_div_fixup_f64 v[4:5], v[10:11], v[25:26], v[4:5]
	v_ldexp_f64 v[8:9], v[8:9], 1
	v_fma_f64 v[10:11], v[19:20], v[12:13], s[20:21]
	s_mov_b32 s20, 0x9b27acf1
	s_mov_b32 s21, 0x3fd24924
	v_mul_f64 v[12:13], v[4:5], v[4:5]
	v_fma_f64 v[10:11], v[19:20], v[10:11], s[20:21]
	s_mov_b32 s20, 0xb5e68a13
	s_mov_b32 s21, 0x3eeba404
	v_fma_f64 v[17:18], v[12:13], s[20:21], v[17:18]
	s_mov_b32 s20, 0x998ef7b6
	s_mov_b32 s21, 0x3fd99999
	;; [unrolled: 3-line block ×5, first 2 shown]
	v_fma_f64 v[17:18], v[12:13], v[17:18], s[16:17]
	v_ldexp_f64 v[19:20], v[21:22], 1
	s_mov_b32 s16, 0xfefa39ef
	s_mov_b32 s17, 0x3fe62e42
	v_mul_f64 v[10:11], v[23:24], v[10:11]
	v_frexp_exp_i32_f64_e32 v23, v[6:7]
	v_fma_f64 v[17:18], v[12:13], v[17:18], s[20:21]
	s_mov_b32 s20, 0xa57d9582
	s_mov_b32 s21, 0xbf8c6ea4
	v_add_f64 v[21:22], v[19:20], v[10:11]
	v_subbrev_co_u32_e64 v23, vcc, 0, v23, s[6:7]
	v_cvt_f64_i32_e32 v[23:24], v23
	v_fma_f64 v[17:18], v[12:13], v[17:18], s[20:21]
	s_mov_b32 s6, 0x5f08b19f
	s_mov_b32 s7, 0x3f967e29
	v_mul_f64 v[25:26], v[23:24], s[16:17]
	v_add_f64 v[15:16], v[21:22], -v[19:20]
	v_fma_f64 v[17:18], v[12:13], v[17:18], s[6:7]
	s_mov_b32 s6, 0xfc27006a
	s_mov_b32 s7, 0xbf9e9ae6
	v_fma_f64 v[19:20], v[23:24], s[16:17], -v[25:26]
	v_add_f64 v[10:11], v[10:11], -v[15:16]
	s_movk_i32 s16, 0x204
	v_cmp_class_f64_e64 vcc, v[6:7], s16
	v_cmp_class_f64_e64 s[16:17], v[0:1], s16
	v_fma_f64 v[15:16], v[12:13], v[17:18], s[6:7]
	s_mov_b32 s6, 0x3b39803f
	s_mov_b32 s7, 0x3c7abc9e
	v_fma_f64 v[17:18], v[23:24], s[6:7], v[19:20]
	v_add_f64 v[8:9], v[8:9], v[10:11]
	s_mov_b32 s6, 0x5711927a
	s_mov_b32 s7, 0x3fa2c15b
	v_fma_f64 v[10:11], v[12:13], v[15:16], s[6:7]
	s_mov_b32 s6, 0xe82d3ff0
	s_mov_b32 s7, 0xbfa59976
	v_add_f64 v[15:16], v[25:26], v[17:18]
	v_add_f64 v[19:20], v[21:22], v[8:9]
	v_fma_f64 v[10:11], v[12:13], v[10:11], s[6:7]
	s_mov_b32 s6, 0x6ef28734
	s_mov_b32 s7, 0x3fa82d5d
	v_add_f64 v[25:26], v[15:16], -v[25:26]
	v_add_f64 v[23:24], v[15:16], v[19:20]
	v_add_f64 v[21:22], v[19:20], -v[21:22]
	v_fma_f64 v[10:11], v[12:13], v[10:11], s[6:7]
	s_mov_b32 s6, 0x6a214619
	s_mov_b32 s7, 0xbfaae5ce
	v_add_f64 v[17:18], v[17:18], -v[25:26]
	v_add_f64 v[27:28], v[23:24], -v[15:16]
	;; [unrolled: 1-line block ×3, first 2 shown]
	v_fma_f64 v[10:11], v[12:13], v[10:11], s[6:7]
	s_mov_b32 s6, 0x8427b883
	s_mov_b32 s7, 0x3fae1bb4
	v_add_f64 v[29:30], v[23:24], -v[27:28]
	v_add_f64 v[19:20], v[19:20], -v[27:28]
	v_add_f64 v[21:22], v[17:18], v[8:9]
	v_fma_f64 v[10:11], v[12:13], v[10:11], s[6:7]
	s_mov_b32 s6, 0x8b207f05
	s_mov_b32 s7, 0xbfb110e4
	v_add_f64 v[15:16], v[15:16], -v[29:30]
	v_fma_f64 v[10:11], v[12:13], v[10:11], s[6:7]
	s_mov_b32 s6, 0x57b87036
	s_mov_b32 s7, 0x3fb3b136
	v_add_f64 v[15:16], v[19:20], v[15:16]
	v_add_f64 v[19:20], v[21:22], -v[17:18]
	v_fma_f64 v[10:11], v[12:13], v[10:11], s[6:7]
	s_mov_b32 s6, 0x19378e4f
	s_mov_b32 s7, 0xbfb745d1
	v_add_f64 v[15:16], v[21:22], v[15:16]
	v_add_f64 v[21:22], v[21:22], -v[19:20]
	v_add_f64 v[8:9], v[8:9], -v[19:20]
	v_fma_f64 v[10:11], v[12:13], v[10:11], s[6:7]
	s_mov_b32 s6, 0x17e1913c
	s_mov_b32 s7, 0x3fbc71c7
	v_add_f64 v[25:26], v[23:24], v[15:16]
	v_add_f64 v[17:18], v[17:18], -v[21:22]
	v_fma_f64 v[10:11], v[12:13], v[10:11], s[6:7]
	s_mov_b32 s6, 0x92376b7d
	s_mov_b32 s7, 0xbfc24924
	v_add_f64 v[19:20], v[25:26], -v[23:24]
	v_add_f64 v[8:9], v[8:9], v[17:18]
	v_fma_f64 v[10:11], v[12:13], v[10:11], s[6:7]
	s_mov_b32 s6, 0x999952cc
	s_mov_b32 s7, 0x3fc99999
	v_add_f64 v[15:16], v[15:16], -v[19:20]
	v_fma_f64 v[10:11], v[12:13], v[10:11], s[6:7]
	s_mov_b32 s6, 0x55555523
	s_mov_b32 s7, 0xbfd55555
	v_add_f64 v[8:9], v[8:9], v[15:16]
	v_mov_b32_e32 v15, 0xfff00000
	v_fma_f64 v[10:11], v[12:13], v[10:11], s[6:7]
	s_mov_b32 s6, 0
	s_mov_b32 s7, 0xfff00000
	v_cmp_eq_f64_e64 s[6:7], s[6:7], v[2:3]
	v_add_f64 v[8:9], v[25:26], v[8:9]
	v_mul_f64 v[10:11], v[12:13], v[10:11]
	s_and_b64 s[16:17], s[6:7], s[16:17]
	v_cndmask_b32_e32 v9, v9, v7, vcc
	v_cndmask_b32_e32 v8, v8, v6, vcc
	v_mul_f64 v[8:9], v[8:9], 0.5
	v_cmp_neq_f64_e32 vcc, 0, v[6:7]
	v_fma_f64 v[6:7], v[4:5], v[10:11], v[4:5]
                                        ; implicit-def: $vgpr4_vgpr5
	v_cndmask_b32_e32 v11, v15, v9, vcc
	v_cndmask_b32_e32 v10, 0, v8, vcc
.LBB0_80:
	s_andn2_saveexec_b64 s[20:21], s[8:9]
	s_cbranch_execz .LBB0_82
; %bb.81:
	v_max_f64 v[6:7], -v[2:3], -v[2:3]
	s_mov_b32 s6, 0
	s_mov_b32 s7, 0xfff00000
	s_movk_i32 s26, 0x204
	v_cmp_eq_f64_e64 s[6:7], s[6:7], v[2:3]
	v_cmp_class_f64_e64 s[22:23], v[0:1], s26
	s_mov_b32 s25, 0x3fe55555
	s_mov_b32 s24, 0x55555555
	s_waitcnt lgkmcnt(0)
	v_max_f64 v[8:9], v[6:7], v[4:5]
	v_min_f64 v[4:5], v[6:7], v[4:5]
	s_mov_b32 s40, 0xb5e68a13
	s_mov_b32 s41, 0x3eeba404
	v_frexp_exp_i32_f64_e32 v19, v[8:9]
	v_div_scale_f64 v[27:28], s[28:29], v[8:9], v[8:9], v[4:5]
	s_mov_b32 s28, 0xbf559e2b
	s_mov_b32 s29, 0x3fc3ab76
	v_sub_u32_e32 v12, 0, v19
	v_ldexp_f64 v[10:11], |v[0:1]|, v12
	v_ldexp_f64 v[12:13], -v[2:3], v12
	v_mul_f64 v[10:11], v[10:11], v[10:11]
	v_fma_f64 v[10:11], v[12:13], v[12:13], v[10:11]
	v_rsq_f64_e32 v[12:13], v[10:11]
	v_cmp_eq_f64_e32 vcc, 0, v[10:11]
	v_mul_f64 v[15:16], v[10:11], v[12:13]
	v_mul_f64 v[12:13], v[12:13], 0.5
	v_fma_f64 v[17:18], -v[12:13], v[15:16], 0.5
	v_fma_f64 v[15:16], v[15:16], v[17:18], v[15:16]
	v_fma_f64 v[12:13], v[12:13], v[17:18], v[12:13]
	v_fma_f64 v[17:18], -v[15:16], v[15:16], v[10:11]
	v_fma_f64 v[12:13], v[17:18], v[12:13], v[15:16]
	v_cndmask_b32_e32 v11, v13, v11, vcc
	v_cndmask_b32_e32 v10, v12, v10, vcc
	v_ldexp_f64 v[10:11], v[10:11], v19
	v_mov_b32_e32 v12, 0x7ff00000
	s_or_b64 vcc, s[6:7], s[22:23]
	s_and_b64 s[6:7], s[6:7], s[22:23]
	v_mov_b32_e32 v13, 0xfff00000
	s_and_b64 s[6:7], s[6:7], exec
	v_cndmask_b32_e32 v12, v11, v12, vcc
	v_cndmask_b32_e64 v11, v10, 0, vcc
	v_frexp_mant_f64_e32 v[15:16], v[11:12]
	v_cmp_gt_f64_e64 s[8:9], s[24:25], v[15:16]
	s_mov_b32 s24, 0x55555780
	v_cndmask_b32_e64 v10, 0, 1, s[8:9]
	v_ldexp_f64 v[15:16], v[15:16], v10
	v_frexp_exp_i32_f64_e32 v10, v[11:12]
	v_add_f64 v[17:18], v[15:16], 1.0
	v_add_f64 v[23:24], v[15:16], -1.0
	v_rcp_f64_e32 v[19:20], v[17:18]
	v_add_f64 v[6:7], v[17:18], -1.0
	v_add_f64 v[6:7], v[15:16], -v[6:7]
	v_fma_f64 v[21:22], -v[17:18], v[19:20], 1.0
	v_fma_f64 v[19:20], v[21:22], v[19:20], v[19:20]
	v_fma_f64 v[21:22], -v[17:18], v[19:20], 1.0
	v_fma_f64 v[19:20], v[21:22], v[19:20], v[19:20]
	v_mul_f64 v[21:22], v[23:24], v[19:20]
	v_mul_f64 v[25:26], v[17:18], v[21:22]
	v_fma_f64 v[15:16], v[21:22], v[17:18], -v[25:26]
	v_fma_f64 v[6:7], v[21:22], v[6:7], v[15:16]
	v_rcp_f64_e32 v[15:16], v[27:28]
	v_add_f64 v[17:18], v[25:26], v[6:7]
	v_add_f64 v[29:30], v[23:24], -v[17:18]
	v_fma_f64 v[31:32], -v[27:28], v[15:16], 1.0
	v_add_f64 v[25:26], v[17:18], -v[25:26]
	v_add_f64 v[23:24], v[23:24], -v[29:30]
	v_fma_f64 v[15:16], v[15:16], v[31:32], v[15:16]
	v_add_f64 v[6:7], v[25:26], -v[6:7]
	v_add_f64 v[17:18], v[23:24], -v[17:18]
	v_div_scale_f64 v[23:24], vcc, v[4:5], v[8:9], v[4:5]
	v_fma_f64 v[25:26], -v[27:28], v[15:16], 1.0
	v_add_f64 v[6:7], v[6:7], v[17:18]
	v_fma_f64 v[15:16], v[15:16], v[25:26], v[15:16]
	v_add_f64 v[6:7], v[29:30], v[6:7]
	v_mul_f64 v[17:18], v[23:24], v[15:16]
	v_mul_f64 v[6:7], v[19:20], v[6:7]
	v_fma_f64 v[19:20], -v[27:28], v[17:18], v[23:24]
	v_add_f64 v[23:24], v[21:22], v[6:7]
	v_div_fmas_f64 v[15:16], v[19:20], v[15:16], v[17:18]
	v_mov_b32_e32 v19, 0x6b47b09a
	v_mov_b32_e32 v20, 0x3fc38538
	v_subbrev_co_u32_e64 v10, vcc, 0, v10, s[8:9]
	v_mul_f64 v[17:18], v[23:24], v[23:24]
	v_add_f64 v[21:22], v[23:24], -v[21:22]
	s_mov_b32 s8, 0x5f08b19f
	s_mov_b32 s9, 0x3f967e29
	v_cmp_class_f64_e64 vcc, v[11:12], s26
	v_fma_f64 v[19:20], v[17:18], s[28:29], v[19:20]
	s_mov_b32 s28, 0xd7f4df2e
	s_mov_b32 s29, 0x3fc7474d
	v_div_fixup_f64 v[4:5], v[15:16], v[8:9], v[4:5]
	v_mul_f64 v[25:26], v[23:24], v[17:18]
	v_add_f64 v[6:7], v[6:7], -v[21:22]
	v_fma_f64 v[8:9], v[17:18], v[19:20], s[28:29]
	s_mov_b32 s28, 0x16291751
	s_mov_b32 s29, 0x3fcc71c0
	v_mul_f64 v[15:16], v[4:5], v[4:5]
	v_mov_b32_e32 v19, 0xbd3237f4
	v_mov_b32_e32 v20, 0xbf23e260
	v_ldexp_f64 v[6:7], v[6:7], 1
	v_fma_f64 v[8:9], v[17:18], v[8:9], s[28:29]
	s_mov_b32 s28, 0x9b27acf1
	s_mov_b32 s29, 0x3fd24924
	v_fma_f64 v[19:20], v[15:16], s[40:41], v[19:20]
	s_mov_b32 s40, 0x69efb384
	s_mov_b32 s41, 0x3f4b2bb0
	;; [unrolled: 3-line block ×3, first 2 shown]
	v_fma_f64 v[19:20], v[15:16], v[19:20], s[40:41]
	v_fma_f64 v[8:9], v[17:18], v[8:9], s[28:29]
	s_mov_b32 s28, 0xaf56de9b
	s_mov_b32 s29, 0xbf67952d
	v_fma_f64 v[19:20], v[15:16], v[19:20], s[28:29]
	s_mov_b32 s28, 0xa57d9582
	s_mov_b32 s29, 0xbf8c6ea4
	;; [unrolled: 3-line block ×3, first 2 shown]
	v_fma_f64 v[17:18], v[15:16], v[19:20], s[24:25]
	v_ldexp_f64 v[19:20], v[23:24], 1
	s_mov_b32 s24, 0xfefa39ef
	s_mov_b32 s25, 0x3fe62e42
	v_mul_f64 v[8:9], v[25:26], v[8:9]
	v_cvt_f64_i32_e32 v[25:26], v10
	v_mov_b32_e32 v10, 0x7ff80000
	v_fma_f64 v[17:18], v[15:16], v[17:18], s[28:29]
	v_mul_f64 v[27:28], v[25:26], s[24:25]
	v_add_f64 v[23:24], v[19:20], v[8:9]
	v_fma_f64 v[17:18], v[15:16], v[17:18], s[8:9]
	s_mov_b32 s8, 0xfc27006a
	s_mov_b32 s9, 0xbf9e9ae6
	v_fma_f64 v[21:22], v[25:26], s[24:25], -v[27:28]
	s_mov_b32 s24, 0x5711927a
	v_add_f64 v[19:20], v[23:24], -v[19:20]
	s_mov_b32 s25, 0x3fa2c15b
	v_fma_f64 v[17:18], v[15:16], v[17:18], s[8:9]
	s_mov_b32 s8, 0x3b39803f
	s_mov_b32 s9, 0x3c7abc9e
	v_add_f64 v[8:9], v[8:9], -v[19:20]
	v_fma_f64 v[19:20], v[25:26], s[8:9], v[21:22]
	s_mov_b32 s8, 0xe82d3ff0
	v_fma_f64 v[17:18], v[15:16], v[17:18], s[24:25]
	s_mov_b32 s9, 0xbfa59976
	v_add_f64 v[6:7], v[6:7], v[8:9]
	v_fma_f64 v[8:9], v[15:16], v[17:18], s[8:9]
	v_add_f64 v[17:18], v[27:28], v[19:20]
	s_mov_b32 s8, 0x6ef28734
	s_mov_b32 s9, 0x3fa82d5d
	v_add_f64 v[21:22], v[23:24], v[6:7]
	v_fma_f64 v[8:9], v[15:16], v[8:9], s[8:9]
	s_mov_b32 s8, 0x6a214619
	s_mov_b32 s9, 0xbfaae5ce
	v_add_f64 v[27:28], v[17:18], -v[27:28]
	v_add_f64 v[25:26], v[17:18], v[21:22]
	v_add_f64 v[23:24], v[21:22], -v[23:24]
	v_fma_f64 v[8:9], v[15:16], v[8:9], s[8:9]
	s_mov_b32 s8, 0x8427b883
	s_mov_b32 s9, 0x3fae1bb4
	v_add_f64 v[19:20], v[19:20], -v[27:28]
	v_add_f64 v[29:30], v[25:26], -v[17:18]
	;; [unrolled: 1-line block ×3, first 2 shown]
	v_fma_f64 v[8:9], v[15:16], v[8:9], s[8:9]
	s_mov_b32 s8, 0x8b207f05
	s_mov_b32 s9, 0xbfb110e4
	v_add_f64 v[31:32], v[25:26], -v[29:30]
	v_add_f64 v[21:22], v[21:22], -v[29:30]
	v_add_f64 v[23:24], v[19:20], v[6:7]
	v_fma_f64 v[8:9], v[15:16], v[8:9], s[8:9]
	s_mov_b32 s8, 0x57b87036
	s_mov_b32 s9, 0x3fb3b136
	v_add_f64 v[17:18], v[17:18], -v[31:32]
	v_fma_f64 v[8:9], v[15:16], v[8:9], s[8:9]
	s_mov_b32 s8, 0x19378e4f
	s_mov_b32 s9, 0xbfb745d1
	v_add_f64 v[17:18], v[21:22], v[17:18]
	v_add_f64 v[21:22], v[23:24], -v[19:20]
	v_fma_f64 v[8:9], v[15:16], v[8:9], s[8:9]
	s_mov_b32 s8, 0x17e1913c
	s_mov_b32 s9, 0x3fbc71c7
	v_add_f64 v[17:18], v[23:24], v[17:18]
	v_add_f64 v[23:24], v[23:24], -v[21:22]
	v_add_f64 v[6:7], v[6:7], -v[21:22]
	v_fma_f64 v[8:9], v[15:16], v[8:9], s[8:9]
	s_mov_b32 s8, 0x92376b7d
	s_mov_b32 s9, 0xbfc24924
	v_add_f64 v[27:28], v[25:26], v[17:18]
	v_add_f64 v[19:20], v[19:20], -v[23:24]
	v_fma_f64 v[8:9], v[15:16], v[8:9], s[8:9]
	s_mov_b32 s8, 0x999952cc
	s_mov_b32 s9, 0x3fc99999
	v_add_f64 v[21:22], v[27:28], -v[25:26]
	v_add_f64 v[6:7], v[6:7], v[19:20]
	v_fma_f64 v[8:9], v[15:16], v[8:9], s[8:9]
	s_mov_b32 s8, 0x55555523
	s_mov_b32 s9, 0xbfd55555
	v_add_f64 v[17:18], v[17:18], -v[21:22]
	v_fma_f64 v[8:9], v[15:16], v[8:9], s[8:9]
	s_andn2_b64 s[8:9], s[16:17], exec
	s_or_b64 s[16:17], s[8:9], s[6:7]
	v_add_f64 v[6:7], v[6:7], v[17:18]
	v_mul_f64 v[8:9], v[15:16], v[8:9]
	v_add_f64 v[15:16], v[27:28], v[6:7]
	v_fma_f64 v[6:7], v[4:5], v[8:9], v[4:5]
	v_cndmask_b32_e32 v4, v15, v11, vcc
	v_cndmask_b32_e32 v5, v16, v12, vcc
	v_cmp_ngt_f64_e32 vcc, 0, v[11:12]
	v_cndmask_b32_e32 v5, v10, v5, vcc
	v_cmp_nge_f64_e32 vcc, 0, v[11:12]
	v_cndmask_b32_e32 v10, 0, v4, vcc
	v_cmp_neq_f64_e32 vcc, 0, v[11:12]
	v_cndmask_b32_e32 v11, v13, v5, vcc
.LBB0_82:
	s_or_b64 exec, exec, s[20:21]
                                        ; implicit-def: $vgpr4_vgpr5
.LBB0_83:
	s_andn2_saveexec_b64 s[8:9], s[18:19]
	s_cbranch_execz .LBB0_85
; %bb.84:
	s_mov_b32 s18, 0x8b145769
	s_mov_b32 s19, 0xc005bf0a
	v_div_scale_f64 v[6:7], s[6:7], s[18:19], s[18:19], v[2:3]
	v_div_scale_f64 v[8:9], s[6:7], s[18:19], s[18:19], v[0:1]
	;; [unrolled: 1-line block ×3, first 2 shown]
	s_movk_i32 s20, 0x204
	s_andn2_b64 s[16:17], s[16:17], exec
	v_rcp_f64_e32 v[10:11], v[6:7]
	v_rcp_f64_e32 v[12:13], v[8:9]
	v_fma_f64 v[15:16], -v[6:7], v[10:11], 1.0
	v_fma_f64 v[17:18], -v[8:9], v[12:13], 1.0
	v_fma_f64 v[10:11], v[10:11], v[15:16], v[10:11]
	v_div_scale_f64 v[15:16], vcc, v[2:3], s[18:19], v[2:3]
	v_fma_f64 v[12:13], v[12:13], v[17:18], v[12:13]
	v_fma_f64 v[17:18], -v[6:7], v[10:11], 1.0
	v_fma_f64 v[21:22], -v[8:9], v[12:13], 1.0
	v_fma_f64 v[10:11], v[10:11], v[17:18], v[10:11]
	v_fma_f64 v[12:13], v[12:13], v[21:22], v[12:13]
	v_mul_f64 v[17:18], v[15:16], v[10:11]
	v_mul_f64 v[21:22], v[19:20], v[12:13]
	v_fma_f64 v[6:7], -v[6:7], v[17:18], v[15:16]
	v_fma_f64 v[8:9], -v[8:9], v[21:22], v[19:20]
	v_div_fmas_f64 v[6:7], v[6:7], v[10:11], v[17:18]
	s_mov_b64 vcc, s[6:7]
	v_div_fmas_f64 v[8:9], v[8:9], v[12:13], v[21:22]
	v_div_fixup_f64 v[6:7], v[6:7], s[18:19], v[2:3]
	v_div_fixup_f64 v[8:9], v[8:9], s[18:19], v[0:1]
	v_cmp_class_f64_e64 s[6:7], v[6:7], s20
	v_max_f64 v[10:11], |v[6:7]|, |v[8:9]|
	v_cmp_class_f64_e64 s[18:19], v[8:9], s20
	v_frexp_exp_i32_f64_e32 v19, v[10:11]
	v_sub_u32_e32 v12, 0, v19
	v_ldexp_f64 v[10:11], |v[8:9]|, v12
	v_ldexp_f64 v[12:13], |v[6:7]|, v12
	v_mov_b32_e32 v8, 0x7ff00000
	v_mul_f64 v[10:11], v[10:11], v[10:11]
	v_fma_f64 v[10:11], v[12:13], v[12:13], v[10:11]
	v_rsq_f64_e32 v[12:13], v[10:11]
	v_cmp_eq_f64_e32 vcc, 0, v[10:11]
	v_mul_f64 v[15:16], v[10:11], v[12:13]
	v_mul_f64 v[12:13], v[12:13], 0.5
	v_fma_f64 v[17:18], -v[12:13], v[15:16], 0.5
	v_fma_f64 v[15:16], v[15:16], v[17:18], v[15:16]
	v_fma_f64 v[12:13], v[12:13], v[17:18], v[12:13]
	v_fma_f64 v[17:18], -v[15:16], v[15:16], v[10:11]
	v_fma_f64 v[12:13], v[17:18], v[12:13], v[15:16]
	v_cndmask_b32_e32 v7, v13, v11, vcc
	v_cndmask_b32_e32 v6, v12, v10, vcc
	v_ldexp_f64 v[6:7], v[6:7], v19
	s_or_b64 vcc, s[18:19], s[6:7]
	s_mov_b32 s19, 0x3fe55555
	s_mov_b32 s18, 0x55555555
	v_max_f64 v[19:20], -v[2:3], -v[2:3]
	v_cndmask_b32_e32 v9, v7, v8, vcc
	v_cndmask_b32_e64 v8, v6, 0, vcc
	v_frexp_mant_f64_e32 v[6:7], v[8:9]
	s_waitcnt lgkmcnt(0)
	v_max_f64 v[25:26], v[19:20], v[4:5]
	v_min_f64 v[4:5], v[19:20], v[4:5]
	v_cmp_gt_f64_e64 s[6:7], s[18:19], v[6:7]
	s_mov_b32 s18, 0x55555780
	v_div_scale_f64 v[19:20], s[22:23], v[25:26], v[25:26], v[4:5]
	s_mov_b32 s22, 0xbf559e2b
	s_mov_b32 s23, 0x3fc3ab76
	v_cndmask_b32_e64 v10, 0, 1, s[6:7]
	v_ldexp_f64 v[6:7], v[6:7], v10
	v_add_f64 v[10:11], v[6:7], 1.0
	v_add_f64 v[17:18], v[6:7], -1.0
	v_rcp_f64_e32 v[12:13], v[10:11]
	v_add_f64 v[21:22], v[10:11], -1.0
	v_add_f64 v[6:7], v[6:7], -v[21:22]
	v_rcp_f64_e32 v[21:22], v[19:20]
	v_fma_f64 v[15:16], -v[10:11], v[12:13], 1.0
	v_fma_f64 v[12:13], v[15:16], v[12:13], v[12:13]
	v_fma_f64 v[29:30], -v[19:20], v[21:22], 1.0
	v_fma_f64 v[15:16], -v[10:11], v[12:13], 1.0
	v_fma_f64 v[12:13], v[15:16], v[12:13], v[12:13]
	v_mul_f64 v[15:16], v[17:18], v[12:13]
	v_mul_f64 v[23:24], v[10:11], v[15:16]
	v_fma_f64 v[10:11], v[15:16], v[10:11], -v[23:24]
	v_fma_f64 v[6:7], v[15:16], v[6:7], v[10:11]
	v_add_f64 v[10:11], v[23:24], v[6:7]
	v_add_f64 v[27:28], v[17:18], -v[10:11]
	v_add_f64 v[23:24], v[10:11], -v[23:24]
	;; [unrolled: 1-line block ×4, first 2 shown]
	v_mov_b32_e32 v23, 0x6b47b09a
	v_mov_b32_e32 v24, 0x3fc38538
	v_add_f64 v[10:11], v[17:18], -v[10:11]
	v_fma_f64 v[17:18], v[21:22], v[29:30], v[21:22]
	v_add_f64 v[6:7], v[6:7], v[10:11]
	v_div_scale_f64 v[10:11], vcc, v[4:5], v[25:26], v[4:5]
	v_fma_f64 v[21:22], -v[19:20], v[17:18], 1.0
	v_add_f64 v[6:7], v[27:28], v[6:7]
	v_fma_f64 v[17:18], v[17:18], v[21:22], v[17:18]
	v_mul_f64 v[6:7], v[12:13], v[6:7]
	v_mul_f64 v[12:13], v[10:11], v[17:18]
	v_add_f64 v[21:22], v[15:16], v[6:7]
	v_fma_f64 v[10:11], -v[19:20], v[12:13], v[10:11]
	v_mul_f64 v[19:20], v[21:22], v[21:22]
	v_add_f64 v[15:16], v[21:22], -v[15:16]
	v_div_fmas_f64 v[10:11], v[10:11], v[17:18], v[12:13]
	v_mov_b32_e32 v17, 0xbd3237f4
	v_mov_b32_e32 v18, 0xbf23e260
	v_fma_f64 v[12:13], v[19:20], s[22:23], v[23:24]
	s_mov_b32 s22, 0xd7f4df2e
	s_mov_b32 s23, 0x3fc7474d
	v_mul_f64 v[23:24], v[21:22], v[19:20]
	v_add_f64 v[6:7], v[6:7], -v[15:16]
	v_fma_f64 v[12:13], v[19:20], v[12:13], s[22:23]
	s_mov_b32 s22, 0x16291751
	s_mov_b32 s23, 0x3fcc71c0
	v_div_fixup_f64 v[4:5], v[10:11], v[25:26], v[4:5]
	v_ldexp_f64 v[6:7], v[6:7], 1
	v_fma_f64 v[10:11], v[19:20], v[12:13], s[22:23]
	s_mov_b32 s22, 0x9b27acf1
	s_mov_b32 s23, 0x3fd24924
	v_mul_f64 v[12:13], v[4:5], v[4:5]
	v_fma_f64 v[10:11], v[19:20], v[10:11], s[22:23]
	s_mov_b32 s22, 0xb5e68a13
	s_mov_b32 s23, 0x3eeba404
	v_fma_f64 v[17:18], v[12:13], s[22:23], v[17:18]
	s_mov_b32 s22, 0x998ef7b6
	s_mov_b32 s23, 0x3fd99999
	;; [unrolled: 3-line block ×5, first 2 shown]
	v_fma_f64 v[17:18], v[12:13], v[17:18], s[18:19]
	v_ldexp_f64 v[19:20], v[21:22], 1
	s_mov_b32 s18, 0xfefa39ef
	s_mov_b32 s19, 0x3fe62e42
	v_mul_f64 v[10:11], v[23:24], v[10:11]
	v_frexp_exp_i32_f64_e32 v23, v[8:9]
	v_fma_f64 v[17:18], v[12:13], v[17:18], s[22:23]
	s_mov_b32 s22, 0xa57d9582
	s_mov_b32 s23, 0xbf8c6ea4
	v_add_f64 v[21:22], v[19:20], v[10:11]
	v_subbrev_co_u32_e64 v23, vcc, 0, v23, s[6:7]
	v_cvt_f64_i32_e32 v[23:24], v23
	v_fma_f64 v[17:18], v[12:13], v[17:18], s[22:23]
	s_mov_b32 s6, 0x5f08b19f
	s_mov_b32 s7, 0x3f967e29
	v_mul_f64 v[25:26], v[23:24], s[18:19]
	v_add_f64 v[15:16], v[21:22], -v[19:20]
	v_cmp_class_f64_e64 vcc, v[8:9], s20
	v_fma_f64 v[17:18], v[12:13], v[17:18], s[6:7]
	s_mov_b32 s6, 0xfc27006a
	s_mov_b32 s7, 0xbf9e9ae6
	v_fma_f64 v[19:20], v[23:24], s[18:19], -v[25:26]
	v_add_f64 v[10:11], v[10:11], -v[15:16]
	v_cmp_class_f64_e64 s[18:19], v[0:1], s20
	v_fma_f64 v[15:16], v[12:13], v[17:18], s[6:7]
	s_mov_b32 s6, 0x3b39803f
	s_mov_b32 s7, 0x3c7abc9e
	v_fma_f64 v[17:18], v[23:24], s[6:7], v[19:20]
	v_add_f64 v[6:7], v[6:7], v[10:11]
	s_mov_b32 s6, 0x5711927a
	s_mov_b32 s7, 0x3fa2c15b
	v_fma_f64 v[10:11], v[12:13], v[15:16], s[6:7]
	s_mov_b32 s6, 0xe82d3ff0
	s_mov_b32 s7, 0xbfa59976
	v_add_f64 v[15:16], v[25:26], v[17:18]
	v_add_f64 v[19:20], v[21:22], v[6:7]
	v_fma_f64 v[10:11], v[12:13], v[10:11], s[6:7]
	s_mov_b32 s6, 0x6ef28734
	s_mov_b32 s7, 0x3fa82d5d
	v_add_f64 v[25:26], v[15:16], -v[25:26]
	v_add_f64 v[23:24], v[15:16], v[19:20]
	v_add_f64 v[21:22], v[19:20], -v[21:22]
	v_fma_f64 v[10:11], v[12:13], v[10:11], s[6:7]
	s_mov_b32 s6, 0x6a214619
	s_mov_b32 s7, 0xbfaae5ce
	v_add_f64 v[17:18], v[17:18], -v[25:26]
	v_add_f64 v[27:28], v[23:24], -v[15:16]
	;; [unrolled: 1-line block ×3, first 2 shown]
	v_fma_f64 v[10:11], v[12:13], v[10:11], s[6:7]
	s_mov_b32 s6, 0x8427b883
	s_mov_b32 s7, 0x3fae1bb4
	v_add_f64 v[29:30], v[23:24], -v[27:28]
	v_add_f64 v[19:20], v[19:20], -v[27:28]
	v_add_f64 v[21:22], v[17:18], v[6:7]
	v_fma_f64 v[10:11], v[12:13], v[10:11], s[6:7]
	s_mov_b32 s6, 0x8b207f05
	s_mov_b32 s7, 0xbfb110e4
	v_add_f64 v[15:16], v[15:16], -v[29:30]
	v_fma_f64 v[10:11], v[12:13], v[10:11], s[6:7]
	s_mov_b32 s6, 0x57b87036
	s_mov_b32 s7, 0x3fb3b136
	v_add_f64 v[15:16], v[19:20], v[15:16]
	v_add_f64 v[19:20], v[21:22], -v[17:18]
	v_fma_f64 v[10:11], v[12:13], v[10:11], s[6:7]
	s_mov_b32 s6, 0x19378e4f
	s_mov_b32 s7, 0xbfb745d1
	v_add_f64 v[15:16], v[21:22], v[15:16]
	v_add_f64 v[21:22], v[21:22], -v[19:20]
	v_add_f64 v[6:7], v[6:7], -v[19:20]
	v_fma_f64 v[10:11], v[12:13], v[10:11], s[6:7]
	s_mov_b32 s6, 0x17e1913c
	s_mov_b32 s7, 0x3fbc71c7
	v_add_f64 v[25:26], v[23:24], v[15:16]
	v_add_f64 v[17:18], v[17:18], -v[21:22]
	v_fma_f64 v[10:11], v[12:13], v[10:11], s[6:7]
	s_mov_b32 s6, 0x92376b7d
	s_mov_b32 s7, 0xbfc24924
	v_add_f64 v[19:20], v[25:26], -v[23:24]
	v_add_f64 v[6:7], v[6:7], v[17:18]
	v_fma_f64 v[10:11], v[12:13], v[10:11], s[6:7]
	s_mov_b32 s6, 0x999952cc
	s_mov_b32 s7, 0x3fc99999
	v_add_f64 v[15:16], v[15:16], -v[19:20]
	v_fma_f64 v[10:11], v[12:13], v[10:11], s[6:7]
	s_mov_b32 s6, 0x55555523
	s_mov_b32 s7, 0xbfd55555
	v_add_f64 v[6:7], v[6:7], v[15:16]
	v_mov_b32_e32 v15, 0xfff00000
	v_fma_f64 v[10:11], v[12:13], v[10:11], s[6:7]
	s_mov_b32 s6, 0
	s_mov_b32 s7, 0xfff00000
	v_cmp_eq_f64_e64 s[6:7], s[6:7], v[2:3]
	v_add_f64 v[6:7], v[25:26], v[6:7]
	v_mov_b32_e32 v2, 0x7ff80000
	v_mul_f64 v[10:11], v[12:13], v[10:11]
	s_and_b64 s[6:7], s[6:7], s[18:19]
	v_cndmask_b32_e32 v7, v7, v9, vcc
	v_cndmask_b32_e32 v6, v6, v8, vcc
	v_add_f64 v[12:13], v[6:7], 1.0
	v_cmp_ngt_f64_e32 vcc, 0, v[8:9]
	v_fma_f64 v[6:7], v[4:5], v[10:11], v[4:5]
	s_and_b64 s[6:7], s[6:7], exec
	s_or_b64 s[16:17], s[16:17], s[6:7]
	v_cndmask_b32_e32 v2, v2, v13, vcc
	v_cmp_nge_f64_e32 vcc, 0, v[8:9]
	v_cndmask_b32_e32 v10, 0, v12, vcc
	v_cmp_neq_f64_e32 vcc, 0, v[8:9]
	v_cndmask_b32_e32 v11, v15, v2, vcc
.LBB0_85:
	s_or_b64 exec, exec, s[8:9]
	s_mov_b32 s6, 0x54442d18
	s_mov_b32 s7, 0x3ff921fb
	s_waitcnt lgkmcnt(0)
	v_add_f64 v[4:5], -v[6:7], s[6:7]
	s_mov_b32 s7, 0x400921fb
	v_mov_b32_e32 v2, 0x3fe921fb
	v_mov_b32_e32 v8, 0x4002d97c
	v_ashrrev_i32_e32 v13, 31, v14
	v_cmp_gt_i32_e32 vcc, 0, v14
	v_mov_b32_e32 v9, 0x54442d18
	v_mov_b32_e32 v12, 0x7f3321d2
	v_cndmask_b32_e64 v5, v7, v5, s[4:5]
	v_cndmask_b32_e64 v4, v6, v4, s[4:5]
	v_add_f64 v[6:7], -v[4:5], s[6:7]
	v_cmp_eq_f64_e64 s[4:5], 0, v[0:1]
	v_cndmask_b32_e32 v2, v2, v8, vcc
	v_and_b32_e32 v8, 0x400921fb, v13
	v_xor_b32_e32 v0, 0x80000000, v1
	s_brev_b32 s6, -2
	v_cndmask_b32_e32 v5, v5, v7, vcc
	v_cndmask_b32_e32 v7, v9, v12, vcc
	v_and_b32_e32 v9, 0x54442d18, v13
	v_cndmask_b32_e32 v4, v4, v6, vcc
	v_cndmask_b32_e64 v5, v5, v8, s[4:5]
	v_cndmask_b32_e64 v2, v5, v2, s[16:17]
	;; [unrolled: 1-line block ×4, first 2 shown]
	v_bfi_b32 v13, s6, v2, v0
.LBB0_86:
	s_or_b64 exec, exec, s[14:15]
	s_mov_b32 s4, 0xfefa39ef
	s_mov_b32 s5, 0x3fe62e42
	s_waitcnt lgkmcnt(0)
	v_add_f64 v[4:5], v[10:11], s[4:5]
	s_brev_b32 s4, -2
	v_bfi_b32 v13, s4, v13, v1
	v_mov_b32_e32 v0, v12
	v_mov_b32_e32 v1, v13
	v_bfi_b32 v5, s4, v5, v3
	v_mov_b32_e32 v2, v4
	v_mov_b32_e32 v3, v5
.LBB0_87:
	s_or_b64 exec, exec, s[12:13]
	s_andn2_saveexec_b64 s[4:5], s[10:11]
	s_cbranch_execz .LBB0_2
.LBB0_88:
	s_mov_b32 s8, 0
	s_mov_b32 s9, 0x7ff00000
	v_cmp_neq_f64_e64 s[6:7], |v[2:3]|, s[8:9]
                                        ; implicit-def: $vgpr4_vgpr5
                                        ; implicit-def: $vgpr6_vgpr7
	s_and_saveexec_b64 s[10:11], s[6:7]
	s_xor_b64 s[6:7], exec, s[10:11]
	s_cbranch_execz .LBB0_98
; %bb.89:
	v_cmp_neq_f64_e64 s[8:9], |v[0:1]|, s[8:9]
                                        ; implicit-def: $vgpr4_vgpr5
                                        ; implicit-def: $vgpr6_vgpr7
	s_and_saveexec_b64 s[10:11], s[8:9]
	s_xor_b64 s[8:9], exec, s[10:11]
	s_cbranch_execz .LBB0_95
; %bb.90:
	v_cmp_neq_f64_e32 vcc, 0, v[0:1]
                                        ; implicit-def: $vgpr4_vgpr5
	s_and_saveexec_b64 s[10:11], vcc
	s_xor_b64 s[10:11], exec, s[10:11]
	s_cbranch_execz .LBB0_92
; %bb.91:
	v_add_f64 v[2:3], v[2:3], 0
	s_waitcnt lgkmcnt(0)
	v_add_f64 v[4:5], v[0:1], v[2:3]
                                        ; implicit-def: $vgpr2_vgpr3
                                        ; implicit-def: $vgpr0_vgpr1
.LBB0_92:
	s_or_saveexec_b64 s[10:11], s[10:11]
	s_waitcnt lgkmcnt(0)
	v_mov_b32_e32 v7, v5
	v_mov_b32_e32 v6, v4
	s_xor_b64 exec, exec, s[10:11]
	s_cbranch_execz .LBB0_94
; %bb.93:
	v_add_f64 v[6:7], v[2:3], v[2:3]
	v_mov_b32_e32 v5, v1
	v_mov_b32_e32 v4, v0
.LBB0_94:
	s_or_b64 exec, exec, s[10:11]
                                        ; implicit-def: $vgpr2_vgpr3
                                        ; implicit-def: $vgpr0_vgpr1
.LBB0_95:
	s_andn2_saveexec_b64 s[8:9], s[8:9]
	s_cbranch_execz .LBB0_97
; %bb.96:
	s_waitcnt lgkmcnt(0)
	v_add_f64 v[4:5], v[2:3], v[2:3]
	v_mov_b32_e32 v7, v1
	v_mov_b32_e32 v6, v0
.LBB0_97:
	s_or_b64 exec, exec, s[8:9]
                                        ; implicit-def: $vgpr0_vgpr1
                                        ; implicit-def: $vgpr2_vgpr3
.LBB0_98:
	s_andn2_saveexec_b64 s[6:7], s[6:7]
	s_cbranch_execz .LBB0_100
; %bb.99:
	s_waitcnt lgkmcnt(0)
	v_add_f64 v[4:5], v[0:1], v[0:1]
	v_mov_b32_e32 v7, v3
	v_mov_b32_e32 v6, v2
.LBB0_100:
	s_or_b64 exec, exec, s[6:7]
	v_mov_b32_e32 v2, v6
	s_waitcnt lgkmcnt(0)
	v_mov_b32_e32 v0, v4
	v_mov_b32_e32 v3, v7
	v_mov_b32_e32 v1, v5
	s_or_b64 exec, exec, s[4:5]
	s_setpc_b64 s[30:31]
.Lfunc_end0:
	.size	_ZZZZN2at6native16asin_kernel_cudaERNS_18TensorIteratorBaseEENKUlvE_clEvENKUlvE_clEvENKUlN3c107complexIdEEE_clES7_, .Lfunc_end0-_ZZZZN2at6native16asin_kernel_cudaERNS_18TensorIteratorBaseEENKUlvE_clEvENKUlvE_clEvENKUlN3c107complexIdEEE_clES7_
                                        ; -- End function
	.set .L_ZZZZN2at6native16asin_kernel_cudaERNS_18TensorIteratorBaseEENKUlvE_clEvENKUlvE_clEvENKUlN3c107complexIdEEE_clES7_.num_vgpr, 50
	.set .L_ZZZZN2at6native16asin_kernel_cudaERNS_18TensorIteratorBaseEENKUlvE_clEvENKUlvE_clEvENKUlN3c107complexIdEEE_clES7_.num_agpr, 0
	.set .L_ZZZZN2at6native16asin_kernel_cudaERNS_18TensorIteratorBaseEENKUlvE_clEvENKUlvE_clEvENKUlN3c107complexIdEEE_clES7_.numbered_sgpr, 42
	.set .L_ZZZZN2at6native16asin_kernel_cudaERNS_18TensorIteratorBaseEENKUlvE_clEvENKUlvE_clEvENKUlN3c107complexIdEEE_clES7_.num_named_barrier, 0
	.set .L_ZZZZN2at6native16asin_kernel_cudaERNS_18TensorIteratorBaseEENKUlvE_clEvENKUlvE_clEvENKUlN3c107complexIdEEE_clES7_.private_seg_size, 12
	.set .L_ZZZZN2at6native16asin_kernel_cudaERNS_18TensorIteratorBaseEENKUlvE_clEvENKUlvE_clEvENKUlN3c107complexIdEEE_clES7_.uses_vcc, 1
	.set .L_ZZZZN2at6native16asin_kernel_cudaERNS_18TensorIteratorBaseEENKUlvE_clEvENKUlvE_clEvENKUlN3c107complexIdEEE_clES7_.uses_flat_scratch, 0
	.set .L_ZZZZN2at6native16asin_kernel_cudaERNS_18TensorIteratorBaseEENKUlvE_clEvENKUlvE_clEvENKUlN3c107complexIdEEE_clES7_.has_dyn_sized_stack, 0
	.set .L_ZZZZN2at6native16asin_kernel_cudaERNS_18TensorIteratorBaseEENKUlvE_clEvENKUlvE_clEvENKUlN3c107complexIdEEE_clES7_.has_recursion, 0
	.set .L_ZZZZN2at6native16asin_kernel_cudaERNS_18TensorIteratorBaseEENKUlvE_clEvENKUlvE_clEvENKUlN3c107complexIdEEE_clES7_.has_indirect_call, 0
	.section	.AMDGPU.csdata,"",@progbits
; Function info:
; codeLenInByte = 18868
; TotalNumSgprs: 46
; NumVgprs: 50
; ScratchSize: 12
; MemoryBound: 0
	.section	.text._ZN2at6native29vectorized_elementwise_kernelILi16EZZZNS0_16asin_kernel_cudaERNS_18TensorIteratorBaseEENKUlvE_clEvENKUlvE_clEvEUlN3c107complexIdEEE_St5arrayIPcLm2EEEEviT0_T1_,"axG",@progbits,_ZN2at6native29vectorized_elementwise_kernelILi16EZZZNS0_16asin_kernel_cudaERNS_18TensorIteratorBaseEENKUlvE_clEvENKUlvE_clEvEUlN3c107complexIdEEE_St5arrayIPcLm2EEEEviT0_T1_,comdat
	.globl	_ZN2at6native29vectorized_elementwise_kernelILi16EZZZNS0_16asin_kernel_cudaERNS_18TensorIteratorBaseEENKUlvE_clEvENKUlvE_clEvEUlN3c107complexIdEEE_St5arrayIPcLm2EEEEviT0_T1_ ; -- Begin function _ZN2at6native29vectorized_elementwise_kernelILi16EZZZNS0_16asin_kernel_cudaERNS_18TensorIteratorBaseEENKUlvE_clEvENKUlvE_clEvEUlN3c107complexIdEEE_St5arrayIPcLm2EEEEviT0_T1_
	.p2align	8
	.type	_ZN2at6native29vectorized_elementwise_kernelILi16EZZZNS0_16asin_kernel_cudaERNS_18TensorIteratorBaseEENKUlvE_clEvENKUlvE_clEvEUlN3c107complexIdEEE_St5arrayIPcLm2EEEEviT0_T1_,@function
_ZN2at6native29vectorized_elementwise_kernelILi16EZZZNS0_16asin_kernel_cudaERNS_18TensorIteratorBaseEENKUlvE_clEvENKUlvE_clEvEUlN3c107complexIdEEE_St5arrayIPcLm2EEEEviT0_T1_: ; @_ZN2at6native29vectorized_elementwise_kernelILi16EZZZNS0_16asin_kernel_cudaERNS_18TensorIteratorBaseEENKUlvE_clEvENKUlvE_clEvEUlN3c107complexIdEEE_St5arrayIPcLm2EEEEviT0_T1_
; %bb.0:
	s_add_u32 flat_scratch_lo, s6, s9
	s_load_dword s6, s[4:5], 0x0
	s_load_dwordx4 s[36:39], s[4:5], 0x8
	s_addc_u32 flat_scratch_hi, s7, 0
	s_add_u32 s0, s0, s9
	s_addc_u32 s1, s1, 0
	s_lshl_b32 s42, s8, 10
	s_waitcnt lgkmcnt(0)
	s_sub_i32 s27, s6, s42
	v_mov_b32_e32 v47, v0
	s_cmpk_gt_i32 s27, 0x3ff
	s_mov_b64 s[4:5], -1
	s_mov_b32 s32, 0
	s_cbranch_scc0 .LBB1_2
; %bb.1:
	s_ashr_i32 s43, s42, 31
	s_lshl_b64 s[34:35], s[42:43], 4
	s_add_u32 s4, s38, s34
	s_addc_u32 s5, s39, s35
	v_lshlrev_b32_e32 v58, 6, v47
	global_load_dwordx4 v[0:3], v58, s[4:5]
	global_load_dwordx4 v[39:42], v58, s[4:5] offset:16
	global_load_dwordx4 v[43:46], v58, s[4:5] offset:48
	;; [unrolled: 1-line block ×3, first 2 shown]
	s_getpc_b64 s[44:45]
	s_add_u32 s44, s44, _ZZZZN2at6native16asin_kernel_cudaERNS_18TensorIteratorBaseEENKUlvE_clEvENKUlvE_clEvENKUlN3c107complexIdEEE_clES7_@rel32@lo+4
	s_addc_u32 s45, s45, _ZZZZN2at6native16asin_kernel_cudaERNS_18TensorIteratorBaseEENKUlvE_clEvENKUlvE_clEvENKUlN3c107complexIdEEE_clES7_@rel32@hi+12
	s_swappc_b64 s[30:31], s[44:45]
	v_mov_b32_e32 v54, v0
	v_mov_b32_e32 v55, v1
	v_mov_b32_e32 v56, v2
	v_mov_b32_e32 v57, v3
	v_mov_b32_e32 v0, v39
	v_mov_b32_e32 v1, v40
	v_mov_b32_e32 v2, v41
	v_mov_b32_e32 v3, v42
	s_swappc_b64 s[30:31], s[44:45]
	v_mov_b32_e32 v39, v0
	v_mov_b32_e32 v40, v1
	v_mov_b32_e32 v41, v2
	v_mov_b32_e32 v42, v3
	v_mov_b32_e32 v0, v50
	v_mov_b32_e32 v1, v51
	v_mov_b32_e32 v2, v52
	v_mov_b32_e32 v3, v53
	;; [unrolled: 9-line block ×3, first 2 shown]
	s_swappc_b64 s[30:31], s[44:45]
	s_add_u32 s4, s36, s34
	s_addc_u32 s5, s37, s35
	global_store_dwordx4 v58, v[54:57], s[4:5]
	global_store_dwordx4 v58, v[39:42], s[4:5] offset:16
	global_store_dwordx4 v58, v[50:53], s[4:5] offset:32
	;; [unrolled: 1-line block ×3, first 2 shown]
	s_mov_b64 s[4:5], 0
.LBB1_2:
	s_andn2_b64 vcc, exec, s[4:5]
	s_cbranch_vccnz .LBB1_23
; %bb.3:
	v_mov_b32_e32 v50, 0
	v_mov_b32_e32 v0, 0
	;; [unrolled: 1-line block ×3, first 2 shown]
	v_cmp_gt_i32_e64 s[34:35], s27, v47
	v_mov_b32_e32 v51, 0
	v_or_b32_e32 v66, s42, v47
	v_mov_b32_e32 v1, 0
	v_mov_b32_e32 v3, 0
	;; [unrolled: 1-line block ×3, first 2 shown]
	s_and_saveexec_b64 s[4:5], s[34:35]
	s_cbranch_execz .LBB1_5
; %bb.4:
	v_mov_b32_e32 v67, 0
	v_lshlrev_b64 v[0:1], 4, v[66:67]
	v_mov_b32_e32 v2, s39
	v_add_co_u32_e32 v0, vcc, s38, v0
	v_addc_co_u32_e32 v1, vcc, v2, v1, vcc
	global_load_dwordx4 v[0:3], v[0:1], off
	v_or_b32_e32 v4, 0x100, v47
.LBB1_5:
	s_or_b64 exec, exec, s[4:5]
	v_mov_b32_e32 v52, 0
	v_mov_b32_e32 v53, 0
	v_cmp_gt_i32_e32 vcc, s27, v4
	s_and_saveexec_b64 s[4:5], vcc
	s_cbranch_execz .LBB1_7
; %bb.6:
	v_add_u32_e32 v5, s42, v4
	v_mov_b32_e32 v6, 0
	v_lshlrev_b64 v[5:6], 4, v[5:6]
	v_mov_b32_e32 v7, s39
	v_add_co_u32_e32 v5, vcc, s38, v5
	v_addc_co_u32_e32 v6, vcc, v7, v6, vcc
	global_load_dwordx4 v[50:53], v[5:6], off
	v_add_u32_e32 v4, 0x100, v4
.LBB1_7:
	s_or_b64 exec, exec, s[4:5]
	v_mov_b32_e32 v43, 0
	v_mov_b32_e32 v58, 0
	;; [unrolled: 1-line block ×6, first 2 shown]
	v_cmp_gt_i32_e32 vcc, s27, v4
	s_and_saveexec_b64 s[4:5], vcc
	s_cbranch_execz .LBB1_9
; %bb.8:
	v_add_u32_e32 v5, s42, v4
	v_mov_b32_e32 v6, 0
	v_lshlrev_b64 v[5:6], 4, v[5:6]
	v_mov_b32_e32 v7, s39
	v_add_co_u32_e32 v5, vcc, s38, v5
	v_addc_co_u32_e32 v6, vcc, v7, v6, vcc
	global_load_dwordx4 v[58:61], v[5:6], off
	v_add_u32_e32 v4, 0x100, v4
.LBB1_9:
	s_or_b64 exec, exec, s[4:5]
	v_mov_b32_e32 v45, 0
	v_mov_b32_e32 v46, 0
	v_cmp_gt_i32_e32 vcc, s27, v4
	s_and_saveexec_b64 s[4:5], vcc
	s_cbranch_execz .LBB1_11
; %bb.10:
	v_add_u32_e32 v4, s42, v4
	v_mov_b32_e32 v5, 0
	v_lshlrev_b64 v[4:5], 4, v[4:5]
	v_mov_b32_e32 v6, s39
	v_add_co_u32_e32 v4, vcc, s38, v4
	v_addc_co_u32_e32 v5, vcc, v6, v5, vcc
	global_load_dwordx4 v[43:46], v[4:5], off
.LBB1_11:
	s_or_b64 exec, exec, s[4:5]
	v_mov_b32_e32 v41, 0
	v_mov_b32_e32 v56, 0
	;; [unrolled: 1-line block ×6, first 2 shown]
	s_and_saveexec_b64 s[38:39], s[34:35]
	s_cbranch_execz .LBB1_13
; %bb.12:
	s_getpc_b64 s[4:5]
	s_add_u32 s4, s4, _ZZZZN2at6native16asin_kernel_cudaERNS_18TensorIteratorBaseEENKUlvE_clEvENKUlvE_clEvENKUlN3c107complexIdEEE_clES7_@rel32@lo+4
	s_addc_u32 s5, s5, _ZZZZN2at6native16asin_kernel_cudaERNS_18TensorIteratorBaseEENKUlvE_clEvENKUlvE_clEvENKUlN3c107complexIdEEE_clES7_@rel32@hi+12
	s_swappc_b64 s[30:31], s[4:5]
	v_mov_b32_e32 v54, v0
	v_mov_b32_e32 v55, v1
	;; [unrolled: 1-line block ×4, first 2 shown]
.LBB1_13:
	s_or_b64 exec, exec, s[38:39]
	v_or_b32_e32 v68, 0x100, v47
	v_mov_b32_e32 v39, 0
	v_mov_b32_e32 v40, 0
	v_cmp_gt_i32_e32 vcc, s27, v68
	s_and_saveexec_b64 s[38:39], vcc
	s_cbranch_execz .LBB1_15
; %bb.14:
	s_getpc_b64 s[4:5]
	s_add_u32 s4, s4, _ZZZZN2at6native16asin_kernel_cudaERNS_18TensorIteratorBaseEENKUlvE_clEvENKUlvE_clEvENKUlN3c107complexIdEEE_clES7_@rel32@lo+4
	s_addc_u32 s5, s5, _ZZZZN2at6native16asin_kernel_cudaERNS_18TensorIteratorBaseEENKUlvE_clEvENKUlvE_clEvENKUlN3c107complexIdEEE_clES7_@rel32@hi+12
	s_waitcnt vmcnt(0)
	v_mov_b32_e32 v0, v50
	v_mov_b32_e32 v1, v51
	;; [unrolled: 1-line block ×4, first 2 shown]
	s_swappc_b64 s[30:31], s[4:5]
	v_mov_b32_e32 v39, v0
	v_mov_b32_e32 v40, v1
	;; [unrolled: 1-line block ×4, first 2 shown]
.LBB1_15:
	s_or_b64 exec, exec, s[38:39]
	s_waitcnt vmcnt(0)
	v_or_b32_e32 v0, 0x200, v47
	v_mov_b32_e32 v52, 0
	v_mov_b32_e32 v64, 0
	;; [unrolled: 1-line block ×6, first 2 shown]
	v_cmp_gt_i32_e32 vcc, s27, v0
	s_and_saveexec_b64 s[38:39], vcc
	s_cbranch_execz .LBB1_17
; %bb.16:
	s_getpc_b64 s[4:5]
	s_add_u32 s4, s4, _ZZZZN2at6native16asin_kernel_cudaERNS_18TensorIteratorBaseEENKUlvE_clEvENKUlvE_clEvENKUlN3c107complexIdEEE_clES7_@rel32@lo+4
	s_addc_u32 s5, s5, _ZZZZN2at6native16asin_kernel_cudaERNS_18TensorIteratorBaseEENKUlvE_clEvENKUlvE_clEvENKUlN3c107complexIdEEE_clES7_@rel32@hi+12
	v_mov_b32_e32 v0, v58
	v_mov_b32_e32 v1, v59
	;; [unrolled: 1-line block ×4, first 2 shown]
	s_swappc_b64 s[30:31], s[4:5]
	v_mov_b32_e32 v62, v0
	v_mov_b32_e32 v63, v1
	;; [unrolled: 1-line block ×4, first 2 shown]
.LBB1_17:
	s_or_b64 exec, exec, s[38:39]
	v_or_b32_e32 v0, 0x300, v47
	v_mov_b32_e32 v50, 0
	v_mov_b32_e32 v51, 0
	v_cmp_gt_i32_e32 vcc, s27, v0
	s_and_saveexec_b64 s[38:39], vcc
	s_cbranch_execnz .LBB1_24
; %bb.18:
	s_or_b64 exec, exec, s[38:39]
	s_and_saveexec_b64 s[4:5], s[34:35]
	s_xor_b64 s[4:5], exec, s[4:5]
	s_cbranch_execnz .LBB1_25
.LBB1_19:
	s_or_b64 exec, exec, s[4:5]
	v_cmp_gt_i32_e32 vcc, s27, v47
	s_and_saveexec_b64 s[4:5], vcc
	s_cbranch_execnz .LBB1_26
.LBB1_20:
	s_or_b64 exec, exec, s[4:5]
	v_cmp_gt_i32_e32 vcc, s27, v47
	s_and_saveexec_b64 s[4:5], vcc
	s_cbranch_execnz .LBB1_27
.LBB1_21:
	s_or_b64 exec, exec, s[4:5]
	v_cmp_gt_i32_e32 vcc, s27, v47
	s_and_saveexec_b64 s[4:5], vcc
	s_cbranch_execz .LBB1_23
.LBB1_22:
	v_add_u32_e32 v0, s42, v47
	v_mov_b32_e32 v1, 0
	v_lshlrev_b64 v[0:1], 4, v[0:1]
	v_mov_b32_e32 v2, s37
	v_add_co_u32_e32 v0, vcc, s36, v0
	v_addc_co_u32_e32 v1, vcc, v2, v1, vcc
	global_store_dwordx4 v[0:1], v[50:53], off
.LBB1_23:
	s_endpgm
.LBB1_24:
	s_getpc_b64 s[4:5]
	s_add_u32 s4, s4, _ZZZZN2at6native16asin_kernel_cudaERNS_18TensorIteratorBaseEENKUlvE_clEvENKUlvE_clEvENKUlN3c107complexIdEEE_clES7_@rel32@lo+4
	s_addc_u32 s5, s5, _ZZZZN2at6native16asin_kernel_cudaERNS_18TensorIteratorBaseEENKUlvE_clEvENKUlvE_clEvENKUlN3c107complexIdEEE_clES7_@rel32@hi+12
	v_mov_b32_e32 v0, v43
	v_mov_b32_e32 v1, v44
	;; [unrolled: 1-line block ×4, first 2 shown]
	s_swappc_b64 s[30:31], s[4:5]
	v_mov_b32_e32 v50, v0
	v_mov_b32_e32 v51, v1
	;; [unrolled: 1-line block ×4, first 2 shown]
	s_or_b64 exec, exec, s[38:39]
	s_and_saveexec_b64 s[4:5], s[34:35]
	s_xor_b64 s[4:5], exec, s[4:5]
	s_cbranch_execz .LBB1_19
.LBB1_25:
	v_mov_b32_e32 v67, 0
	v_lshlrev_b64 v[0:1], 4, v[66:67]
	v_mov_b32_e32 v2, s37
	v_add_co_u32_e32 v0, vcc, s36, v0
	v_addc_co_u32_e32 v1, vcc, v2, v1, vcc
	v_mov_b32_e32 v47, v68
	global_store_dwordx4 v[0:1], v[54:57], off
	s_or_b64 exec, exec, s[4:5]
	v_cmp_gt_i32_e32 vcc, s27, v47
	s_and_saveexec_b64 s[4:5], vcc
	s_cbranch_execz .LBB1_20
.LBB1_26:
	v_add_u32_e32 v0, s42, v47
	v_mov_b32_e32 v1, 0
	v_lshlrev_b64 v[0:1], 4, v[0:1]
	v_mov_b32_e32 v2, s37
	v_add_co_u32_e32 v0, vcc, s36, v0
	v_addc_co_u32_e32 v1, vcc, v2, v1, vcc
	v_add_u32_e32 v47, 0x100, v47
	global_store_dwordx4 v[0:1], v[39:42], off
	s_or_b64 exec, exec, s[4:5]
	v_cmp_gt_i32_e32 vcc, s27, v47
	s_and_saveexec_b64 s[4:5], vcc
	s_cbranch_execz .LBB1_21
.LBB1_27:
	v_add_u32_e32 v0, s42, v47
	v_mov_b32_e32 v1, 0
	v_lshlrev_b64 v[0:1], 4, v[0:1]
	v_mov_b32_e32 v2, s37
	v_add_co_u32_e32 v0, vcc, s36, v0
	v_addc_co_u32_e32 v1, vcc, v2, v1, vcc
	v_add_u32_e32 v47, 0x100, v47
	global_store_dwordx4 v[0:1], v[62:65], off
	s_or_b64 exec, exec, s[4:5]
	v_cmp_gt_i32_e32 vcc, s27, v47
	s_and_saveexec_b64 s[4:5], vcc
	s_cbranch_execnz .LBB1_22
	s_branch .LBB1_23
	.section	.rodata,"a",@progbits
	.p2align	6, 0x0
	.amdhsa_kernel _ZN2at6native29vectorized_elementwise_kernelILi16EZZZNS0_16asin_kernel_cudaERNS_18TensorIteratorBaseEENKUlvE_clEvENKUlvE_clEvEUlN3c107complexIdEEE_St5arrayIPcLm2EEEEviT0_T1_
		.amdhsa_group_segment_fixed_size 0
		.amdhsa_private_segment_fixed_size 12
		.amdhsa_kernarg_size 24
		.amdhsa_user_sgpr_count 8
		.amdhsa_user_sgpr_private_segment_buffer 1
		.amdhsa_user_sgpr_dispatch_ptr 0
		.amdhsa_user_sgpr_queue_ptr 0
		.amdhsa_user_sgpr_kernarg_segment_ptr 1
		.amdhsa_user_sgpr_dispatch_id 0
		.amdhsa_user_sgpr_flat_scratch_init 1
		.amdhsa_user_sgpr_private_segment_size 0
		.amdhsa_uses_dynamic_stack 0
		.amdhsa_system_sgpr_private_segment_wavefront_offset 1
		.amdhsa_system_sgpr_workgroup_id_x 1
		.amdhsa_system_sgpr_workgroup_id_y 0
		.amdhsa_system_sgpr_workgroup_id_z 0
		.amdhsa_system_sgpr_workgroup_info 0
		.amdhsa_system_vgpr_workitem_id 0
		.amdhsa_next_free_vgpr 69
		.amdhsa_next_free_sgpr 46
		.amdhsa_reserve_vcc 1
		.amdhsa_reserve_flat_scratch 1
		.amdhsa_float_round_mode_32 0
		.amdhsa_float_round_mode_16_64 0
		.amdhsa_float_denorm_mode_32 3
		.amdhsa_float_denorm_mode_16_64 3
		.amdhsa_dx10_clamp 1
		.amdhsa_ieee_mode 1
		.amdhsa_fp16_overflow 0
		.amdhsa_exception_fp_ieee_invalid_op 0
		.amdhsa_exception_fp_denorm_src 0
		.amdhsa_exception_fp_ieee_div_zero 0
		.amdhsa_exception_fp_ieee_overflow 0
		.amdhsa_exception_fp_ieee_underflow 0
		.amdhsa_exception_fp_ieee_inexact 0
		.amdhsa_exception_int_div_zero 0
	.end_amdhsa_kernel
	.section	.text._ZN2at6native29vectorized_elementwise_kernelILi16EZZZNS0_16asin_kernel_cudaERNS_18TensorIteratorBaseEENKUlvE_clEvENKUlvE_clEvEUlN3c107complexIdEEE_St5arrayIPcLm2EEEEviT0_T1_,"axG",@progbits,_ZN2at6native29vectorized_elementwise_kernelILi16EZZZNS0_16asin_kernel_cudaERNS_18TensorIteratorBaseEENKUlvE_clEvENKUlvE_clEvEUlN3c107complexIdEEE_St5arrayIPcLm2EEEEviT0_T1_,comdat
.Lfunc_end1:
	.size	_ZN2at6native29vectorized_elementwise_kernelILi16EZZZNS0_16asin_kernel_cudaERNS_18TensorIteratorBaseEENKUlvE_clEvENKUlvE_clEvEUlN3c107complexIdEEE_St5arrayIPcLm2EEEEviT0_T1_, .Lfunc_end1-_ZN2at6native29vectorized_elementwise_kernelILi16EZZZNS0_16asin_kernel_cudaERNS_18TensorIteratorBaseEENKUlvE_clEvENKUlvE_clEvEUlN3c107complexIdEEE_St5arrayIPcLm2EEEEviT0_T1_
                                        ; -- End function
	.set _ZN2at6native29vectorized_elementwise_kernelILi16EZZZNS0_16asin_kernel_cudaERNS_18TensorIteratorBaseEENKUlvE_clEvENKUlvE_clEvEUlN3c107complexIdEEE_St5arrayIPcLm2EEEEviT0_T1_.num_vgpr, max(69, .L_ZZZZN2at6native16asin_kernel_cudaERNS_18TensorIteratorBaseEENKUlvE_clEvENKUlvE_clEvENKUlN3c107complexIdEEE_clES7_.num_vgpr)
	.set _ZN2at6native29vectorized_elementwise_kernelILi16EZZZNS0_16asin_kernel_cudaERNS_18TensorIteratorBaseEENKUlvE_clEvENKUlvE_clEvEUlN3c107complexIdEEE_St5arrayIPcLm2EEEEviT0_T1_.num_agpr, max(0, .L_ZZZZN2at6native16asin_kernel_cudaERNS_18TensorIteratorBaseEENKUlvE_clEvENKUlvE_clEvENKUlN3c107complexIdEEE_clES7_.num_agpr)
	.set _ZN2at6native29vectorized_elementwise_kernelILi16EZZZNS0_16asin_kernel_cudaERNS_18TensorIteratorBaseEENKUlvE_clEvENKUlvE_clEvEUlN3c107complexIdEEE_St5arrayIPcLm2EEEEviT0_T1_.numbered_sgpr, max(46, .L_ZZZZN2at6native16asin_kernel_cudaERNS_18TensorIteratorBaseEENKUlvE_clEvENKUlvE_clEvENKUlN3c107complexIdEEE_clES7_.numbered_sgpr)
	.set _ZN2at6native29vectorized_elementwise_kernelILi16EZZZNS0_16asin_kernel_cudaERNS_18TensorIteratorBaseEENKUlvE_clEvENKUlvE_clEvEUlN3c107complexIdEEE_St5arrayIPcLm2EEEEviT0_T1_.num_named_barrier, max(0, .L_ZZZZN2at6native16asin_kernel_cudaERNS_18TensorIteratorBaseEENKUlvE_clEvENKUlvE_clEvENKUlN3c107complexIdEEE_clES7_.num_named_barrier)
	.set _ZN2at6native29vectorized_elementwise_kernelILi16EZZZNS0_16asin_kernel_cudaERNS_18TensorIteratorBaseEENKUlvE_clEvENKUlvE_clEvEUlN3c107complexIdEEE_St5arrayIPcLm2EEEEviT0_T1_.private_seg_size, 0+max(.L_ZZZZN2at6native16asin_kernel_cudaERNS_18TensorIteratorBaseEENKUlvE_clEvENKUlvE_clEvENKUlN3c107complexIdEEE_clES7_.private_seg_size)
	.set _ZN2at6native29vectorized_elementwise_kernelILi16EZZZNS0_16asin_kernel_cudaERNS_18TensorIteratorBaseEENKUlvE_clEvENKUlvE_clEvEUlN3c107complexIdEEE_St5arrayIPcLm2EEEEviT0_T1_.uses_vcc, or(1, .L_ZZZZN2at6native16asin_kernel_cudaERNS_18TensorIteratorBaseEENKUlvE_clEvENKUlvE_clEvENKUlN3c107complexIdEEE_clES7_.uses_vcc)
	.set _ZN2at6native29vectorized_elementwise_kernelILi16EZZZNS0_16asin_kernel_cudaERNS_18TensorIteratorBaseEENKUlvE_clEvENKUlvE_clEvEUlN3c107complexIdEEE_St5arrayIPcLm2EEEEviT0_T1_.uses_flat_scratch, or(1, .L_ZZZZN2at6native16asin_kernel_cudaERNS_18TensorIteratorBaseEENKUlvE_clEvENKUlvE_clEvENKUlN3c107complexIdEEE_clES7_.uses_flat_scratch)
	.set _ZN2at6native29vectorized_elementwise_kernelILi16EZZZNS0_16asin_kernel_cudaERNS_18TensorIteratorBaseEENKUlvE_clEvENKUlvE_clEvEUlN3c107complexIdEEE_St5arrayIPcLm2EEEEviT0_T1_.has_dyn_sized_stack, or(0, .L_ZZZZN2at6native16asin_kernel_cudaERNS_18TensorIteratorBaseEENKUlvE_clEvENKUlvE_clEvENKUlN3c107complexIdEEE_clES7_.has_dyn_sized_stack)
	.set _ZN2at6native29vectorized_elementwise_kernelILi16EZZZNS0_16asin_kernel_cudaERNS_18TensorIteratorBaseEENKUlvE_clEvENKUlvE_clEvEUlN3c107complexIdEEE_St5arrayIPcLm2EEEEviT0_T1_.has_recursion, or(0, .L_ZZZZN2at6native16asin_kernel_cudaERNS_18TensorIteratorBaseEENKUlvE_clEvENKUlvE_clEvENKUlN3c107complexIdEEE_clES7_.has_recursion)
	.set _ZN2at6native29vectorized_elementwise_kernelILi16EZZZNS0_16asin_kernel_cudaERNS_18TensorIteratorBaseEENKUlvE_clEvENKUlvE_clEvEUlN3c107complexIdEEE_St5arrayIPcLm2EEEEviT0_T1_.has_indirect_call, or(0, .L_ZZZZN2at6native16asin_kernel_cudaERNS_18TensorIteratorBaseEENKUlvE_clEvENKUlvE_clEvENKUlN3c107complexIdEEE_clES7_.has_indirect_call)
	.section	.AMDGPU.csdata,"",@progbits
; Kernel info:
; codeLenInByte = 1260
; TotalNumSgprs: 52
; NumVgprs: 69
; ScratchSize: 12
; MemoryBound: 0
; FloatMode: 240
; IeeeMode: 1
; LDSByteSize: 0 bytes/workgroup (compile time only)
; SGPRBlocks: 6
; VGPRBlocks: 17
; NumSGPRsForWavesPerEU: 52
; NumVGPRsForWavesPerEU: 69
; Occupancy: 3
; WaveLimiterHint : 0
; COMPUTE_PGM_RSRC2:SCRATCH_EN: 1
; COMPUTE_PGM_RSRC2:USER_SGPR: 8
; COMPUTE_PGM_RSRC2:TRAP_HANDLER: 0
; COMPUTE_PGM_RSRC2:TGID_X_EN: 1
; COMPUTE_PGM_RSRC2:TGID_Y_EN: 0
; COMPUTE_PGM_RSRC2:TGID_Z_EN: 0
; COMPUTE_PGM_RSRC2:TIDIG_COMP_CNT: 0
	.section	.text._ZN2at6native29vectorized_elementwise_kernelILi8EZZZNS0_16asin_kernel_cudaERNS_18TensorIteratorBaseEENKUlvE_clEvENKUlvE_clEvEUlN3c107complexIdEEE_St5arrayIPcLm2EEEEviT0_T1_,"axG",@progbits,_ZN2at6native29vectorized_elementwise_kernelILi8EZZZNS0_16asin_kernel_cudaERNS_18TensorIteratorBaseEENKUlvE_clEvENKUlvE_clEvEUlN3c107complexIdEEE_St5arrayIPcLm2EEEEviT0_T1_,comdat
	.globl	_ZN2at6native29vectorized_elementwise_kernelILi8EZZZNS0_16asin_kernel_cudaERNS_18TensorIteratorBaseEENKUlvE_clEvENKUlvE_clEvEUlN3c107complexIdEEE_St5arrayIPcLm2EEEEviT0_T1_ ; -- Begin function _ZN2at6native29vectorized_elementwise_kernelILi8EZZZNS0_16asin_kernel_cudaERNS_18TensorIteratorBaseEENKUlvE_clEvENKUlvE_clEvEUlN3c107complexIdEEE_St5arrayIPcLm2EEEEviT0_T1_
	.p2align	8
	.type	_ZN2at6native29vectorized_elementwise_kernelILi8EZZZNS0_16asin_kernel_cudaERNS_18TensorIteratorBaseEENKUlvE_clEvENKUlvE_clEvEUlN3c107complexIdEEE_St5arrayIPcLm2EEEEviT0_T1_,@function
_ZN2at6native29vectorized_elementwise_kernelILi8EZZZNS0_16asin_kernel_cudaERNS_18TensorIteratorBaseEENKUlvE_clEvENKUlvE_clEvEUlN3c107complexIdEEE_St5arrayIPcLm2EEEEviT0_T1_: ; @_ZN2at6native29vectorized_elementwise_kernelILi8EZZZNS0_16asin_kernel_cudaERNS_18TensorIteratorBaseEENKUlvE_clEvENKUlvE_clEvEUlN3c107complexIdEEE_St5arrayIPcLm2EEEEviT0_T1_
; %bb.0:
	s_add_u32 flat_scratch_lo, s6, s9
	s_load_dword s6, s[4:5], 0x0
	s_load_dwordx4 s[36:39], s[4:5], 0x8
	s_addc_u32 flat_scratch_hi, s7, 0
	s_add_u32 s0, s0, s9
	s_addc_u32 s1, s1, 0
	s_lshl_b32 s42, s8, 10
	s_waitcnt lgkmcnt(0)
	s_sub_i32 s27, s6, s42
	v_mov_b32_e32 v47, v0
	s_cmpk_gt_i32 s27, 0x3ff
	s_mov_b64 s[4:5], -1
	s_mov_b32 s32, 0
	s_cbranch_scc0 .LBB2_2
; %bb.1:
	s_ashr_i32 s43, s42, 31
	s_lshl_b64 s[34:35], s[42:43], 4
	s_add_u32 s4, s38, s34
	s_addc_u32 s5, s39, s35
	v_lshlrev_b32_e32 v58, 6, v47
	global_load_dwordx4 v[0:3], v58, s[4:5]
	global_load_dwordx4 v[39:42], v58, s[4:5] offset:16
	global_load_dwordx4 v[43:46], v58, s[4:5] offset:48
	;; [unrolled: 1-line block ×3, first 2 shown]
	s_getpc_b64 s[44:45]
	s_add_u32 s44, s44, _ZZZZN2at6native16asin_kernel_cudaERNS_18TensorIteratorBaseEENKUlvE_clEvENKUlvE_clEvENKUlN3c107complexIdEEE_clES7_@rel32@lo+4
	s_addc_u32 s45, s45, _ZZZZN2at6native16asin_kernel_cudaERNS_18TensorIteratorBaseEENKUlvE_clEvENKUlvE_clEvENKUlN3c107complexIdEEE_clES7_@rel32@hi+12
	s_swappc_b64 s[30:31], s[44:45]
	v_mov_b32_e32 v54, v0
	v_mov_b32_e32 v55, v1
	v_mov_b32_e32 v56, v2
	v_mov_b32_e32 v57, v3
	v_mov_b32_e32 v0, v39
	v_mov_b32_e32 v1, v40
	v_mov_b32_e32 v2, v41
	v_mov_b32_e32 v3, v42
	s_swappc_b64 s[30:31], s[44:45]
	v_mov_b32_e32 v39, v0
	v_mov_b32_e32 v40, v1
	v_mov_b32_e32 v41, v2
	v_mov_b32_e32 v42, v3
	v_mov_b32_e32 v0, v50
	v_mov_b32_e32 v1, v51
	v_mov_b32_e32 v2, v52
	v_mov_b32_e32 v3, v53
	;; [unrolled: 9-line block ×3, first 2 shown]
	s_swappc_b64 s[30:31], s[44:45]
	s_add_u32 s4, s36, s34
	s_addc_u32 s5, s37, s35
	global_store_dwordx4 v58, v[54:57], s[4:5]
	global_store_dwordx4 v58, v[39:42], s[4:5] offset:16
	global_store_dwordx4 v58, v[50:53], s[4:5] offset:32
	;; [unrolled: 1-line block ×3, first 2 shown]
	s_mov_b64 s[4:5], 0
.LBB2_2:
	s_andn2_b64 vcc, exec, s[4:5]
	s_cbranch_vccnz .LBB2_23
; %bb.3:
	v_mov_b32_e32 v50, 0
	v_mov_b32_e32 v0, 0
	;; [unrolled: 1-line block ×3, first 2 shown]
	v_cmp_gt_i32_e64 s[34:35], s27, v47
	v_mov_b32_e32 v51, 0
	v_or_b32_e32 v66, s42, v47
	v_mov_b32_e32 v1, 0
	v_mov_b32_e32 v3, 0
	;; [unrolled: 1-line block ×3, first 2 shown]
	s_and_saveexec_b64 s[4:5], s[34:35]
	s_cbranch_execz .LBB2_5
; %bb.4:
	v_mov_b32_e32 v67, 0
	v_lshlrev_b64 v[0:1], 4, v[66:67]
	v_mov_b32_e32 v2, s39
	v_add_co_u32_e32 v0, vcc, s38, v0
	v_addc_co_u32_e32 v1, vcc, v2, v1, vcc
	global_load_dwordx4 v[0:3], v[0:1], off
	v_or_b32_e32 v4, 0x100, v47
.LBB2_5:
	s_or_b64 exec, exec, s[4:5]
	v_mov_b32_e32 v52, 0
	v_mov_b32_e32 v53, 0
	v_cmp_gt_i32_e32 vcc, s27, v4
	s_and_saveexec_b64 s[4:5], vcc
	s_cbranch_execz .LBB2_7
; %bb.6:
	v_add_u32_e32 v5, s42, v4
	v_mov_b32_e32 v6, 0
	v_lshlrev_b64 v[5:6], 4, v[5:6]
	v_mov_b32_e32 v7, s39
	v_add_co_u32_e32 v5, vcc, s38, v5
	v_addc_co_u32_e32 v6, vcc, v7, v6, vcc
	global_load_dwordx4 v[50:53], v[5:6], off
	v_add_u32_e32 v4, 0x100, v4
.LBB2_7:
	s_or_b64 exec, exec, s[4:5]
	v_mov_b32_e32 v43, 0
	v_mov_b32_e32 v58, 0
	;; [unrolled: 1-line block ×6, first 2 shown]
	v_cmp_gt_i32_e32 vcc, s27, v4
	s_and_saveexec_b64 s[4:5], vcc
	s_cbranch_execz .LBB2_9
; %bb.8:
	v_add_u32_e32 v5, s42, v4
	v_mov_b32_e32 v6, 0
	v_lshlrev_b64 v[5:6], 4, v[5:6]
	v_mov_b32_e32 v7, s39
	v_add_co_u32_e32 v5, vcc, s38, v5
	v_addc_co_u32_e32 v6, vcc, v7, v6, vcc
	global_load_dwordx4 v[58:61], v[5:6], off
	v_add_u32_e32 v4, 0x100, v4
.LBB2_9:
	s_or_b64 exec, exec, s[4:5]
	v_mov_b32_e32 v45, 0
	v_mov_b32_e32 v46, 0
	v_cmp_gt_i32_e32 vcc, s27, v4
	s_and_saveexec_b64 s[4:5], vcc
	s_cbranch_execz .LBB2_11
; %bb.10:
	v_add_u32_e32 v4, s42, v4
	v_mov_b32_e32 v5, 0
	v_lshlrev_b64 v[4:5], 4, v[4:5]
	v_mov_b32_e32 v6, s39
	v_add_co_u32_e32 v4, vcc, s38, v4
	v_addc_co_u32_e32 v5, vcc, v6, v5, vcc
	global_load_dwordx4 v[43:46], v[4:5], off
.LBB2_11:
	s_or_b64 exec, exec, s[4:5]
	v_mov_b32_e32 v41, 0
	v_mov_b32_e32 v56, 0
	;; [unrolled: 1-line block ×6, first 2 shown]
	s_and_saveexec_b64 s[38:39], s[34:35]
	s_cbranch_execz .LBB2_13
; %bb.12:
	s_getpc_b64 s[4:5]
	s_add_u32 s4, s4, _ZZZZN2at6native16asin_kernel_cudaERNS_18TensorIteratorBaseEENKUlvE_clEvENKUlvE_clEvENKUlN3c107complexIdEEE_clES7_@rel32@lo+4
	s_addc_u32 s5, s5, _ZZZZN2at6native16asin_kernel_cudaERNS_18TensorIteratorBaseEENKUlvE_clEvENKUlvE_clEvENKUlN3c107complexIdEEE_clES7_@rel32@hi+12
	s_swappc_b64 s[30:31], s[4:5]
	v_mov_b32_e32 v54, v0
	v_mov_b32_e32 v55, v1
	;; [unrolled: 1-line block ×4, first 2 shown]
.LBB2_13:
	s_or_b64 exec, exec, s[38:39]
	v_or_b32_e32 v68, 0x100, v47
	v_mov_b32_e32 v39, 0
	v_mov_b32_e32 v40, 0
	v_cmp_gt_i32_e32 vcc, s27, v68
	s_and_saveexec_b64 s[38:39], vcc
	s_cbranch_execz .LBB2_15
; %bb.14:
	s_getpc_b64 s[4:5]
	s_add_u32 s4, s4, _ZZZZN2at6native16asin_kernel_cudaERNS_18TensorIteratorBaseEENKUlvE_clEvENKUlvE_clEvENKUlN3c107complexIdEEE_clES7_@rel32@lo+4
	s_addc_u32 s5, s5, _ZZZZN2at6native16asin_kernel_cudaERNS_18TensorIteratorBaseEENKUlvE_clEvENKUlvE_clEvENKUlN3c107complexIdEEE_clES7_@rel32@hi+12
	s_waitcnt vmcnt(0)
	v_mov_b32_e32 v0, v50
	v_mov_b32_e32 v1, v51
	;; [unrolled: 1-line block ×4, first 2 shown]
	s_swappc_b64 s[30:31], s[4:5]
	v_mov_b32_e32 v39, v0
	v_mov_b32_e32 v40, v1
	v_mov_b32_e32 v41, v2
	v_mov_b32_e32 v42, v3
.LBB2_15:
	s_or_b64 exec, exec, s[38:39]
	s_waitcnt vmcnt(0)
	v_or_b32_e32 v0, 0x200, v47
	v_mov_b32_e32 v52, 0
	v_mov_b32_e32 v64, 0
	;; [unrolled: 1-line block ×6, first 2 shown]
	v_cmp_gt_i32_e32 vcc, s27, v0
	s_and_saveexec_b64 s[38:39], vcc
	s_cbranch_execz .LBB2_17
; %bb.16:
	s_getpc_b64 s[4:5]
	s_add_u32 s4, s4, _ZZZZN2at6native16asin_kernel_cudaERNS_18TensorIteratorBaseEENKUlvE_clEvENKUlvE_clEvENKUlN3c107complexIdEEE_clES7_@rel32@lo+4
	s_addc_u32 s5, s5, _ZZZZN2at6native16asin_kernel_cudaERNS_18TensorIteratorBaseEENKUlvE_clEvENKUlvE_clEvENKUlN3c107complexIdEEE_clES7_@rel32@hi+12
	v_mov_b32_e32 v0, v58
	v_mov_b32_e32 v1, v59
	;; [unrolled: 1-line block ×4, first 2 shown]
	s_swappc_b64 s[30:31], s[4:5]
	v_mov_b32_e32 v62, v0
	v_mov_b32_e32 v63, v1
	;; [unrolled: 1-line block ×4, first 2 shown]
.LBB2_17:
	s_or_b64 exec, exec, s[38:39]
	v_or_b32_e32 v0, 0x300, v47
	v_mov_b32_e32 v50, 0
	v_mov_b32_e32 v51, 0
	v_cmp_gt_i32_e32 vcc, s27, v0
	s_and_saveexec_b64 s[38:39], vcc
	s_cbranch_execnz .LBB2_24
; %bb.18:
	s_or_b64 exec, exec, s[38:39]
	s_and_saveexec_b64 s[4:5], s[34:35]
	s_xor_b64 s[4:5], exec, s[4:5]
	s_cbranch_execnz .LBB2_25
.LBB2_19:
	s_or_b64 exec, exec, s[4:5]
	v_cmp_gt_i32_e32 vcc, s27, v47
	s_and_saveexec_b64 s[4:5], vcc
	s_cbranch_execnz .LBB2_26
.LBB2_20:
	s_or_b64 exec, exec, s[4:5]
	v_cmp_gt_i32_e32 vcc, s27, v47
	s_and_saveexec_b64 s[4:5], vcc
	s_cbranch_execnz .LBB2_27
.LBB2_21:
	s_or_b64 exec, exec, s[4:5]
	v_cmp_gt_i32_e32 vcc, s27, v47
	s_and_saveexec_b64 s[4:5], vcc
	s_cbranch_execz .LBB2_23
.LBB2_22:
	v_add_u32_e32 v0, s42, v47
	v_mov_b32_e32 v1, 0
	v_lshlrev_b64 v[0:1], 4, v[0:1]
	v_mov_b32_e32 v2, s37
	v_add_co_u32_e32 v0, vcc, s36, v0
	v_addc_co_u32_e32 v1, vcc, v2, v1, vcc
	global_store_dwordx4 v[0:1], v[50:53], off
.LBB2_23:
	s_endpgm
.LBB2_24:
	s_getpc_b64 s[4:5]
	s_add_u32 s4, s4, _ZZZZN2at6native16asin_kernel_cudaERNS_18TensorIteratorBaseEENKUlvE_clEvENKUlvE_clEvENKUlN3c107complexIdEEE_clES7_@rel32@lo+4
	s_addc_u32 s5, s5, _ZZZZN2at6native16asin_kernel_cudaERNS_18TensorIteratorBaseEENKUlvE_clEvENKUlvE_clEvENKUlN3c107complexIdEEE_clES7_@rel32@hi+12
	v_mov_b32_e32 v0, v43
	v_mov_b32_e32 v1, v44
	;; [unrolled: 1-line block ×4, first 2 shown]
	s_swappc_b64 s[30:31], s[4:5]
	v_mov_b32_e32 v50, v0
	v_mov_b32_e32 v51, v1
	;; [unrolled: 1-line block ×4, first 2 shown]
	s_or_b64 exec, exec, s[38:39]
	s_and_saveexec_b64 s[4:5], s[34:35]
	s_xor_b64 s[4:5], exec, s[4:5]
	s_cbranch_execz .LBB2_19
.LBB2_25:
	v_mov_b32_e32 v67, 0
	v_lshlrev_b64 v[0:1], 4, v[66:67]
	v_mov_b32_e32 v2, s37
	v_add_co_u32_e32 v0, vcc, s36, v0
	v_addc_co_u32_e32 v1, vcc, v2, v1, vcc
	v_mov_b32_e32 v47, v68
	global_store_dwordx4 v[0:1], v[54:57], off
	s_or_b64 exec, exec, s[4:5]
	v_cmp_gt_i32_e32 vcc, s27, v47
	s_and_saveexec_b64 s[4:5], vcc
	s_cbranch_execz .LBB2_20
.LBB2_26:
	v_add_u32_e32 v0, s42, v47
	v_mov_b32_e32 v1, 0
	v_lshlrev_b64 v[0:1], 4, v[0:1]
	v_mov_b32_e32 v2, s37
	v_add_co_u32_e32 v0, vcc, s36, v0
	v_addc_co_u32_e32 v1, vcc, v2, v1, vcc
	v_add_u32_e32 v47, 0x100, v47
	global_store_dwordx4 v[0:1], v[39:42], off
	s_or_b64 exec, exec, s[4:5]
	v_cmp_gt_i32_e32 vcc, s27, v47
	s_and_saveexec_b64 s[4:5], vcc
	s_cbranch_execz .LBB2_21
.LBB2_27:
	v_add_u32_e32 v0, s42, v47
	v_mov_b32_e32 v1, 0
	v_lshlrev_b64 v[0:1], 4, v[0:1]
	v_mov_b32_e32 v2, s37
	v_add_co_u32_e32 v0, vcc, s36, v0
	v_addc_co_u32_e32 v1, vcc, v2, v1, vcc
	v_add_u32_e32 v47, 0x100, v47
	global_store_dwordx4 v[0:1], v[62:65], off
	s_or_b64 exec, exec, s[4:5]
	v_cmp_gt_i32_e32 vcc, s27, v47
	s_and_saveexec_b64 s[4:5], vcc
	s_cbranch_execnz .LBB2_22
	s_branch .LBB2_23
	.section	.rodata,"a",@progbits
	.p2align	6, 0x0
	.amdhsa_kernel _ZN2at6native29vectorized_elementwise_kernelILi8EZZZNS0_16asin_kernel_cudaERNS_18TensorIteratorBaseEENKUlvE_clEvENKUlvE_clEvEUlN3c107complexIdEEE_St5arrayIPcLm2EEEEviT0_T1_
		.amdhsa_group_segment_fixed_size 0
		.amdhsa_private_segment_fixed_size 12
		.amdhsa_kernarg_size 24
		.amdhsa_user_sgpr_count 8
		.amdhsa_user_sgpr_private_segment_buffer 1
		.amdhsa_user_sgpr_dispatch_ptr 0
		.amdhsa_user_sgpr_queue_ptr 0
		.amdhsa_user_sgpr_kernarg_segment_ptr 1
		.amdhsa_user_sgpr_dispatch_id 0
		.amdhsa_user_sgpr_flat_scratch_init 1
		.amdhsa_user_sgpr_private_segment_size 0
		.amdhsa_uses_dynamic_stack 0
		.amdhsa_system_sgpr_private_segment_wavefront_offset 1
		.amdhsa_system_sgpr_workgroup_id_x 1
		.amdhsa_system_sgpr_workgroup_id_y 0
		.amdhsa_system_sgpr_workgroup_id_z 0
		.amdhsa_system_sgpr_workgroup_info 0
		.amdhsa_system_vgpr_workitem_id 0
		.amdhsa_next_free_vgpr 69
		.amdhsa_next_free_sgpr 46
		.amdhsa_reserve_vcc 1
		.amdhsa_reserve_flat_scratch 1
		.amdhsa_float_round_mode_32 0
		.amdhsa_float_round_mode_16_64 0
		.amdhsa_float_denorm_mode_32 3
		.amdhsa_float_denorm_mode_16_64 3
		.amdhsa_dx10_clamp 1
		.amdhsa_ieee_mode 1
		.amdhsa_fp16_overflow 0
		.amdhsa_exception_fp_ieee_invalid_op 0
		.amdhsa_exception_fp_denorm_src 0
		.amdhsa_exception_fp_ieee_div_zero 0
		.amdhsa_exception_fp_ieee_overflow 0
		.amdhsa_exception_fp_ieee_underflow 0
		.amdhsa_exception_fp_ieee_inexact 0
		.amdhsa_exception_int_div_zero 0
	.end_amdhsa_kernel
	.section	.text._ZN2at6native29vectorized_elementwise_kernelILi8EZZZNS0_16asin_kernel_cudaERNS_18TensorIteratorBaseEENKUlvE_clEvENKUlvE_clEvEUlN3c107complexIdEEE_St5arrayIPcLm2EEEEviT0_T1_,"axG",@progbits,_ZN2at6native29vectorized_elementwise_kernelILi8EZZZNS0_16asin_kernel_cudaERNS_18TensorIteratorBaseEENKUlvE_clEvENKUlvE_clEvEUlN3c107complexIdEEE_St5arrayIPcLm2EEEEviT0_T1_,comdat
.Lfunc_end2:
	.size	_ZN2at6native29vectorized_elementwise_kernelILi8EZZZNS0_16asin_kernel_cudaERNS_18TensorIteratorBaseEENKUlvE_clEvENKUlvE_clEvEUlN3c107complexIdEEE_St5arrayIPcLm2EEEEviT0_T1_, .Lfunc_end2-_ZN2at6native29vectorized_elementwise_kernelILi8EZZZNS0_16asin_kernel_cudaERNS_18TensorIteratorBaseEENKUlvE_clEvENKUlvE_clEvEUlN3c107complexIdEEE_St5arrayIPcLm2EEEEviT0_T1_
                                        ; -- End function
	.set _ZN2at6native29vectorized_elementwise_kernelILi8EZZZNS0_16asin_kernel_cudaERNS_18TensorIteratorBaseEENKUlvE_clEvENKUlvE_clEvEUlN3c107complexIdEEE_St5arrayIPcLm2EEEEviT0_T1_.num_vgpr, max(69, .L_ZZZZN2at6native16asin_kernel_cudaERNS_18TensorIteratorBaseEENKUlvE_clEvENKUlvE_clEvENKUlN3c107complexIdEEE_clES7_.num_vgpr)
	.set _ZN2at6native29vectorized_elementwise_kernelILi8EZZZNS0_16asin_kernel_cudaERNS_18TensorIteratorBaseEENKUlvE_clEvENKUlvE_clEvEUlN3c107complexIdEEE_St5arrayIPcLm2EEEEviT0_T1_.num_agpr, max(0, .L_ZZZZN2at6native16asin_kernel_cudaERNS_18TensorIteratorBaseEENKUlvE_clEvENKUlvE_clEvENKUlN3c107complexIdEEE_clES7_.num_agpr)
	.set _ZN2at6native29vectorized_elementwise_kernelILi8EZZZNS0_16asin_kernel_cudaERNS_18TensorIteratorBaseEENKUlvE_clEvENKUlvE_clEvEUlN3c107complexIdEEE_St5arrayIPcLm2EEEEviT0_T1_.numbered_sgpr, max(46, .L_ZZZZN2at6native16asin_kernel_cudaERNS_18TensorIteratorBaseEENKUlvE_clEvENKUlvE_clEvENKUlN3c107complexIdEEE_clES7_.numbered_sgpr)
	.set _ZN2at6native29vectorized_elementwise_kernelILi8EZZZNS0_16asin_kernel_cudaERNS_18TensorIteratorBaseEENKUlvE_clEvENKUlvE_clEvEUlN3c107complexIdEEE_St5arrayIPcLm2EEEEviT0_T1_.num_named_barrier, max(0, .L_ZZZZN2at6native16asin_kernel_cudaERNS_18TensorIteratorBaseEENKUlvE_clEvENKUlvE_clEvENKUlN3c107complexIdEEE_clES7_.num_named_barrier)
	.set _ZN2at6native29vectorized_elementwise_kernelILi8EZZZNS0_16asin_kernel_cudaERNS_18TensorIteratorBaseEENKUlvE_clEvENKUlvE_clEvEUlN3c107complexIdEEE_St5arrayIPcLm2EEEEviT0_T1_.private_seg_size, 0+max(.L_ZZZZN2at6native16asin_kernel_cudaERNS_18TensorIteratorBaseEENKUlvE_clEvENKUlvE_clEvENKUlN3c107complexIdEEE_clES7_.private_seg_size)
	.set _ZN2at6native29vectorized_elementwise_kernelILi8EZZZNS0_16asin_kernel_cudaERNS_18TensorIteratorBaseEENKUlvE_clEvENKUlvE_clEvEUlN3c107complexIdEEE_St5arrayIPcLm2EEEEviT0_T1_.uses_vcc, or(1, .L_ZZZZN2at6native16asin_kernel_cudaERNS_18TensorIteratorBaseEENKUlvE_clEvENKUlvE_clEvENKUlN3c107complexIdEEE_clES7_.uses_vcc)
	.set _ZN2at6native29vectorized_elementwise_kernelILi8EZZZNS0_16asin_kernel_cudaERNS_18TensorIteratorBaseEENKUlvE_clEvENKUlvE_clEvEUlN3c107complexIdEEE_St5arrayIPcLm2EEEEviT0_T1_.uses_flat_scratch, or(1, .L_ZZZZN2at6native16asin_kernel_cudaERNS_18TensorIteratorBaseEENKUlvE_clEvENKUlvE_clEvENKUlN3c107complexIdEEE_clES7_.uses_flat_scratch)
	.set _ZN2at6native29vectorized_elementwise_kernelILi8EZZZNS0_16asin_kernel_cudaERNS_18TensorIteratorBaseEENKUlvE_clEvENKUlvE_clEvEUlN3c107complexIdEEE_St5arrayIPcLm2EEEEviT0_T1_.has_dyn_sized_stack, or(0, .L_ZZZZN2at6native16asin_kernel_cudaERNS_18TensorIteratorBaseEENKUlvE_clEvENKUlvE_clEvENKUlN3c107complexIdEEE_clES7_.has_dyn_sized_stack)
	.set _ZN2at6native29vectorized_elementwise_kernelILi8EZZZNS0_16asin_kernel_cudaERNS_18TensorIteratorBaseEENKUlvE_clEvENKUlvE_clEvEUlN3c107complexIdEEE_St5arrayIPcLm2EEEEviT0_T1_.has_recursion, or(0, .L_ZZZZN2at6native16asin_kernel_cudaERNS_18TensorIteratorBaseEENKUlvE_clEvENKUlvE_clEvENKUlN3c107complexIdEEE_clES7_.has_recursion)
	.set _ZN2at6native29vectorized_elementwise_kernelILi8EZZZNS0_16asin_kernel_cudaERNS_18TensorIteratorBaseEENKUlvE_clEvENKUlvE_clEvEUlN3c107complexIdEEE_St5arrayIPcLm2EEEEviT0_T1_.has_indirect_call, or(0, .L_ZZZZN2at6native16asin_kernel_cudaERNS_18TensorIteratorBaseEENKUlvE_clEvENKUlvE_clEvENKUlN3c107complexIdEEE_clES7_.has_indirect_call)
	.section	.AMDGPU.csdata,"",@progbits
; Kernel info:
; codeLenInByte = 1260
; TotalNumSgprs: 52
; NumVgprs: 69
; ScratchSize: 12
; MemoryBound: 0
; FloatMode: 240
; IeeeMode: 1
; LDSByteSize: 0 bytes/workgroup (compile time only)
; SGPRBlocks: 6
; VGPRBlocks: 17
; NumSGPRsForWavesPerEU: 52
; NumVGPRsForWavesPerEU: 69
; Occupancy: 3
; WaveLimiterHint : 0
; COMPUTE_PGM_RSRC2:SCRATCH_EN: 1
; COMPUTE_PGM_RSRC2:USER_SGPR: 8
; COMPUTE_PGM_RSRC2:TRAP_HANDLER: 0
; COMPUTE_PGM_RSRC2:TGID_X_EN: 1
; COMPUTE_PGM_RSRC2:TGID_Y_EN: 0
; COMPUTE_PGM_RSRC2:TGID_Z_EN: 0
; COMPUTE_PGM_RSRC2:TIDIG_COMP_CNT: 0
	.section	.text._ZN2at6native29vectorized_elementwise_kernelILi4EZZZNS0_16asin_kernel_cudaERNS_18TensorIteratorBaseEENKUlvE_clEvENKUlvE_clEvEUlN3c107complexIdEEE_St5arrayIPcLm2EEEEviT0_T1_,"axG",@progbits,_ZN2at6native29vectorized_elementwise_kernelILi4EZZZNS0_16asin_kernel_cudaERNS_18TensorIteratorBaseEENKUlvE_clEvENKUlvE_clEvEUlN3c107complexIdEEE_St5arrayIPcLm2EEEEviT0_T1_,comdat
	.globl	_ZN2at6native29vectorized_elementwise_kernelILi4EZZZNS0_16asin_kernel_cudaERNS_18TensorIteratorBaseEENKUlvE_clEvENKUlvE_clEvEUlN3c107complexIdEEE_St5arrayIPcLm2EEEEviT0_T1_ ; -- Begin function _ZN2at6native29vectorized_elementwise_kernelILi4EZZZNS0_16asin_kernel_cudaERNS_18TensorIteratorBaseEENKUlvE_clEvENKUlvE_clEvEUlN3c107complexIdEEE_St5arrayIPcLm2EEEEviT0_T1_
	.p2align	8
	.type	_ZN2at6native29vectorized_elementwise_kernelILi4EZZZNS0_16asin_kernel_cudaERNS_18TensorIteratorBaseEENKUlvE_clEvENKUlvE_clEvEUlN3c107complexIdEEE_St5arrayIPcLm2EEEEviT0_T1_,@function
_ZN2at6native29vectorized_elementwise_kernelILi4EZZZNS0_16asin_kernel_cudaERNS_18TensorIteratorBaseEENKUlvE_clEvENKUlvE_clEvEUlN3c107complexIdEEE_St5arrayIPcLm2EEEEviT0_T1_: ; @_ZN2at6native29vectorized_elementwise_kernelILi4EZZZNS0_16asin_kernel_cudaERNS_18TensorIteratorBaseEENKUlvE_clEvENKUlvE_clEvEUlN3c107complexIdEEE_St5arrayIPcLm2EEEEviT0_T1_
; %bb.0:
	s_add_u32 flat_scratch_lo, s6, s9
	s_load_dword s6, s[4:5], 0x0
	s_load_dwordx4 s[36:39], s[4:5], 0x8
	s_addc_u32 flat_scratch_hi, s7, 0
	s_add_u32 s0, s0, s9
	s_addc_u32 s1, s1, 0
	s_lshl_b32 s42, s8, 10
	s_waitcnt lgkmcnt(0)
	s_sub_i32 s27, s6, s42
	v_mov_b32_e32 v47, v0
	s_cmpk_gt_i32 s27, 0x3ff
	s_mov_b64 s[4:5], -1
	s_mov_b32 s32, 0
	s_cbranch_scc0 .LBB3_2
; %bb.1:
	s_ashr_i32 s43, s42, 31
	s_lshl_b64 s[34:35], s[42:43], 4
	s_add_u32 s4, s38, s34
	s_addc_u32 s5, s39, s35
	v_lshlrev_b32_e32 v58, 6, v47
	global_load_dwordx4 v[0:3], v58, s[4:5]
	global_load_dwordx4 v[39:42], v58, s[4:5] offset:16
	global_load_dwordx4 v[43:46], v58, s[4:5] offset:48
	;; [unrolled: 1-line block ×3, first 2 shown]
	s_getpc_b64 s[44:45]
	s_add_u32 s44, s44, _ZZZZN2at6native16asin_kernel_cudaERNS_18TensorIteratorBaseEENKUlvE_clEvENKUlvE_clEvENKUlN3c107complexIdEEE_clES7_@rel32@lo+4
	s_addc_u32 s45, s45, _ZZZZN2at6native16asin_kernel_cudaERNS_18TensorIteratorBaseEENKUlvE_clEvENKUlvE_clEvENKUlN3c107complexIdEEE_clES7_@rel32@hi+12
	s_swappc_b64 s[30:31], s[44:45]
	v_mov_b32_e32 v54, v0
	v_mov_b32_e32 v55, v1
	v_mov_b32_e32 v56, v2
	v_mov_b32_e32 v57, v3
	v_mov_b32_e32 v0, v39
	v_mov_b32_e32 v1, v40
	v_mov_b32_e32 v2, v41
	v_mov_b32_e32 v3, v42
	s_swappc_b64 s[30:31], s[44:45]
	v_mov_b32_e32 v39, v0
	v_mov_b32_e32 v40, v1
	v_mov_b32_e32 v41, v2
	v_mov_b32_e32 v42, v3
	v_mov_b32_e32 v0, v50
	v_mov_b32_e32 v1, v51
	v_mov_b32_e32 v2, v52
	v_mov_b32_e32 v3, v53
	;; [unrolled: 9-line block ×3, first 2 shown]
	s_swappc_b64 s[30:31], s[44:45]
	s_add_u32 s4, s36, s34
	s_addc_u32 s5, s37, s35
	global_store_dwordx4 v58, v[54:57], s[4:5]
	global_store_dwordx4 v58, v[39:42], s[4:5] offset:16
	global_store_dwordx4 v58, v[50:53], s[4:5] offset:32
	;; [unrolled: 1-line block ×3, first 2 shown]
	s_mov_b64 s[4:5], 0
.LBB3_2:
	s_andn2_b64 vcc, exec, s[4:5]
	s_cbranch_vccnz .LBB3_23
; %bb.3:
	v_mov_b32_e32 v50, 0
	v_mov_b32_e32 v0, 0
	;; [unrolled: 1-line block ×3, first 2 shown]
	v_cmp_gt_i32_e64 s[34:35], s27, v47
	v_mov_b32_e32 v51, 0
	v_or_b32_e32 v66, s42, v47
	v_mov_b32_e32 v1, 0
	v_mov_b32_e32 v3, 0
	;; [unrolled: 1-line block ×3, first 2 shown]
	s_and_saveexec_b64 s[4:5], s[34:35]
	s_cbranch_execz .LBB3_5
; %bb.4:
	v_mov_b32_e32 v67, 0
	v_lshlrev_b64 v[0:1], 4, v[66:67]
	v_mov_b32_e32 v2, s39
	v_add_co_u32_e32 v0, vcc, s38, v0
	v_addc_co_u32_e32 v1, vcc, v2, v1, vcc
	global_load_dwordx4 v[0:3], v[0:1], off
	v_or_b32_e32 v4, 0x100, v47
.LBB3_5:
	s_or_b64 exec, exec, s[4:5]
	v_mov_b32_e32 v52, 0
	v_mov_b32_e32 v53, 0
	v_cmp_gt_i32_e32 vcc, s27, v4
	s_and_saveexec_b64 s[4:5], vcc
	s_cbranch_execz .LBB3_7
; %bb.6:
	v_add_u32_e32 v5, s42, v4
	v_mov_b32_e32 v6, 0
	v_lshlrev_b64 v[5:6], 4, v[5:6]
	v_mov_b32_e32 v7, s39
	v_add_co_u32_e32 v5, vcc, s38, v5
	v_addc_co_u32_e32 v6, vcc, v7, v6, vcc
	global_load_dwordx4 v[50:53], v[5:6], off
	v_add_u32_e32 v4, 0x100, v4
.LBB3_7:
	s_or_b64 exec, exec, s[4:5]
	v_mov_b32_e32 v43, 0
	v_mov_b32_e32 v58, 0
	;; [unrolled: 1-line block ×6, first 2 shown]
	v_cmp_gt_i32_e32 vcc, s27, v4
	s_and_saveexec_b64 s[4:5], vcc
	s_cbranch_execz .LBB3_9
; %bb.8:
	v_add_u32_e32 v5, s42, v4
	v_mov_b32_e32 v6, 0
	v_lshlrev_b64 v[5:6], 4, v[5:6]
	v_mov_b32_e32 v7, s39
	v_add_co_u32_e32 v5, vcc, s38, v5
	v_addc_co_u32_e32 v6, vcc, v7, v6, vcc
	global_load_dwordx4 v[58:61], v[5:6], off
	v_add_u32_e32 v4, 0x100, v4
.LBB3_9:
	s_or_b64 exec, exec, s[4:5]
	v_mov_b32_e32 v45, 0
	v_mov_b32_e32 v46, 0
	v_cmp_gt_i32_e32 vcc, s27, v4
	s_and_saveexec_b64 s[4:5], vcc
	s_cbranch_execz .LBB3_11
; %bb.10:
	v_add_u32_e32 v4, s42, v4
	v_mov_b32_e32 v5, 0
	v_lshlrev_b64 v[4:5], 4, v[4:5]
	v_mov_b32_e32 v6, s39
	v_add_co_u32_e32 v4, vcc, s38, v4
	v_addc_co_u32_e32 v5, vcc, v6, v5, vcc
	global_load_dwordx4 v[43:46], v[4:5], off
.LBB3_11:
	s_or_b64 exec, exec, s[4:5]
	v_mov_b32_e32 v41, 0
	v_mov_b32_e32 v56, 0
	;; [unrolled: 1-line block ×6, first 2 shown]
	s_and_saveexec_b64 s[38:39], s[34:35]
	s_cbranch_execz .LBB3_13
; %bb.12:
	s_getpc_b64 s[4:5]
	s_add_u32 s4, s4, _ZZZZN2at6native16asin_kernel_cudaERNS_18TensorIteratorBaseEENKUlvE_clEvENKUlvE_clEvENKUlN3c107complexIdEEE_clES7_@rel32@lo+4
	s_addc_u32 s5, s5, _ZZZZN2at6native16asin_kernel_cudaERNS_18TensorIteratorBaseEENKUlvE_clEvENKUlvE_clEvENKUlN3c107complexIdEEE_clES7_@rel32@hi+12
	s_swappc_b64 s[30:31], s[4:5]
	v_mov_b32_e32 v54, v0
	v_mov_b32_e32 v55, v1
	;; [unrolled: 1-line block ×4, first 2 shown]
.LBB3_13:
	s_or_b64 exec, exec, s[38:39]
	v_or_b32_e32 v68, 0x100, v47
	v_mov_b32_e32 v39, 0
	v_mov_b32_e32 v40, 0
	v_cmp_gt_i32_e32 vcc, s27, v68
	s_and_saveexec_b64 s[38:39], vcc
	s_cbranch_execz .LBB3_15
; %bb.14:
	s_getpc_b64 s[4:5]
	s_add_u32 s4, s4, _ZZZZN2at6native16asin_kernel_cudaERNS_18TensorIteratorBaseEENKUlvE_clEvENKUlvE_clEvENKUlN3c107complexIdEEE_clES7_@rel32@lo+4
	s_addc_u32 s5, s5, _ZZZZN2at6native16asin_kernel_cudaERNS_18TensorIteratorBaseEENKUlvE_clEvENKUlvE_clEvENKUlN3c107complexIdEEE_clES7_@rel32@hi+12
	s_waitcnt vmcnt(0)
	v_mov_b32_e32 v0, v50
	v_mov_b32_e32 v1, v51
	;; [unrolled: 1-line block ×4, first 2 shown]
	s_swappc_b64 s[30:31], s[4:5]
	v_mov_b32_e32 v39, v0
	v_mov_b32_e32 v40, v1
	;; [unrolled: 1-line block ×4, first 2 shown]
.LBB3_15:
	s_or_b64 exec, exec, s[38:39]
	s_waitcnt vmcnt(0)
	v_or_b32_e32 v0, 0x200, v47
	v_mov_b32_e32 v52, 0
	v_mov_b32_e32 v64, 0
	;; [unrolled: 1-line block ×6, first 2 shown]
	v_cmp_gt_i32_e32 vcc, s27, v0
	s_and_saveexec_b64 s[38:39], vcc
	s_cbranch_execz .LBB3_17
; %bb.16:
	s_getpc_b64 s[4:5]
	s_add_u32 s4, s4, _ZZZZN2at6native16asin_kernel_cudaERNS_18TensorIteratorBaseEENKUlvE_clEvENKUlvE_clEvENKUlN3c107complexIdEEE_clES7_@rel32@lo+4
	s_addc_u32 s5, s5, _ZZZZN2at6native16asin_kernel_cudaERNS_18TensorIteratorBaseEENKUlvE_clEvENKUlvE_clEvENKUlN3c107complexIdEEE_clES7_@rel32@hi+12
	v_mov_b32_e32 v0, v58
	v_mov_b32_e32 v1, v59
	;; [unrolled: 1-line block ×4, first 2 shown]
	s_swappc_b64 s[30:31], s[4:5]
	v_mov_b32_e32 v62, v0
	v_mov_b32_e32 v63, v1
	;; [unrolled: 1-line block ×4, first 2 shown]
.LBB3_17:
	s_or_b64 exec, exec, s[38:39]
	v_or_b32_e32 v0, 0x300, v47
	v_mov_b32_e32 v50, 0
	v_mov_b32_e32 v51, 0
	v_cmp_gt_i32_e32 vcc, s27, v0
	s_and_saveexec_b64 s[38:39], vcc
	s_cbranch_execnz .LBB3_24
; %bb.18:
	s_or_b64 exec, exec, s[38:39]
	s_and_saveexec_b64 s[4:5], s[34:35]
	s_xor_b64 s[4:5], exec, s[4:5]
	s_cbranch_execnz .LBB3_25
.LBB3_19:
	s_or_b64 exec, exec, s[4:5]
	v_cmp_gt_i32_e32 vcc, s27, v47
	s_and_saveexec_b64 s[4:5], vcc
	s_cbranch_execnz .LBB3_26
.LBB3_20:
	s_or_b64 exec, exec, s[4:5]
	v_cmp_gt_i32_e32 vcc, s27, v47
	s_and_saveexec_b64 s[4:5], vcc
	s_cbranch_execnz .LBB3_27
.LBB3_21:
	s_or_b64 exec, exec, s[4:5]
	v_cmp_gt_i32_e32 vcc, s27, v47
	s_and_saveexec_b64 s[4:5], vcc
	s_cbranch_execz .LBB3_23
.LBB3_22:
	v_add_u32_e32 v0, s42, v47
	v_mov_b32_e32 v1, 0
	v_lshlrev_b64 v[0:1], 4, v[0:1]
	v_mov_b32_e32 v2, s37
	v_add_co_u32_e32 v0, vcc, s36, v0
	v_addc_co_u32_e32 v1, vcc, v2, v1, vcc
	global_store_dwordx4 v[0:1], v[50:53], off
.LBB3_23:
	s_endpgm
.LBB3_24:
	s_getpc_b64 s[4:5]
	s_add_u32 s4, s4, _ZZZZN2at6native16asin_kernel_cudaERNS_18TensorIteratorBaseEENKUlvE_clEvENKUlvE_clEvENKUlN3c107complexIdEEE_clES7_@rel32@lo+4
	s_addc_u32 s5, s5, _ZZZZN2at6native16asin_kernel_cudaERNS_18TensorIteratorBaseEENKUlvE_clEvENKUlvE_clEvENKUlN3c107complexIdEEE_clES7_@rel32@hi+12
	v_mov_b32_e32 v0, v43
	v_mov_b32_e32 v1, v44
	;; [unrolled: 1-line block ×4, first 2 shown]
	s_swappc_b64 s[30:31], s[4:5]
	v_mov_b32_e32 v50, v0
	v_mov_b32_e32 v51, v1
	;; [unrolled: 1-line block ×4, first 2 shown]
	s_or_b64 exec, exec, s[38:39]
	s_and_saveexec_b64 s[4:5], s[34:35]
	s_xor_b64 s[4:5], exec, s[4:5]
	s_cbranch_execz .LBB3_19
.LBB3_25:
	v_mov_b32_e32 v67, 0
	v_lshlrev_b64 v[0:1], 4, v[66:67]
	v_mov_b32_e32 v2, s37
	v_add_co_u32_e32 v0, vcc, s36, v0
	v_addc_co_u32_e32 v1, vcc, v2, v1, vcc
	v_mov_b32_e32 v47, v68
	global_store_dwordx4 v[0:1], v[54:57], off
	s_or_b64 exec, exec, s[4:5]
	v_cmp_gt_i32_e32 vcc, s27, v47
	s_and_saveexec_b64 s[4:5], vcc
	s_cbranch_execz .LBB3_20
.LBB3_26:
	v_add_u32_e32 v0, s42, v47
	v_mov_b32_e32 v1, 0
	v_lshlrev_b64 v[0:1], 4, v[0:1]
	v_mov_b32_e32 v2, s37
	v_add_co_u32_e32 v0, vcc, s36, v0
	v_addc_co_u32_e32 v1, vcc, v2, v1, vcc
	v_add_u32_e32 v47, 0x100, v47
	global_store_dwordx4 v[0:1], v[39:42], off
	s_or_b64 exec, exec, s[4:5]
	v_cmp_gt_i32_e32 vcc, s27, v47
	s_and_saveexec_b64 s[4:5], vcc
	s_cbranch_execz .LBB3_21
.LBB3_27:
	v_add_u32_e32 v0, s42, v47
	v_mov_b32_e32 v1, 0
	v_lshlrev_b64 v[0:1], 4, v[0:1]
	v_mov_b32_e32 v2, s37
	v_add_co_u32_e32 v0, vcc, s36, v0
	v_addc_co_u32_e32 v1, vcc, v2, v1, vcc
	v_add_u32_e32 v47, 0x100, v47
	global_store_dwordx4 v[0:1], v[62:65], off
	s_or_b64 exec, exec, s[4:5]
	v_cmp_gt_i32_e32 vcc, s27, v47
	s_and_saveexec_b64 s[4:5], vcc
	s_cbranch_execnz .LBB3_22
	s_branch .LBB3_23
	.section	.rodata,"a",@progbits
	.p2align	6, 0x0
	.amdhsa_kernel _ZN2at6native29vectorized_elementwise_kernelILi4EZZZNS0_16asin_kernel_cudaERNS_18TensorIteratorBaseEENKUlvE_clEvENKUlvE_clEvEUlN3c107complexIdEEE_St5arrayIPcLm2EEEEviT0_T1_
		.amdhsa_group_segment_fixed_size 0
		.amdhsa_private_segment_fixed_size 12
		.amdhsa_kernarg_size 24
		.amdhsa_user_sgpr_count 8
		.amdhsa_user_sgpr_private_segment_buffer 1
		.amdhsa_user_sgpr_dispatch_ptr 0
		.amdhsa_user_sgpr_queue_ptr 0
		.amdhsa_user_sgpr_kernarg_segment_ptr 1
		.amdhsa_user_sgpr_dispatch_id 0
		.amdhsa_user_sgpr_flat_scratch_init 1
		.amdhsa_user_sgpr_private_segment_size 0
		.amdhsa_uses_dynamic_stack 0
		.amdhsa_system_sgpr_private_segment_wavefront_offset 1
		.amdhsa_system_sgpr_workgroup_id_x 1
		.amdhsa_system_sgpr_workgroup_id_y 0
		.amdhsa_system_sgpr_workgroup_id_z 0
		.amdhsa_system_sgpr_workgroup_info 0
		.amdhsa_system_vgpr_workitem_id 0
		.amdhsa_next_free_vgpr 69
		.amdhsa_next_free_sgpr 46
		.amdhsa_reserve_vcc 1
		.amdhsa_reserve_flat_scratch 1
		.amdhsa_float_round_mode_32 0
		.amdhsa_float_round_mode_16_64 0
		.amdhsa_float_denorm_mode_32 3
		.amdhsa_float_denorm_mode_16_64 3
		.amdhsa_dx10_clamp 1
		.amdhsa_ieee_mode 1
		.amdhsa_fp16_overflow 0
		.amdhsa_exception_fp_ieee_invalid_op 0
		.amdhsa_exception_fp_denorm_src 0
		.amdhsa_exception_fp_ieee_div_zero 0
		.amdhsa_exception_fp_ieee_overflow 0
		.amdhsa_exception_fp_ieee_underflow 0
		.amdhsa_exception_fp_ieee_inexact 0
		.amdhsa_exception_int_div_zero 0
	.end_amdhsa_kernel
	.section	.text._ZN2at6native29vectorized_elementwise_kernelILi4EZZZNS0_16asin_kernel_cudaERNS_18TensorIteratorBaseEENKUlvE_clEvENKUlvE_clEvEUlN3c107complexIdEEE_St5arrayIPcLm2EEEEviT0_T1_,"axG",@progbits,_ZN2at6native29vectorized_elementwise_kernelILi4EZZZNS0_16asin_kernel_cudaERNS_18TensorIteratorBaseEENKUlvE_clEvENKUlvE_clEvEUlN3c107complexIdEEE_St5arrayIPcLm2EEEEviT0_T1_,comdat
.Lfunc_end3:
	.size	_ZN2at6native29vectorized_elementwise_kernelILi4EZZZNS0_16asin_kernel_cudaERNS_18TensorIteratorBaseEENKUlvE_clEvENKUlvE_clEvEUlN3c107complexIdEEE_St5arrayIPcLm2EEEEviT0_T1_, .Lfunc_end3-_ZN2at6native29vectorized_elementwise_kernelILi4EZZZNS0_16asin_kernel_cudaERNS_18TensorIteratorBaseEENKUlvE_clEvENKUlvE_clEvEUlN3c107complexIdEEE_St5arrayIPcLm2EEEEviT0_T1_
                                        ; -- End function
	.set _ZN2at6native29vectorized_elementwise_kernelILi4EZZZNS0_16asin_kernel_cudaERNS_18TensorIteratorBaseEENKUlvE_clEvENKUlvE_clEvEUlN3c107complexIdEEE_St5arrayIPcLm2EEEEviT0_T1_.num_vgpr, max(69, .L_ZZZZN2at6native16asin_kernel_cudaERNS_18TensorIteratorBaseEENKUlvE_clEvENKUlvE_clEvENKUlN3c107complexIdEEE_clES7_.num_vgpr)
	.set _ZN2at6native29vectorized_elementwise_kernelILi4EZZZNS0_16asin_kernel_cudaERNS_18TensorIteratorBaseEENKUlvE_clEvENKUlvE_clEvEUlN3c107complexIdEEE_St5arrayIPcLm2EEEEviT0_T1_.num_agpr, max(0, .L_ZZZZN2at6native16asin_kernel_cudaERNS_18TensorIteratorBaseEENKUlvE_clEvENKUlvE_clEvENKUlN3c107complexIdEEE_clES7_.num_agpr)
	.set _ZN2at6native29vectorized_elementwise_kernelILi4EZZZNS0_16asin_kernel_cudaERNS_18TensorIteratorBaseEENKUlvE_clEvENKUlvE_clEvEUlN3c107complexIdEEE_St5arrayIPcLm2EEEEviT0_T1_.numbered_sgpr, max(46, .L_ZZZZN2at6native16asin_kernel_cudaERNS_18TensorIteratorBaseEENKUlvE_clEvENKUlvE_clEvENKUlN3c107complexIdEEE_clES7_.numbered_sgpr)
	.set _ZN2at6native29vectorized_elementwise_kernelILi4EZZZNS0_16asin_kernel_cudaERNS_18TensorIteratorBaseEENKUlvE_clEvENKUlvE_clEvEUlN3c107complexIdEEE_St5arrayIPcLm2EEEEviT0_T1_.num_named_barrier, max(0, .L_ZZZZN2at6native16asin_kernel_cudaERNS_18TensorIteratorBaseEENKUlvE_clEvENKUlvE_clEvENKUlN3c107complexIdEEE_clES7_.num_named_barrier)
	.set _ZN2at6native29vectorized_elementwise_kernelILi4EZZZNS0_16asin_kernel_cudaERNS_18TensorIteratorBaseEENKUlvE_clEvENKUlvE_clEvEUlN3c107complexIdEEE_St5arrayIPcLm2EEEEviT0_T1_.private_seg_size, 0+max(.L_ZZZZN2at6native16asin_kernel_cudaERNS_18TensorIteratorBaseEENKUlvE_clEvENKUlvE_clEvENKUlN3c107complexIdEEE_clES7_.private_seg_size)
	.set _ZN2at6native29vectorized_elementwise_kernelILi4EZZZNS0_16asin_kernel_cudaERNS_18TensorIteratorBaseEENKUlvE_clEvENKUlvE_clEvEUlN3c107complexIdEEE_St5arrayIPcLm2EEEEviT0_T1_.uses_vcc, or(1, .L_ZZZZN2at6native16asin_kernel_cudaERNS_18TensorIteratorBaseEENKUlvE_clEvENKUlvE_clEvENKUlN3c107complexIdEEE_clES7_.uses_vcc)
	.set _ZN2at6native29vectorized_elementwise_kernelILi4EZZZNS0_16asin_kernel_cudaERNS_18TensorIteratorBaseEENKUlvE_clEvENKUlvE_clEvEUlN3c107complexIdEEE_St5arrayIPcLm2EEEEviT0_T1_.uses_flat_scratch, or(1, .L_ZZZZN2at6native16asin_kernel_cudaERNS_18TensorIteratorBaseEENKUlvE_clEvENKUlvE_clEvENKUlN3c107complexIdEEE_clES7_.uses_flat_scratch)
	.set _ZN2at6native29vectorized_elementwise_kernelILi4EZZZNS0_16asin_kernel_cudaERNS_18TensorIteratorBaseEENKUlvE_clEvENKUlvE_clEvEUlN3c107complexIdEEE_St5arrayIPcLm2EEEEviT0_T1_.has_dyn_sized_stack, or(0, .L_ZZZZN2at6native16asin_kernel_cudaERNS_18TensorIteratorBaseEENKUlvE_clEvENKUlvE_clEvENKUlN3c107complexIdEEE_clES7_.has_dyn_sized_stack)
	.set _ZN2at6native29vectorized_elementwise_kernelILi4EZZZNS0_16asin_kernel_cudaERNS_18TensorIteratorBaseEENKUlvE_clEvENKUlvE_clEvEUlN3c107complexIdEEE_St5arrayIPcLm2EEEEviT0_T1_.has_recursion, or(0, .L_ZZZZN2at6native16asin_kernel_cudaERNS_18TensorIteratorBaseEENKUlvE_clEvENKUlvE_clEvENKUlN3c107complexIdEEE_clES7_.has_recursion)
	.set _ZN2at6native29vectorized_elementwise_kernelILi4EZZZNS0_16asin_kernel_cudaERNS_18TensorIteratorBaseEENKUlvE_clEvENKUlvE_clEvEUlN3c107complexIdEEE_St5arrayIPcLm2EEEEviT0_T1_.has_indirect_call, or(0, .L_ZZZZN2at6native16asin_kernel_cudaERNS_18TensorIteratorBaseEENKUlvE_clEvENKUlvE_clEvENKUlN3c107complexIdEEE_clES7_.has_indirect_call)
	.section	.AMDGPU.csdata,"",@progbits
; Kernel info:
; codeLenInByte = 1260
; TotalNumSgprs: 52
; NumVgprs: 69
; ScratchSize: 12
; MemoryBound: 0
; FloatMode: 240
; IeeeMode: 1
; LDSByteSize: 0 bytes/workgroup (compile time only)
; SGPRBlocks: 6
; VGPRBlocks: 17
; NumSGPRsForWavesPerEU: 52
; NumVGPRsForWavesPerEU: 69
; Occupancy: 3
; WaveLimiterHint : 0
; COMPUTE_PGM_RSRC2:SCRATCH_EN: 1
; COMPUTE_PGM_RSRC2:USER_SGPR: 8
; COMPUTE_PGM_RSRC2:TRAP_HANDLER: 0
; COMPUTE_PGM_RSRC2:TGID_X_EN: 1
; COMPUTE_PGM_RSRC2:TGID_Y_EN: 0
; COMPUTE_PGM_RSRC2:TGID_Z_EN: 0
; COMPUTE_PGM_RSRC2:TIDIG_COMP_CNT: 0
	.section	.text._ZN2at6native29vectorized_elementwise_kernelILi2EZZZNS0_16asin_kernel_cudaERNS_18TensorIteratorBaseEENKUlvE_clEvENKUlvE_clEvEUlN3c107complexIdEEE_St5arrayIPcLm2EEEEviT0_T1_,"axG",@progbits,_ZN2at6native29vectorized_elementwise_kernelILi2EZZZNS0_16asin_kernel_cudaERNS_18TensorIteratorBaseEENKUlvE_clEvENKUlvE_clEvEUlN3c107complexIdEEE_St5arrayIPcLm2EEEEviT0_T1_,comdat
	.globl	_ZN2at6native29vectorized_elementwise_kernelILi2EZZZNS0_16asin_kernel_cudaERNS_18TensorIteratorBaseEENKUlvE_clEvENKUlvE_clEvEUlN3c107complexIdEEE_St5arrayIPcLm2EEEEviT0_T1_ ; -- Begin function _ZN2at6native29vectorized_elementwise_kernelILi2EZZZNS0_16asin_kernel_cudaERNS_18TensorIteratorBaseEENKUlvE_clEvENKUlvE_clEvEUlN3c107complexIdEEE_St5arrayIPcLm2EEEEviT0_T1_
	.p2align	8
	.type	_ZN2at6native29vectorized_elementwise_kernelILi2EZZZNS0_16asin_kernel_cudaERNS_18TensorIteratorBaseEENKUlvE_clEvENKUlvE_clEvEUlN3c107complexIdEEE_St5arrayIPcLm2EEEEviT0_T1_,@function
_ZN2at6native29vectorized_elementwise_kernelILi2EZZZNS0_16asin_kernel_cudaERNS_18TensorIteratorBaseEENKUlvE_clEvENKUlvE_clEvEUlN3c107complexIdEEE_St5arrayIPcLm2EEEEviT0_T1_: ; @_ZN2at6native29vectorized_elementwise_kernelILi2EZZZNS0_16asin_kernel_cudaERNS_18TensorIteratorBaseEENKUlvE_clEvENKUlvE_clEvEUlN3c107complexIdEEE_St5arrayIPcLm2EEEEviT0_T1_
; %bb.0:
	s_add_u32 flat_scratch_lo, s6, s9
	s_load_dword s6, s[4:5], 0x0
	s_load_dwordx4 s[36:39], s[4:5], 0x8
	s_addc_u32 flat_scratch_hi, s7, 0
	s_add_u32 s0, s0, s9
	s_addc_u32 s1, s1, 0
	s_lshl_b32 s42, s8, 10
	s_waitcnt lgkmcnt(0)
	s_sub_i32 s27, s6, s42
	v_mov_b32_e32 v47, v0
	s_cmpk_gt_i32 s27, 0x3ff
	s_mov_b64 s[4:5], -1
	s_mov_b32 s32, 0
	s_cbranch_scc0 .LBB4_2
; %bb.1:
	s_ashr_i32 s43, s42, 31
	s_lshl_b64 s[34:35], s[42:43], 4
	s_add_u32 s4, s38, s34
	s_addc_u32 s5, s39, s35
	v_lshlrev_b32_e32 v58, 5, v47
	v_mov_b32_e32 v0, s5
	v_add_co_u32_e32 v4, vcc, s4, v58
	v_addc_co_u32_e32 v5, vcc, 0, v0, vcc
	global_load_dwordx4 v[39:42], v58, s[4:5] offset:16
	global_load_dwordx4 v[0:3], v58, s[4:5]
	s_movk_i32 s4, 0x2000
	v_add_co_u32_e32 v4, vcc, s4, v4
	v_addc_co_u32_e32 v5, vcc, 0, v5, vcc
	global_load_dwordx4 v[43:46], v[4:5], off
	global_load_dwordx4 v[50:53], v[4:5], off offset:16
	s_getpc_b64 s[44:45]
	s_add_u32 s44, s44, _ZZZZN2at6native16asin_kernel_cudaERNS_18TensorIteratorBaseEENKUlvE_clEvENKUlvE_clEvENKUlN3c107complexIdEEE_clES7_@rel32@lo+4
	s_addc_u32 s45, s45, _ZZZZN2at6native16asin_kernel_cudaERNS_18TensorIteratorBaseEENKUlvE_clEvENKUlvE_clEvENKUlN3c107complexIdEEE_clES7_@rel32@hi+12
	s_swappc_b64 s[30:31], s[44:45]
	v_mov_b32_e32 v54, v0
	v_mov_b32_e32 v55, v1
	v_mov_b32_e32 v56, v2
	v_mov_b32_e32 v57, v3
	v_mov_b32_e32 v0, v39
	v_mov_b32_e32 v1, v40
	v_mov_b32_e32 v2, v41
	v_mov_b32_e32 v3, v42
	s_swappc_b64 s[30:31], s[44:45]
	v_mov_b32_e32 v39, v0
	v_mov_b32_e32 v40, v1
	v_mov_b32_e32 v41, v2
	v_mov_b32_e32 v42, v3
	v_mov_b32_e32 v0, v43
	v_mov_b32_e32 v1, v44
	v_mov_b32_e32 v2, v45
	v_mov_b32_e32 v3, v46
	;; [unrolled: 9-line block ×3, first 2 shown]
	s_swappc_b64 s[30:31], s[44:45]
	s_add_u32 s4, s36, s34
	s_addc_u32 s5, s37, s35
	v_mov_b32_e32 v4, s5
	v_add_co_u32_e32 v5, vcc, s4, v58
	v_addc_co_u32_e32 v6, vcc, 0, v4, vcc
	v_add_co_u32_e32 v4, vcc, 0x2000, v5
	v_addc_co_u32_e32 v5, vcc, 0, v6, vcc
	global_store_dwordx4 v58, v[54:57], s[4:5]
	global_store_dwordx4 v58, v[39:42], s[4:5] offset:16
	global_store_dwordx4 v[4:5], v[43:46], off
	global_store_dwordx4 v[4:5], v[0:3], off offset:16
	s_mov_b64 s[4:5], 0
.LBB4_2:
	s_andn2_b64 vcc, exec, s[4:5]
	s_cbranch_vccnz .LBB4_23
; %bb.3:
	v_mov_b32_e32 v50, 0
	v_mov_b32_e32 v0, 0
	;; [unrolled: 1-line block ×3, first 2 shown]
	v_cmp_gt_i32_e64 s[34:35], s27, v47
	v_mov_b32_e32 v51, 0
	v_or_b32_e32 v66, s42, v47
	v_mov_b32_e32 v1, 0
	v_mov_b32_e32 v3, 0
	;; [unrolled: 1-line block ×3, first 2 shown]
	s_and_saveexec_b64 s[4:5], s[34:35]
	s_cbranch_execz .LBB4_5
; %bb.4:
	v_mov_b32_e32 v67, 0
	v_lshlrev_b64 v[0:1], 4, v[66:67]
	v_mov_b32_e32 v2, s39
	v_add_co_u32_e32 v0, vcc, s38, v0
	v_addc_co_u32_e32 v1, vcc, v2, v1, vcc
	global_load_dwordx4 v[0:3], v[0:1], off
	v_or_b32_e32 v4, 0x100, v47
.LBB4_5:
	s_or_b64 exec, exec, s[4:5]
	v_mov_b32_e32 v52, 0
	v_mov_b32_e32 v53, 0
	v_cmp_gt_i32_e32 vcc, s27, v4
	s_and_saveexec_b64 s[4:5], vcc
	s_cbranch_execz .LBB4_7
; %bb.6:
	v_add_u32_e32 v5, s42, v4
	v_mov_b32_e32 v6, 0
	v_lshlrev_b64 v[5:6], 4, v[5:6]
	v_mov_b32_e32 v7, s39
	v_add_co_u32_e32 v5, vcc, s38, v5
	v_addc_co_u32_e32 v6, vcc, v7, v6, vcc
	global_load_dwordx4 v[50:53], v[5:6], off
	v_add_u32_e32 v4, 0x100, v4
.LBB4_7:
	s_or_b64 exec, exec, s[4:5]
	v_mov_b32_e32 v43, 0
	v_mov_b32_e32 v58, 0
	;; [unrolled: 1-line block ×6, first 2 shown]
	v_cmp_gt_i32_e32 vcc, s27, v4
	s_and_saveexec_b64 s[4:5], vcc
	s_cbranch_execz .LBB4_9
; %bb.8:
	v_add_u32_e32 v5, s42, v4
	v_mov_b32_e32 v6, 0
	v_lshlrev_b64 v[5:6], 4, v[5:6]
	v_mov_b32_e32 v7, s39
	v_add_co_u32_e32 v5, vcc, s38, v5
	v_addc_co_u32_e32 v6, vcc, v7, v6, vcc
	global_load_dwordx4 v[58:61], v[5:6], off
	v_add_u32_e32 v4, 0x100, v4
.LBB4_9:
	s_or_b64 exec, exec, s[4:5]
	v_mov_b32_e32 v45, 0
	v_mov_b32_e32 v46, 0
	v_cmp_gt_i32_e32 vcc, s27, v4
	s_and_saveexec_b64 s[4:5], vcc
	s_cbranch_execz .LBB4_11
; %bb.10:
	v_add_u32_e32 v4, s42, v4
	v_mov_b32_e32 v5, 0
	v_lshlrev_b64 v[4:5], 4, v[4:5]
	v_mov_b32_e32 v6, s39
	v_add_co_u32_e32 v4, vcc, s38, v4
	v_addc_co_u32_e32 v5, vcc, v6, v5, vcc
	global_load_dwordx4 v[43:46], v[4:5], off
.LBB4_11:
	s_or_b64 exec, exec, s[4:5]
	v_mov_b32_e32 v41, 0
	v_mov_b32_e32 v56, 0
	;; [unrolled: 1-line block ×6, first 2 shown]
	s_and_saveexec_b64 s[38:39], s[34:35]
	s_cbranch_execz .LBB4_13
; %bb.12:
	s_getpc_b64 s[4:5]
	s_add_u32 s4, s4, _ZZZZN2at6native16asin_kernel_cudaERNS_18TensorIteratorBaseEENKUlvE_clEvENKUlvE_clEvENKUlN3c107complexIdEEE_clES7_@rel32@lo+4
	s_addc_u32 s5, s5, _ZZZZN2at6native16asin_kernel_cudaERNS_18TensorIteratorBaseEENKUlvE_clEvENKUlvE_clEvENKUlN3c107complexIdEEE_clES7_@rel32@hi+12
	s_swappc_b64 s[30:31], s[4:5]
	v_mov_b32_e32 v54, v0
	v_mov_b32_e32 v55, v1
	;; [unrolled: 1-line block ×4, first 2 shown]
.LBB4_13:
	s_or_b64 exec, exec, s[38:39]
	v_or_b32_e32 v68, 0x100, v47
	v_mov_b32_e32 v39, 0
	v_mov_b32_e32 v40, 0
	v_cmp_gt_i32_e32 vcc, s27, v68
	s_and_saveexec_b64 s[38:39], vcc
	s_cbranch_execz .LBB4_15
; %bb.14:
	s_getpc_b64 s[4:5]
	s_add_u32 s4, s4, _ZZZZN2at6native16asin_kernel_cudaERNS_18TensorIteratorBaseEENKUlvE_clEvENKUlvE_clEvENKUlN3c107complexIdEEE_clES7_@rel32@lo+4
	s_addc_u32 s5, s5, _ZZZZN2at6native16asin_kernel_cudaERNS_18TensorIteratorBaseEENKUlvE_clEvENKUlvE_clEvENKUlN3c107complexIdEEE_clES7_@rel32@hi+12
	s_waitcnt vmcnt(0)
	v_mov_b32_e32 v0, v50
	v_mov_b32_e32 v1, v51
	;; [unrolled: 1-line block ×4, first 2 shown]
	s_swappc_b64 s[30:31], s[4:5]
	v_mov_b32_e32 v39, v0
	v_mov_b32_e32 v40, v1
	;; [unrolled: 1-line block ×4, first 2 shown]
.LBB4_15:
	s_or_b64 exec, exec, s[38:39]
	s_waitcnt vmcnt(0)
	v_or_b32_e32 v0, 0x200, v47
	v_mov_b32_e32 v52, 0
	v_mov_b32_e32 v64, 0
	;; [unrolled: 1-line block ×6, first 2 shown]
	v_cmp_gt_i32_e32 vcc, s27, v0
	s_and_saveexec_b64 s[38:39], vcc
	s_cbranch_execz .LBB4_17
; %bb.16:
	s_getpc_b64 s[4:5]
	s_add_u32 s4, s4, _ZZZZN2at6native16asin_kernel_cudaERNS_18TensorIteratorBaseEENKUlvE_clEvENKUlvE_clEvENKUlN3c107complexIdEEE_clES7_@rel32@lo+4
	s_addc_u32 s5, s5, _ZZZZN2at6native16asin_kernel_cudaERNS_18TensorIteratorBaseEENKUlvE_clEvENKUlvE_clEvENKUlN3c107complexIdEEE_clES7_@rel32@hi+12
	v_mov_b32_e32 v0, v58
	v_mov_b32_e32 v1, v59
	v_mov_b32_e32 v2, v60
	v_mov_b32_e32 v3, v61
	s_swappc_b64 s[30:31], s[4:5]
	v_mov_b32_e32 v62, v0
	v_mov_b32_e32 v63, v1
	;; [unrolled: 1-line block ×4, first 2 shown]
.LBB4_17:
	s_or_b64 exec, exec, s[38:39]
	v_or_b32_e32 v0, 0x300, v47
	v_mov_b32_e32 v50, 0
	v_mov_b32_e32 v51, 0
	v_cmp_gt_i32_e32 vcc, s27, v0
	s_and_saveexec_b64 s[38:39], vcc
	s_cbranch_execnz .LBB4_24
; %bb.18:
	s_or_b64 exec, exec, s[38:39]
	s_and_saveexec_b64 s[4:5], s[34:35]
	s_xor_b64 s[4:5], exec, s[4:5]
	s_cbranch_execnz .LBB4_25
.LBB4_19:
	s_or_b64 exec, exec, s[4:5]
	v_cmp_gt_i32_e32 vcc, s27, v47
	s_and_saveexec_b64 s[4:5], vcc
	s_cbranch_execnz .LBB4_26
.LBB4_20:
	s_or_b64 exec, exec, s[4:5]
	v_cmp_gt_i32_e32 vcc, s27, v47
	s_and_saveexec_b64 s[4:5], vcc
	s_cbranch_execnz .LBB4_27
.LBB4_21:
	s_or_b64 exec, exec, s[4:5]
	v_cmp_gt_i32_e32 vcc, s27, v47
	s_and_saveexec_b64 s[4:5], vcc
	s_cbranch_execz .LBB4_23
.LBB4_22:
	v_add_u32_e32 v0, s42, v47
	v_mov_b32_e32 v1, 0
	v_lshlrev_b64 v[0:1], 4, v[0:1]
	v_mov_b32_e32 v2, s37
	v_add_co_u32_e32 v0, vcc, s36, v0
	v_addc_co_u32_e32 v1, vcc, v2, v1, vcc
	global_store_dwordx4 v[0:1], v[50:53], off
.LBB4_23:
	s_endpgm
.LBB4_24:
	s_getpc_b64 s[4:5]
	s_add_u32 s4, s4, _ZZZZN2at6native16asin_kernel_cudaERNS_18TensorIteratorBaseEENKUlvE_clEvENKUlvE_clEvENKUlN3c107complexIdEEE_clES7_@rel32@lo+4
	s_addc_u32 s5, s5, _ZZZZN2at6native16asin_kernel_cudaERNS_18TensorIteratorBaseEENKUlvE_clEvENKUlvE_clEvENKUlN3c107complexIdEEE_clES7_@rel32@hi+12
	v_mov_b32_e32 v0, v43
	v_mov_b32_e32 v1, v44
	;; [unrolled: 1-line block ×4, first 2 shown]
	s_swappc_b64 s[30:31], s[4:5]
	v_mov_b32_e32 v50, v0
	v_mov_b32_e32 v51, v1
	;; [unrolled: 1-line block ×4, first 2 shown]
	s_or_b64 exec, exec, s[38:39]
	s_and_saveexec_b64 s[4:5], s[34:35]
	s_xor_b64 s[4:5], exec, s[4:5]
	s_cbranch_execz .LBB4_19
.LBB4_25:
	v_mov_b32_e32 v67, 0
	v_lshlrev_b64 v[0:1], 4, v[66:67]
	v_mov_b32_e32 v2, s37
	v_add_co_u32_e32 v0, vcc, s36, v0
	v_addc_co_u32_e32 v1, vcc, v2, v1, vcc
	v_mov_b32_e32 v47, v68
	global_store_dwordx4 v[0:1], v[54:57], off
	s_or_b64 exec, exec, s[4:5]
	v_cmp_gt_i32_e32 vcc, s27, v47
	s_and_saveexec_b64 s[4:5], vcc
	s_cbranch_execz .LBB4_20
.LBB4_26:
	v_add_u32_e32 v0, s42, v47
	v_mov_b32_e32 v1, 0
	v_lshlrev_b64 v[0:1], 4, v[0:1]
	v_mov_b32_e32 v2, s37
	v_add_co_u32_e32 v0, vcc, s36, v0
	v_addc_co_u32_e32 v1, vcc, v2, v1, vcc
	v_add_u32_e32 v47, 0x100, v47
	global_store_dwordx4 v[0:1], v[39:42], off
	s_or_b64 exec, exec, s[4:5]
	v_cmp_gt_i32_e32 vcc, s27, v47
	s_and_saveexec_b64 s[4:5], vcc
	s_cbranch_execz .LBB4_21
.LBB4_27:
	v_add_u32_e32 v0, s42, v47
	v_mov_b32_e32 v1, 0
	v_lshlrev_b64 v[0:1], 4, v[0:1]
	v_mov_b32_e32 v2, s37
	v_add_co_u32_e32 v0, vcc, s36, v0
	v_addc_co_u32_e32 v1, vcc, v2, v1, vcc
	v_add_u32_e32 v47, 0x100, v47
	global_store_dwordx4 v[0:1], v[62:65], off
	s_or_b64 exec, exec, s[4:5]
	v_cmp_gt_i32_e32 vcc, s27, v47
	s_and_saveexec_b64 s[4:5], vcc
	s_cbranch_execnz .LBB4_22
	s_branch .LBB4_23
	.section	.rodata,"a",@progbits
	.p2align	6, 0x0
	.amdhsa_kernel _ZN2at6native29vectorized_elementwise_kernelILi2EZZZNS0_16asin_kernel_cudaERNS_18TensorIteratorBaseEENKUlvE_clEvENKUlvE_clEvEUlN3c107complexIdEEE_St5arrayIPcLm2EEEEviT0_T1_
		.amdhsa_group_segment_fixed_size 0
		.amdhsa_private_segment_fixed_size 12
		.amdhsa_kernarg_size 24
		.amdhsa_user_sgpr_count 8
		.amdhsa_user_sgpr_private_segment_buffer 1
		.amdhsa_user_sgpr_dispatch_ptr 0
		.amdhsa_user_sgpr_queue_ptr 0
		.amdhsa_user_sgpr_kernarg_segment_ptr 1
		.amdhsa_user_sgpr_dispatch_id 0
		.amdhsa_user_sgpr_flat_scratch_init 1
		.amdhsa_user_sgpr_private_segment_size 0
		.amdhsa_uses_dynamic_stack 0
		.amdhsa_system_sgpr_private_segment_wavefront_offset 1
		.amdhsa_system_sgpr_workgroup_id_x 1
		.amdhsa_system_sgpr_workgroup_id_y 0
		.amdhsa_system_sgpr_workgroup_id_z 0
		.amdhsa_system_sgpr_workgroup_info 0
		.amdhsa_system_vgpr_workitem_id 0
		.amdhsa_next_free_vgpr 69
		.amdhsa_next_free_sgpr 46
		.amdhsa_reserve_vcc 1
		.amdhsa_reserve_flat_scratch 1
		.amdhsa_float_round_mode_32 0
		.amdhsa_float_round_mode_16_64 0
		.amdhsa_float_denorm_mode_32 3
		.amdhsa_float_denorm_mode_16_64 3
		.amdhsa_dx10_clamp 1
		.amdhsa_ieee_mode 1
		.amdhsa_fp16_overflow 0
		.amdhsa_exception_fp_ieee_invalid_op 0
		.amdhsa_exception_fp_denorm_src 0
		.amdhsa_exception_fp_ieee_div_zero 0
		.amdhsa_exception_fp_ieee_overflow 0
		.amdhsa_exception_fp_ieee_underflow 0
		.amdhsa_exception_fp_ieee_inexact 0
		.amdhsa_exception_int_div_zero 0
	.end_amdhsa_kernel
	.section	.text._ZN2at6native29vectorized_elementwise_kernelILi2EZZZNS0_16asin_kernel_cudaERNS_18TensorIteratorBaseEENKUlvE_clEvENKUlvE_clEvEUlN3c107complexIdEEE_St5arrayIPcLm2EEEEviT0_T1_,"axG",@progbits,_ZN2at6native29vectorized_elementwise_kernelILi2EZZZNS0_16asin_kernel_cudaERNS_18TensorIteratorBaseEENKUlvE_clEvENKUlvE_clEvEUlN3c107complexIdEEE_St5arrayIPcLm2EEEEviT0_T1_,comdat
.Lfunc_end4:
	.size	_ZN2at6native29vectorized_elementwise_kernelILi2EZZZNS0_16asin_kernel_cudaERNS_18TensorIteratorBaseEENKUlvE_clEvENKUlvE_clEvEUlN3c107complexIdEEE_St5arrayIPcLm2EEEEviT0_T1_, .Lfunc_end4-_ZN2at6native29vectorized_elementwise_kernelILi2EZZZNS0_16asin_kernel_cudaERNS_18TensorIteratorBaseEENKUlvE_clEvENKUlvE_clEvEUlN3c107complexIdEEE_St5arrayIPcLm2EEEEviT0_T1_
                                        ; -- End function
	.set _ZN2at6native29vectorized_elementwise_kernelILi2EZZZNS0_16asin_kernel_cudaERNS_18TensorIteratorBaseEENKUlvE_clEvENKUlvE_clEvEUlN3c107complexIdEEE_St5arrayIPcLm2EEEEviT0_T1_.num_vgpr, max(69, .L_ZZZZN2at6native16asin_kernel_cudaERNS_18TensorIteratorBaseEENKUlvE_clEvENKUlvE_clEvENKUlN3c107complexIdEEE_clES7_.num_vgpr)
	.set _ZN2at6native29vectorized_elementwise_kernelILi2EZZZNS0_16asin_kernel_cudaERNS_18TensorIteratorBaseEENKUlvE_clEvENKUlvE_clEvEUlN3c107complexIdEEE_St5arrayIPcLm2EEEEviT0_T1_.num_agpr, max(0, .L_ZZZZN2at6native16asin_kernel_cudaERNS_18TensorIteratorBaseEENKUlvE_clEvENKUlvE_clEvENKUlN3c107complexIdEEE_clES7_.num_agpr)
	.set _ZN2at6native29vectorized_elementwise_kernelILi2EZZZNS0_16asin_kernel_cudaERNS_18TensorIteratorBaseEENKUlvE_clEvENKUlvE_clEvEUlN3c107complexIdEEE_St5arrayIPcLm2EEEEviT0_T1_.numbered_sgpr, max(46, .L_ZZZZN2at6native16asin_kernel_cudaERNS_18TensorIteratorBaseEENKUlvE_clEvENKUlvE_clEvENKUlN3c107complexIdEEE_clES7_.numbered_sgpr)
	.set _ZN2at6native29vectorized_elementwise_kernelILi2EZZZNS0_16asin_kernel_cudaERNS_18TensorIteratorBaseEENKUlvE_clEvENKUlvE_clEvEUlN3c107complexIdEEE_St5arrayIPcLm2EEEEviT0_T1_.num_named_barrier, max(0, .L_ZZZZN2at6native16asin_kernel_cudaERNS_18TensorIteratorBaseEENKUlvE_clEvENKUlvE_clEvENKUlN3c107complexIdEEE_clES7_.num_named_barrier)
	.set _ZN2at6native29vectorized_elementwise_kernelILi2EZZZNS0_16asin_kernel_cudaERNS_18TensorIteratorBaseEENKUlvE_clEvENKUlvE_clEvEUlN3c107complexIdEEE_St5arrayIPcLm2EEEEviT0_T1_.private_seg_size, 0+max(.L_ZZZZN2at6native16asin_kernel_cudaERNS_18TensorIteratorBaseEENKUlvE_clEvENKUlvE_clEvENKUlN3c107complexIdEEE_clES7_.private_seg_size)
	.set _ZN2at6native29vectorized_elementwise_kernelILi2EZZZNS0_16asin_kernel_cudaERNS_18TensorIteratorBaseEENKUlvE_clEvENKUlvE_clEvEUlN3c107complexIdEEE_St5arrayIPcLm2EEEEviT0_T1_.uses_vcc, or(1, .L_ZZZZN2at6native16asin_kernel_cudaERNS_18TensorIteratorBaseEENKUlvE_clEvENKUlvE_clEvENKUlN3c107complexIdEEE_clES7_.uses_vcc)
	.set _ZN2at6native29vectorized_elementwise_kernelILi2EZZZNS0_16asin_kernel_cudaERNS_18TensorIteratorBaseEENKUlvE_clEvENKUlvE_clEvEUlN3c107complexIdEEE_St5arrayIPcLm2EEEEviT0_T1_.uses_flat_scratch, or(1, .L_ZZZZN2at6native16asin_kernel_cudaERNS_18TensorIteratorBaseEENKUlvE_clEvENKUlvE_clEvENKUlN3c107complexIdEEE_clES7_.uses_flat_scratch)
	.set _ZN2at6native29vectorized_elementwise_kernelILi2EZZZNS0_16asin_kernel_cudaERNS_18TensorIteratorBaseEENKUlvE_clEvENKUlvE_clEvEUlN3c107complexIdEEE_St5arrayIPcLm2EEEEviT0_T1_.has_dyn_sized_stack, or(0, .L_ZZZZN2at6native16asin_kernel_cudaERNS_18TensorIteratorBaseEENKUlvE_clEvENKUlvE_clEvENKUlN3c107complexIdEEE_clES7_.has_dyn_sized_stack)
	.set _ZN2at6native29vectorized_elementwise_kernelILi2EZZZNS0_16asin_kernel_cudaERNS_18TensorIteratorBaseEENKUlvE_clEvENKUlvE_clEvEUlN3c107complexIdEEE_St5arrayIPcLm2EEEEviT0_T1_.has_recursion, or(0, .L_ZZZZN2at6native16asin_kernel_cudaERNS_18TensorIteratorBaseEENKUlvE_clEvENKUlvE_clEvENKUlN3c107complexIdEEE_clES7_.has_recursion)
	.set _ZN2at6native29vectorized_elementwise_kernelILi2EZZZNS0_16asin_kernel_cudaERNS_18TensorIteratorBaseEENKUlvE_clEvENKUlvE_clEvEUlN3c107complexIdEEE_St5arrayIPcLm2EEEEviT0_T1_.has_indirect_call, or(0, .L_ZZZZN2at6native16asin_kernel_cudaERNS_18TensorIteratorBaseEENKUlvE_clEvENKUlvE_clEvENKUlN3c107complexIdEEE_clES7_.has_indirect_call)
	.section	.AMDGPU.csdata,"",@progbits
; Kernel info:
; codeLenInByte = 1308
; TotalNumSgprs: 52
; NumVgprs: 69
; ScratchSize: 12
; MemoryBound: 0
; FloatMode: 240
; IeeeMode: 1
; LDSByteSize: 0 bytes/workgroup (compile time only)
; SGPRBlocks: 6
; VGPRBlocks: 17
; NumSGPRsForWavesPerEU: 52
; NumVGPRsForWavesPerEU: 69
; Occupancy: 3
; WaveLimiterHint : 1
; COMPUTE_PGM_RSRC2:SCRATCH_EN: 1
; COMPUTE_PGM_RSRC2:USER_SGPR: 8
; COMPUTE_PGM_RSRC2:TRAP_HANDLER: 0
; COMPUTE_PGM_RSRC2:TGID_X_EN: 1
; COMPUTE_PGM_RSRC2:TGID_Y_EN: 0
; COMPUTE_PGM_RSRC2:TGID_Z_EN: 0
; COMPUTE_PGM_RSRC2:TIDIG_COMP_CNT: 0
	.section	.text._ZN2at6native27unrolled_elementwise_kernelIZZZNS0_16asin_kernel_cudaERNS_18TensorIteratorBaseEENKUlvE_clEvENKUlvE_clEvEUlN3c107complexIdEEE_St5arrayIPcLm2EELi4E23TrivialOffsetCalculatorILi1EjESE_NS0_6memory15LoadWithoutCastENSF_16StoreWithoutCastEEEviT_T0_T2_T3_T4_T5_,"axG",@progbits,_ZN2at6native27unrolled_elementwise_kernelIZZZNS0_16asin_kernel_cudaERNS_18TensorIteratorBaseEENKUlvE_clEvENKUlvE_clEvEUlN3c107complexIdEEE_St5arrayIPcLm2EELi4E23TrivialOffsetCalculatorILi1EjESE_NS0_6memory15LoadWithoutCastENSF_16StoreWithoutCastEEEviT_T0_T2_T3_T4_T5_,comdat
	.globl	_ZN2at6native27unrolled_elementwise_kernelIZZZNS0_16asin_kernel_cudaERNS_18TensorIteratorBaseEENKUlvE_clEvENKUlvE_clEvEUlN3c107complexIdEEE_St5arrayIPcLm2EELi4E23TrivialOffsetCalculatorILi1EjESE_NS0_6memory15LoadWithoutCastENSF_16StoreWithoutCastEEEviT_T0_T2_T3_T4_T5_ ; -- Begin function _ZN2at6native27unrolled_elementwise_kernelIZZZNS0_16asin_kernel_cudaERNS_18TensorIteratorBaseEENKUlvE_clEvENKUlvE_clEvEUlN3c107complexIdEEE_St5arrayIPcLm2EELi4E23TrivialOffsetCalculatorILi1EjESE_NS0_6memory15LoadWithoutCastENSF_16StoreWithoutCastEEEviT_T0_T2_T3_T4_T5_
	.p2align	8
	.type	_ZN2at6native27unrolled_elementwise_kernelIZZZNS0_16asin_kernel_cudaERNS_18TensorIteratorBaseEENKUlvE_clEvENKUlvE_clEvEUlN3c107complexIdEEE_St5arrayIPcLm2EELi4E23TrivialOffsetCalculatorILi1EjESE_NS0_6memory15LoadWithoutCastENSF_16StoreWithoutCastEEEviT_T0_T2_T3_T4_T5_,@function
_ZN2at6native27unrolled_elementwise_kernelIZZZNS0_16asin_kernel_cudaERNS_18TensorIteratorBaseEENKUlvE_clEvENKUlvE_clEvEUlN3c107complexIdEEE_St5arrayIPcLm2EELi4E23TrivialOffsetCalculatorILi1EjESE_NS0_6memory15LoadWithoutCastENSF_16StoreWithoutCastEEEviT_T0_T2_T3_T4_T5_: ; @_ZN2at6native27unrolled_elementwise_kernelIZZZNS0_16asin_kernel_cudaERNS_18TensorIteratorBaseEENKUlvE_clEvENKUlvE_clEvEUlN3c107complexIdEEE_St5arrayIPcLm2EELi4E23TrivialOffsetCalculatorILi1EjESE_NS0_6memory15LoadWithoutCastENSF_16StoreWithoutCastEEEviT_T0_T2_T3_T4_T5_
; %bb.0:
	s_add_u32 flat_scratch_lo, s6, s9
	s_load_dword s6, s[4:5], 0x0
	s_load_dwordx4 s[36:39], s[4:5], 0x8
	s_addc_u32 flat_scratch_hi, s7, 0
	s_add_u32 s0, s0, s9
	s_addc_u32 s1, s1, 0
	s_lshl_b32 s27, s8, 10
	v_mov_b32_e32 v47, v0
	s_waitcnt lgkmcnt(0)
	s_sub_i32 s33, s6, s27
	v_mov_b32_e32 v50, 0
	v_mov_b32_e32 v0, 0
	;; [unrolled: 1-line block ×3, first 2 shown]
	v_cmp_gt_i32_e64 s[34:35], s33, v47
	v_mov_b32_e32 v51, 0
	v_or_b32_e32 v66, s27, v47
	v_mov_b32_e32 v1, 0
	v_mov_b32_e32 v3, 0
	;; [unrolled: 1-line block ×3, first 2 shown]
	s_mov_b32 s32, 0
	s_and_saveexec_b64 s[4:5], s[34:35]
	s_cbranch_execz .LBB5_2
; %bb.1:
	v_mov_b32_e32 v67, 0
	v_lshlrev_b64 v[0:1], 4, v[66:67]
	v_mov_b32_e32 v2, s39
	v_add_co_u32_e32 v0, vcc, s38, v0
	v_addc_co_u32_e32 v1, vcc, v2, v1, vcc
	global_load_dwordx4 v[0:3], v[0:1], off
	v_or_b32_e32 v4, 0x100, v47
.LBB5_2:
	s_or_b64 exec, exec, s[4:5]
	v_mov_b32_e32 v52, 0
	v_mov_b32_e32 v53, 0
	v_cmp_gt_i32_e32 vcc, s33, v4
	s_and_saveexec_b64 s[4:5], vcc
	s_cbranch_execz .LBB5_4
; %bb.3:
	v_add_u32_e32 v5, s27, v4
	v_mov_b32_e32 v6, 0
	v_lshlrev_b64 v[5:6], 4, v[5:6]
	v_mov_b32_e32 v7, s39
	v_add_co_u32_e32 v5, vcc, s38, v5
	v_addc_co_u32_e32 v6, vcc, v7, v6, vcc
	global_load_dwordx4 v[50:53], v[5:6], off
	v_add_u32_e32 v4, 0x100, v4
.LBB5_4:
	s_or_b64 exec, exec, s[4:5]
	v_mov_b32_e32 v43, 0
	v_mov_b32_e32 v58, 0
	;; [unrolled: 1-line block ×6, first 2 shown]
	v_cmp_gt_i32_e32 vcc, s33, v4
	s_and_saveexec_b64 s[4:5], vcc
	s_cbranch_execz .LBB5_6
; %bb.5:
	v_add_u32_e32 v5, s27, v4
	v_mov_b32_e32 v6, 0
	v_lshlrev_b64 v[5:6], 4, v[5:6]
	v_mov_b32_e32 v7, s39
	v_add_co_u32_e32 v5, vcc, s38, v5
	v_addc_co_u32_e32 v6, vcc, v7, v6, vcc
	global_load_dwordx4 v[58:61], v[5:6], off
	v_add_u32_e32 v4, 0x100, v4
.LBB5_6:
	s_or_b64 exec, exec, s[4:5]
	v_mov_b32_e32 v45, 0
	v_mov_b32_e32 v46, 0
	v_cmp_gt_i32_e32 vcc, s33, v4
	s_and_saveexec_b64 s[4:5], vcc
	s_cbranch_execz .LBB5_8
; %bb.7:
	v_add_u32_e32 v4, s27, v4
	v_mov_b32_e32 v5, 0
	v_lshlrev_b64 v[4:5], 4, v[4:5]
	v_mov_b32_e32 v6, s39
	v_add_co_u32_e32 v4, vcc, s38, v4
	v_addc_co_u32_e32 v5, vcc, v6, v5, vcc
	global_load_dwordx4 v[43:46], v[4:5], off
.LBB5_8:
	s_or_b64 exec, exec, s[4:5]
	v_mov_b32_e32 v41, 0
	v_mov_b32_e32 v56, 0
	;; [unrolled: 1-line block ×6, first 2 shown]
	s_and_saveexec_b64 s[38:39], s[34:35]
	s_cbranch_execz .LBB5_10
; %bb.9:
	s_getpc_b64 s[4:5]
	s_add_u32 s4, s4, _ZZZZN2at6native16asin_kernel_cudaERNS_18TensorIteratorBaseEENKUlvE_clEvENKUlvE_clEvENKUlN3c107complexIdEEE_clES7_@rel32@lo+4
	s_addc_u32 s5, s5, _ZZZZN2at6native16asin_kernel_cudaERNS_18TensorIteratorBaseEENKUlvE_clEvENKUlvE_clEvENKUlN3c107complexIdEEE_clES7_@rel32@hi+12
	s_swappc_b64 s[30:31], s[4:5]
	v_mov_b32_e32 v54, v0
	v_mov_b32_e32 v55, v1
	;; [unrolled: 1-line block ×4, first 2 shown]
.LBB5_10:
	s_or_b64 exec, exec, s[38:39]
	v_or_b32_e32 v68, 0x100, v47
	v_mov_b32_e32 v39, 0
	v_mov_b32_e32 v40, 0
	v_cmp_gt_i32_e32 vcc, s33, v68
	s_and_saveexec_b64 s[38:39], vcc
	s_cbranch_execz .LBB5_12
; %bb.11:
	s_getpc_b64 s[4:5]
	s_add_u32 s4, s4, _ZZZZN2at6native16asin_kernel_cudaERNS_18TensorIteratorBaseEENKUlvE_clEvENKUlvE_clEvENKUlN3c107complexIdEEE_clES7_@rel32@lo+4
	s_addc_u32 s5, s5, _ZZZZN2at6native16asin_kernel_cudaERNS_18TensorIteratorBaseEENKUlvE_clEvENKUlvE_clEvENKUlN3c107complexIdEEE_clES7_@rel32@hi+12
	s_waitcnt vmcnt(0)
	v_mov_b32_e32 v0, v50
	v_mov_b32_e32 v1, v51
	;; [unrolled: 1-line block ×4, first 2 shown]
	s_swappc_b64 s[30:31], s[4:5]
	v_mov_b32_e32 v39, v0
	v_mov_b32_e32 v40, v1
	;; [unrolled: 1-line block ×4, first 2 shown]
.LBB5_12:
	s_or_b64 exec, exec, s[38:39]
	s_waitcnt vmcnt(0)
	v_or_b32_e32 v0, 0x200, v47
	v_mov_b32_e32 v52, 0
	v_mov_b32_e32 v64, 0
	;; [unrolled: 1-line block ×6, first 2 shown]
	v_cmp_gt_i32_e32 vcc, s33, v0
	s_and_saveexec_b64 s[38:39], vcc
	s_cbranch_execz .LBB5_14
; %bb.13:
	s_getpc_b64 s[4:5]
	s_add_u32 s4, s4, _ZZZZN2at6native16asin_kernel_cudaERNS_18TensorIteratorBaseEENKUlvE_clEvENKUlvE_clEvENKUlN3c107complexIdEEE_clES7_@rel32@lo+4
	s_addc_u32 s5, s5, _ZZZZN2at6native16asin_kernel_cudaERNS_18TensorIteratorBaseEENKUlvE_clEvENKUlvE_clEvENKUlN3c107complexIdEEE_clES7_@rel32@hi+12
	v_mov_b32_e32 v0, v58
	v_mov_b32_e32 v1, v59
	;; [unrolled: 1-line block ×4, first 2 shown]
	s_swappc_b64 s[30:31], s[4:5]
	v_mov_b32_e32 v62, v0
	v_mov_b32_e32 v63, v1
	;; [unrolled: 1-line block ×4, first 2 shown]
.LBB5_14:
	s_or_b64 exec, exec, s[38:39]
	v_or_b32_e32 v0, 0x300, v47
	v_mov_b32_e32 v50, 0
	v_mov_b32_e32 v51, 0
	v_cmp_gt_i32_e32 vcc, s33, v0
	s_and_saveexec_b64 s[38:39], vcc
	s_cbranch_execnz .LBB5_20
; %bb.15:
	s_or_b64 exec, exec, s[38:39]
	s_and_saveexec_b64 s[4:5], s[34:35]
	s_xor_b64 s[4:5], exec, s[4:5]
	s_cbranch_execnz .LBB5_21
.LBB5_16:
	s_or_b64 exec, exec, s[4:5]
	v_cmp_gt_i32_e32 vcc, s33, v47
	s_and_saveexec_b64 s[4:5], vcc
	s_cbranch_execnz .LBB5_22
.LBB5_17:
	s_or_b64 exec, exec, s[4:5]
	v_cmp_gt_i32_e32 vcc, s33, v47
	s_and_saveexec_b64 s[4:5], vcc
	s_cbranch_execnz .LBB5_23
.LBB5_18:
	s_or_b64 exec, exec, s[4:5]
	v_cmp_gt_i32_e32 vcc, s33, v47
	s_and_saveexec_b64 s[4:5], vcc
	s_cbranch_execnz .LBB5_24
.LBB5_19:
	s_endpgm
.LBB5_20:
	s_getpc_b64 s[4:5]
	s_add_u32 s4, s4, _ZZZZN2at6native16asin_kernel_cudaERNS_18TensorIteratorBaseEENKUlvE_clEvENKUlvE_clEvENKUlN3c107complexIdEEE_clES7_@rel32@lo+4
	s_addc_u32 s5, s5, _ZZZZN2at6native16asin_kernel_cudaERNS_18TensorIteratorBaseEENKUlvE_clEvENKUlvE_clEvENKUlN3c107complexIdEEE_clES7_@rel32@hi+12
	v_mov_b32_e32 v0, v43
	v_mov_b32_e32 v1, v44
	;; [unrolled: 1-line block ×4, first 2 shown]
	s_swappc_b64 s[30:31], s[4:5]
	v_mov_b32_e32 v50, v0
	v_mov_b32_e32 v51, v1
	v_mov_b32_e32 v52, v2
	v_mov_b32_e32 v53, v3
	s_or_b64 exec, exec, s[38:39]
	s_and_saveexec_b64 s[4:5], s[34:35]
	s_xor_b64 s[4:5], exec, s[4:5]
	s_cbranch_execz .LBB5_16
.LBB5_21:
	v_mov_b32_e32 v67, 0
	v_lshlrev_b64 v[0:1], 4, v[66:67]
	v_mov_b32_e32 v2, s37
	v_add_co_u32_e32 v0, vcc, s36, v0
	v_addc_co_u32_e32 v1, vcc, v2, v1, vcc
	v_mov_b32_e32 v47, v68
	global_store_dwordx4 v[0:1], v[54:57], off
	s_or_b64 exec, exec, s[4:5]
	v_cmp_gt_i32_e32 vcc, s33, v47
	s_and_saveexec_b64 s[4:5], vcc
	s_cbranch_execz .LBB5_17
.LBB5_22:
	v_add_u32_e32 v0, s27, v47
	v_mov_b32_e32 v1, 0
	v_lshlrev_b64 v[0:1], 4, v[0:1]
	v_add_u32_e32 v2, 0x100, v47
	v_mov_b32_e32 v3, s37
	v_add_co_u32_e32 v0, vcc, s36, v0
	v_addc_co_u32_e32 v1, vcc, v3, v1, vcc
	v_mov_b32_e32 v47, v2
	global_store_dwordx4 v[0:1], v[39:42], off
	s_or_b64 exec, exec, s[4:5]
	v_cmp_gt_i32_e32 vcc, s33, v47
	s_and_saveexec_b64 s[4:5], vcc
	s_cbranch_execz .LBB5_18
.LBB5_23:
	v_add_u32_e32 v0, s27, v47
	v_mov_b32_e32 v1, 0
	v_lshlrev_b64 v[0:1], 4, v[0:1]
	v_add_u32_e32 v2, 0x100, v47
	v_mov_b32_e32 v3, s37
	v_add_co_u32_e32 v0, vcc, s36, v0
	v_addc_co_u32_e32 v1, vcc, v3, v1, vcc
	v_mov_b32_e32 v47, v2
	global_store_dwordx4 v[0:1], v[62:65], off
	s_or_b64 exec, exec, s[4:5]
	v_cmp_gt_i32_e32 vcc, s33, v47
	s_and_saveexec_b64 s[4:5], vcc
	s_cbranch_execz .LBB5_19
.LBB5_24:
	v_add_u32_e32 v0, s27, v47
	v_mov_b32_e32 v1, 0
	v_lshlrev_b64 v[0:1], 4, v[0:1]
	v_mov_b32_e32 v2, s37
	v_add_co_u32_e32 v0, vcc, s36, v0
	v_addc_co_u32_e32 v1, vcc, v2, v1, vcc
	global_store_dwordx4 v[0:1], v[50:53], off
	s_endpgm
	.section	.rodata,"a",@progbits
	.p2align	6, 0x0
	.amdhsa_kernel _ZN2at6native27unrolled_elementwise_kernelIZZZNS0_16asin_kernel_cudaERNS_18TensorIteratorBaseEENKUlvE_clEvENKUlvE_clEvEUlN3c107complexIdEEE_St5arrayIPcLm2EELi4E23TrivialOffsetCalculatorILi1EjESE_NS0_6memory15LoadWithoutCastENSF_16StoreWithoutCastEEEviT_T0_T2_T3_T4_T5_
		.amdhsa_group_segment_fixed_size 0
		.amdhsa_private_segment_fixed_size 12
		.amdhsa_kernarg_size 28
		.amdhsa_user_sgpr_count 8
		.amdhsa_user_sgpr_private_segment_buffer 1
		.amdhsa_user_sgpr_dispatch_ptr 0
		.amdhsa_user_sgpr_queue_ptr 0
		.amdhsa_user_sgpr_kernarg_segment_ptr 1
		.amdhsa_user_sgpr_dispatch_id 0
		.amdhsa_user_sgpr_flat_scratch_init 1
		.amdhsa_user_sgpr_private_segment_size 0
		.amdhsa_uses_dynamic_stack 0
		.amdhsa_system_sgpr_private_segment_wavefront_offset 1
		.amdhsa_system_sgpr_workgroup_id_x 1
		.amdhsa_system_sgpr_workgroup_id_y 0
		.amdhsa_system_sgpr_workgroup_id_z 0
		.amdhsa_system_sgpr_workgroup_info 0
		.amdhsa_system_vgpr_workitem_id 0
		.amdhsa_next_free_vgpr 69
		.amdhsa_next_free_sgpr 42
		.amdhsa_reserve_vcc 1
		.amdhsa_reserve_flat_scratch 1
		.amdhsa_float_round_mode_32 0
		.amdhsa_float_round_mode_16_64 0
		.amdhsa_float_denorm_mode_32 3
		.amdhsa_float_denorm_mode_16_64 3
		.amdhsa_dx10_clamp 1
		.amdhsa_ieee_mode 1
		.amdhsa_fp16_overflow 0
		.amdhsa_exception_fp_ieee_invalid_op 0
		.amdhsa_exception_fp_denorm_src 0
		.amdhsa_exception_fp_ieee_div_zero 0
		.amdhsa_exception_fp_ieee_overflow 0
		.amdhsa_exception_fp_ieee_underflow 0
		.amdhsa_exception_fp_ieee_inexact 0
		.amdhsa_exception_int_div_zero 0
	.end_amdhsa_kernel
	.section	.text._ZN2at6native27unrolled_elementwise_kernelIZZZNS0_16asin_kernel_cudaERNS_18TensorIteratorBaseEENKUlvE_clEvENKUlvE_clEvEUlN3c107complexIdEEE_St5arrayIPcLm2EELi4E23TrivialOffsetCalculatorILi1EjESE_NS0_6memory15LoadWithoutCastENSF_16StoreWithoutCastEEEviT_T0_T2_T3_T4_T5_,"axG",@progbits,_ZN2at6native27unrolled_elementwise_kernelIZZZNS0_16asin_kernel_cudaERNS_18TensorIteratorBaseEENKUlvE_clEvENKUlvE_clEvEUlN3c107complexIdEEE_St5arrayIPcLm2EELi4E23TrivialOffsetCalculatorILi1EjESE_NS0_6memory15LoadWithoutCastENSF_16StoreWithoutCastEEEviT_T0_T2_T3_T4_T5_,comdat
.Lfunc_end5:
	.size	_ZN2at6native27unrolled_elementwise_kernelIZZZNS0_16asin_kernel_cudaERNS_18TensorIteratorBaseEENKUlvE_clEvENKUlvE_clEvEUlN3c107complexIdEEE_St5arrayIPcLm2EELi4E23TrivialOffsetCalculatorILi1EjESE_NS0_6memory15LoadWithoutCastENSF_16StoreWithoutCastEEEviT_T0_T2_T3_T4_T5_, .Lfunc_end5-_ZN2at6native27unrolled_elementwise_kernelIZZZNS0_16asin_kernel_cudaERNS_18TensorIteratorBaseEENKUlvE_clEvENKUlvE_clEvEUlN3c107complexIdEEE_St5arrayIPcLm2EELi4E23TrivialOffsetCalculatorILi1EjESE_NS0_6memory15LoadWithoutCastENSF_16StoreWithoutCastEEEviT_T0_T2_T3_T4_T5_
                                        ; -- End function
	.set _ZN2at6native27unrolled_elementwise_kernelIZZZNS0_16asin_kernel_cudaERNS_18TensorIteratorBaseEENKUlvE_clEvENKUlvE_clEvEUlN3c107complexIdEEE_St5arrayIPcLm2EELi4E23TrivialOffsetCalculatorILi1EjESE_NS0_6memory15LoadWithoutCastENSF_16StoreWithoutCastEEEviT_T0_T2_T3_T4_T5_.num_vgpr, max(69, .L_ZZZZN2at6native16asin_kernel_cudaERNS_18TensorIteratorBaseEENKUlvE_clEvENKUlvE_clEvENKUlN3c107complexIdEEE_clES7_.num_vgpr)
	.set _ZN2at6native27unrolled_elementwise_kernelIZZZNS0_16asin_kernel_cudaERNS_18TensorIteratorBaseEENKUlvE_clEvENKUlvE_clEvEUlN3c107complexIdEEE_St5arrayIPcLm2EELi4E23TrivialOffsetCalculatorILi1EjESE_NS0_6memory15LoadWithoutCastENSF_16StoreWithoutCastEEEviT_T0_T2_T3_T4_T5_.num_agpr, max(0, .L_ZZZZN2at6native16asin_kernel_cudaERNS_18TensorIteratorBaseEENKUlvE_clEvENKUlvE_clEvENKUlN3c107complexIdEEE_clES7_.num_agpr)
	.set _ZN2at6native27unrolled_elementwise_kernelIZZZNS0_16asin_kernel_cudaERNS_18TensorIteratorBaseEENKUlvE_clEvENKUlvE_clEvEUlN3c107complexIdEEE_St5arrayIPcLm2EELi4E23TrivialOffsetCalculatorILi1EjESE_NS0_6memory15LoadWithoutCastENSF_16StoreWithoutCastEEEviT_T0_T2_T3_T4_T5_.numbered_sgpr, max(40, .L_ZZZZN2at6native16asin_kernel_cudaERNS_18TensorIteratorBaseEENKUlvE_clEvENKUlvE_clEvENKUlN3c107complexIdEEE_clES7_.numbered_sgpr)
	.set _ZN2at6native27unrolled_elementwise_kernelIZZZNS0_16asin_kernel_cudaERNS_18TensorIteratorBaseEENKUlvE_clEvENKUlvE_clEvEUlN3c107complexIdEEE_St5arrayIPcLm2EELi4E23TrivialOffsetCalculatorILi1EjESE_NS0_6memory15LoadWithoutCastENSF_16StoreWithoutCastEEEviT_T0_T2_T3_T4_T5_.num_named_barrier, max(0, .L_ZZZZN2at6native16asin_kernel_cudaERNS_18TensorIteratorBaseEENKUlvE_clEvENKUlvE_clEvENKUlN3c107complexIdEEE_clES7_.num_named_barrier)
	.set _ZN2at6native27unrolled_elementwise_kernelIZZZNS0_16asin_kernel_cudaERNS_18TensorIteratorBaseEENKUlvE_clEvENKUlvE_clEvEUlN3c107complexIdEEE_St5arrayIPcLm2EELi4E23TrivialOffsetCalculatorILi1EjESE_NS0_6memory15LoadWithoutCastENSF_16StoreWithoutCastEEEviT_T0_T2_T3_T4_T5_.private_seg_size, 0+max(.L_ZZZZN2at6native16asin_kernel_cudaERNS_18TensorIteratorBaseEENKUlvE_clEvENKUlvE_clEvENKUlN3c107complexIdEEE_clES7_.private_seg_size)
	.set _ZN2at6native27unrolled_elementwise_kernelIZZZNS0_16asin_kernel_cudaERNS_18TensorIteratorBaseEENKUlvE_clEvENKUlvE_clEvEUlN3c107complexIdEEE_St5arrayIPcLm2EELi4E23TrivialOffsetCalculatorILi1EjESE_NS0_6memory15LoadWithoutCastENSF_16StoreWithoutCastEEEviT_T0_T2_T3_T4_T5_.uses_vcc, or(1, .L_ZZZZN2at6native16asin_kernel_cudaERNS_18TensorIteratorBaseEENKUlvE_clEvENKUlvE_clEvENKUlN3c107complexIdEEE_clES7_.uses_vcc)
	.set _ZN2at6native27unrolled_elementwise_kernelIZZZNS0_16asin_kernel_cudaERNS_18TensorIteratorBaseEENKUlvE_clEvENKUlvE_clEvEUlN3c107complexIdEEE_St5arrayIPcLm2EELi4E23TrivialOffsetCalculatorILi1EjESE_NS0_6memory15LoadWithoutCastENSF_16StoreWithoutCastEEEviT_T0_T2_T3_T4_T5_.uses_flat_scratch, or(1, .L_ZZZZN2at6native16asin_kernel_cudaERNS_18TensorIteratorBaseEENKUlvE_clEvENKUlvE_clEvENKUlN3c107complexIdEEE_clES7_.uses_flat_scratch)
	.set _ZN2at6native27unrolled_elementwise_kernelIZZZNS0_16asin_kernel_cudaERNS_18TensorIteratorBaseEENKUlvE_clEvENKUlvE_clEvEUlN3c107complexIdEEE_St5arrayIPcLm2EELi4E23TrivialOffsetCalculatorILi1EjESE_NS0_6memory15LoadWithoutCastENSF_16StoreWithoutCastEEEviT_T0_T2_T3_T4_T5_.has_dyn_sized_stack, or(0, .L_ZZZZN2at6native16asin_kernel_cudaERNS_18TensorIteratorBaseEENKUlvE_clEvENKUlvE_clEvENKUlN3c107complexIdEEE_clES7_.has_dyn_sized_stack)
	.set _ZN2at6native27unrolled_elementwise_kernelIZZZNS0_16asin_kernel_cudaERNS_18TensorIteratorBaseEENKUlvE_clEvENKUlvE_clEvEUlN3c107complexIdEEE_St5arrayIPcLm2EELi4E23TrivialOffsetCalculatorILi1EjESE_NS0_6memory15LoadWithoutCastENSF_16StoreWithoutCastEEEviT_T0_T2_T3_T4_T5_.has_recursion, or(0, .L_ZZZZN2at6native16asin_kernel_cudaERNS_18TensorIteratorBaseEENKUlvE_clEvENKUlvE_clEvENKUlN3c107complexIdEEE_clES7_.has_recursion)
	.set _ZN2at6native27unrolled_elementwise_kernelIZZZNS0_16asin_kernel_cudaERNS_18TensorIteratorBaseEENKUlvE_clEvENKUlvE_clEvEUlN3c107complexIdEEE_St5arrayIPcLm2EELi4E23TrivialOffsetCalculatorILi1EjESE_NS0_6memory15LoadWithoutCastENSF_16StoreWithoutCastEEEviT_T0_T2_T3_T4_T5_.has_indirect_call, or(0, .L_ZZZZN2at6native16asin_kernel_cudaERNS_18TensorIteratorBaseEENKUlvE_clEvENKUlvE_clEvENKUlN3c107complexIdEEE_clES7_.has_indirect_call)
	.section	.AMDGPU.csdata,"",@progbits
; Kernel info:
; codeLenInByte = 1020
; TotalNumSgprs: 48
; NumVgprs: 69
; ScratchSize: 12
; MemoryBound: 0
; FloatMode: 240
; IeeeMode: 1
; LDSByteSize: 0 bytes/workgroup (compile time only)
; SGPRBlocks: 5
; VGPRBlocks: 17
; NumSGPRsForWavesPerEU: 48
; NumVGPRsForWavesPerEU: 69
; Occupancy: 3
; WaveLimiterHint : 0
; COMPUTE_PGM_RSRC2:SCRATCH_EN: 1
; COMPUTE_PGM_RSRC2:USER_SGPR: 8
; COMPUTE_PGM_RSRC2:TRAP_HANDLER: 0
; COMPUTE_PGM_RSRC2:TGID_X_EN: 1
; COMPUTE_PGM_RSRC2:TGID_Y_EN: 0
; COMPUTE_PGM_RSRC2:TGID_Z_EN: 0
; COMPUTE_PGM_RSRC2:TIDIG_COMP_CNT: 0
	.section	.text._ZN2at6native32elementwise_kernel_manual_unrollILi128ELi4EZNS0_22gpu_kernel_impl_nocastIZZZNS0_16asin_kernel_cudaERNS_18TensorIteratorBaseEENKUlvE_clEvENKUlvE_clEvEUlN3c107complexIdEEE_EEvS4_RKT_EUlibE_EEviT1_,"axG",@progbits,_ZN2at6native32elementwise_kernel_manual_unrollILi128ELi4EZNS0_22gpu_kernel_impl_nocastIZZZNS0_16asin_kernel_cudaERNS_18TensorIteratorBaseEENKUlvE_clEvENKUlvE_clEvEUlN3c107complexIdEEE_EEvS4_RKT_EUlibE_EEviT1_,comdat
	.globl	_ZN2at6native32elementwise_kernel_manual_unrollILi128ELi4EZNS0_22gpu_kernel_impl_nocastIZZZNS0_16asin_kernel_cudaERNS_18TensorIteratorBaseEENKUlvE_clEvENKUlvE_clEvEUlN3c107complexIdEEE_EEvS4_RKT_EUlibE_EEviT1_ ; -- Begin function _ZN2at6native32elementwise_kernel_manual_unrollILi128ELi4EZNS0_22gpu_kernel_impl_nocastIZZZNS0_16asin_kernel_cudaERNS_18TensorIteratorBaseEENKUlvE_clEvENKUlvE_clEvEUlN3c107complexIdEEE_EEvS4_RKT_EUlibE_EEviT1_
	.p2align	8
	.type	_ZN2at6native32elementwise_kernel_manual_unrollILi128ELi4EZNS0_22gpu_kernel_impl_nocastIZZZNS0_16asin_kernel_cudaERNS_18TensorIteratorBaseEENKUlvE_clEvENKUlvE_clEvEUlN3c107complexIdEEE_EEvS4_RKT_EUlibE_EEviT1_,@function
_ZN2at6native32elementwise_kernel_manual_unrollILi128ELi4EZNS0_22gpu_kernel_impl_nocastIZZZNS0_16asin_kernel_cudaERNS_18TensorIteratorBaseEENKUlvE_clEvENKUlvE_clEvEUlN3c107complexIdEEE_EEvS4_RKT_EUlibE_EEviT1_: ; @_ZN2at6native32elementwise_kernel_manual_unrollILi128ELi4EZNS0_22gpu_kernel_impl_nocastIZZZNS0_16asin_kernel_cudaERNS_18TensorIteratorBaseEENKUlvE_clEvENKUlvE_clEvEUlN3c107complexIdEEE_EEvS4_RKT_EUlibE_EEviT1_
; %bb.0:
	s_add_u32 flat_scratch_lo, s6, s9
	s_load_dword s65, s[4:5], 0x0
	s_load_dword s33, s[4:5], 0x8
	s_addc_u32 flat_scratch_hi, s7, 0
	s_add_u32 s0, s0, s9
	s_addc_u32 s1, s1, 0
	s_add_u32 s34, s4, 8
	s_addc_u32 s35, s5, 0
	v_lshl_or_b32 v41, s8, 9, v0
	s_waitcnt lgkmcnt(0)
	s_add_i32 s64, s33, -1
	v_or_b32_e32 v4, 0x180, v41
	s_cmp_gt_u32 s64, 1
	v_cmp_le_i32_e32 vcc, s65, v4
	s_cselect_b64 s[42:43], -1, 0
	s_mov_b64 s[44:45], 0
	s_mov_b32 s32, 0
                                        ; implicit-def: $vgpr60_vgpr61
                                        ; implicit-def: $vgpr2_vgpr3
	s_and_saveexec_b64 s[4:5], vcc
	s_xor_b64 s[52:53], exec, s[4:5]
	s_cbranch_execnz .LBB6_4
; %bb.1:
	s_andn2_saveexec_b64 s[46:47], s[52:53]
	s_cbranch_execnz .LBB6_69
.LBB6_2:
	s_or_b64 exec, exec, s[46:47]
	s_and_saveexec_b64 s[4:5], s[44:45]
	s_cbranch_execnz .LBB6_126
.LBB6_3:
	s_endpgm
.LBB6_4:
	s_load_dwordx4 s[48:51], s[34:35], 0x4
	s_load_dwordx2 s[54:55], s[34:35], 0x14
	s_load_dwordx4 s[44:47], s[34:35], 0xc4
	s_load_dwordx4 s[36:39], s[34:35], 0x148
	s_cmp_lg_u32 s33, 0
	s_cselect_b64 s[60:61], -1, 0
	s_add_u32 s58, s34, 0xc4
	s_addc_u32 s59, s35, 0
	s_min_u32 s66, s64, 15
	s_cmp_gt_u32 s33, 1
	s_cselect_b64 s[56:57], -1, 0
	v_cmp_gt_i32_e32 vcc, s65, v41
	s_and_saveexec_b64 s[62:63], vcc
	s_cbranch_execnz .LBB6_7
; %bb.5:
	s_or_b64 exec, exec, s[62:63]
	v_cmp_gt_i32_e32 vcc, s65, v41
	s_and_saveexec_b64 s[62:63], vcc
	s_cbranch_execnz .LBB6_22
.LBB6_6:
	s_or_b64 exec, exec, s[62:63]
	v_cmp_gt_i32_e32 vcc, s65, v41
	s_and_saveexec_b64 s[62:63], vcc
	s_cbranch_execnz .LBB6_37
	s_branch .LBB6_52
.LBB6_7:
	s_andn2_b64 vcc, exec, s[42:43]
	s_cbranch_vccnz .LBB6_12
; %bb.8:
	s_andn2_b64 vcc, exec, s[60:61]
	s_cbranch_vccnz .LBB6_13
; %bb.9:
	s_add_i32 s29, s66, 1
	s_cmp_eq_u32 s64, 2
	s_cbranch_scc1 .LBB6_14
; %bb.10:
	s_and_b32 s28, s29, 28
	v_mov_b32_e32 v0, 0
	s_mov_b32 s30, 0
	s_mov_b64 s[24:25], s[34:35]
	s_mov_b64 s[26:27], s[58:59]
	v_mov_b32_e32 v39, 0
	v_mov_b32_e32 v1, v41
.LBB6_11:                               ; =>This Inner Loop Header: Depth=1
	s_load_dwordx8 s[12:19], s[24:25], 0x4
	s_load_dwordx4 s[20:23], s[24:25], 0x24
	s_load_dwordx8 s[4:11], s[26:27], 0x0
	s_add_u32 s24, s24, 48
	s_addc_u32 s25, s25, 0
	s_waitcnt lgkmcnt(0)
	v_mul_hi_u32 v2, s13, v1
	s_add_i32 s30, s30, 4
	s_add_u32 s26, s26, 32
	s_addc_u32 s27, s27, 0
	v_add_u32_e32 v2, v1, v2
	v_lshrrev_b32_e32 v2, s14, v2
	v_mul_lo_u32 v3, v2, s12
	v_mul_hi_u32 v4, s16, v2
	s_cmp_lg_u32 s28, s30
	v_sub_u32_e32 v1, v1, v3
	v_add_u32_e32 v3, v2, v4
	v_mul_lo_u32 v4, v1, s4
	v_mul_lo_u32 v5, v1, s5
	v_lshrrev_b32_e32 v1, s17, v3
	v_mul_lo_u32 v3, v1, s15
	v_mul_hi_u32 v6, s19, v1
	v_sub_u32_e32 v2, v2, v3
	v_add_u32_e32 v3, v1, v6
	v_lshrrev_b32_e32 v3, s20, v3
	v_mul_hi_u32 v7, s22, v3
	v_mul_lo_u32 v8, v3, s18
	v_mul_lo_u32 v6, v2, s6
	;; [unrolled: 1-line block ×3, first 2 shown]
	v_sub_u32_e32 v8, v1, v8
	v_add_u32_e32 v1, v3, v7
	v_lshrrev_b32_e32 v1, s23, v1
	v_mul_lo_u32 v7, v1, s21
	v_mul_lo_u32 v9, v8, s8
	;; [unrolled: 1-line block ×3, first 2 shown]
	v_add3_u32 v4, v4, v39, v6
	v_sub_u32_e32 v3, v3, v7
	v_mul_lo_u32 v7, v3, s10
	v_mul_lo_u32 v3, v3, s11
	v_add3_u32 v0, v5, v0, v2
	v_add3_u32 v39, v9, v4, v7
	;; [unrolled: 1-line block ×3, first 2 shown]
	s_cbranch_scc1 .LBB6_11
	s_branch .LBB6_15
.LBB6_12:
                                        ; implicit-def: $vgpr39
                                        ; implicit-def: $vgpr0
	s_branch .LBB6_19
.LBB6_13:
	v_mov_b32_e32 v39, 0
	v_mov_b32_e32 v0, 0
	s_branch .LBB6_18
.LBB6_14:
	s_mov_b32 s28, 0
	v_mov_b32_e32 v39, 0
	v_mov_b32_e32 v0, 0
	;; [unrolled: 1-line block ×3, first 2 shown]
.LBB6_15:
	s_and_b32 s8, s29, 3
	s_cmp_eq_u32 s8, 0
	s_cbranch_scc1 .LBB6_18
; %bb.16:
	s_lshl_b32 s4, s28, 3
	s_add_u32 s4, s34, s4
	s_addc_u32 s5, s35, 0
	s_add_u32 s4, s4, 0xc4
	s_addc_u32 s5, s5, 0
	s_mul_i32 s6, s28, 12
	s_add_u32 s6, s34, s6
	s_addc_u32 s7, s35, 0
.LBB6_17:                               ; =>This Inner Loop Header: Depth=1
	s_load_dwordx2 s[10:11], s[6:7], 0x4
	s_load_dword s9, s[6:7], 0xc
	s_load_dwordx2 s[12:13], s[4:5], 0x0
	s_add_u32 s6, s6, 12
	s_addc_u32 s7, s7, 0
	s_waitcnt lgkmcnt(0)
	v_mul_hi_u32 v2, s11, v1
	s_add_u32 s4, s4, 8
	s_addc_u32 s5, s5, 0
	s_add_i32 s8, s8, -1
	v_add_u32_e32 v2, v1, v2
	v_lshrrev_b32_e32 v2, s9, v2
	v_mul_lo_u32 v3, v2, s10
	s_cmp_lg_u32 s8, 0
	v_sub_u32_e32 v1, v1, v3
	v_mad_u64_u32 v[39:40], s[10:11], v1, s12, v[39:40]
	v_mad_u64_u32 v[0:1], s[10:11], v1, s13, v[0:1]
	v_mov_b32_e32 v1, v2
	s_cbranch_scc1 .LBB6_17
.LBB6_18:
	s_cbranch_execnz .LBB6_21
.LBB6_19:
	s_waitcnt lgkmcnt(0)
	v_mul_hi_u32 v0, s49, v41
	s_andn2_b64 vcc, exec, s[56:57]
	v_add_u32_e32 v0, v41, v0
	v_lshrrev_b32_e32 v1, s50, v0
	v_mul_lo_u32 v0, v1, s48
	v_sub_u32_e32 v0, v41, v0
	v_mul_lo_u32 v39, v0, s44
	v_mul_lo_u32 v0, v0, s45
	s_cbranch_vccnz .LBB6_21
; %bb.20:
	v_mul_hi_u32 v2, s54, v1
	v_add_u32_e32 v2, v1, v2
	v_lshrrev_b32_e32 v2, s55, v2
	v_mul_lo_u32 v2, v2, s51
	v_sub_u32_e32 v1, v1, v2
	v_mad_u64_u32 v[39:40], s[4:5], v1, s46, v[39:40]
	v_mad_u64_u32 v[0:1], s[4:5], v1, s47, v[0:1]
.LBB6_21:
	s_waitcnt lgkmcnt(0)
	global_load_dwordx4 v[0:3], v0, s[38:39]
	s_getpc_b64 s[4:5]
	s_add_u32 s4, s4, _ZZZZN2at6native16asin_kernel_cudaERNS_18TensorIteratorBaseEENKUlvE_clEvENKUlvE_clEvENKUlN3c107complexIdEEE_clES7_@rel32@lo+4
	s_addc_u32 s5, s5, _ZZZZN2at6native16asin_kernel_cudaERNS_18TensorIteratorBaseEENKUlvE_clEvENKUlvE_clEvENKUlN3c107complexIdEEE_clES7_@rel32@hi+12
	s_swappc_b64 s[30:31], s[4:5]
	v_add_u32_e32 v41, 0x80, v41
	global_store_dwordx4 v39, v[0:3], s[36:37]
	s_or_b64 exec, exec, s[62:63]
	v_cmp_gt_i32_e32 vcc, s65, v41
	s_and_saveexec_b64 s[62:63], vcc
	s_cbranch_execz .LBB6_6
.LBB6_22:
	s_andn2_b64 vcc, exec, s[42:43]
	s_cbranch_vccnz .LBB6_27
; %bb.23:
	s_andn2_b64 vcc, exec, s[60:61]
	s_cbranch_vccnz .LBB6_28
; %bb.24:
	s_add_i32 s29, s66, 1
	s_cmp_eq_u32 s64, 2
	s_cbranch_scc1 .LBB6_29
; %bb.25:
	s_and_b32 s28, s29, 28
	v_mov_b32_e32 v0, 0
	s_mov_b32 s30, 0
	s_mov_b64 s[24:25], s[34:35]
	s_mov_b64 s[26:27], s[58:59]
	v_mov_b32_e32 v39, 0
	v_mov_b32_e32 v1, v41
.LBB6_26:                               ; =>This Inner Loop Header: Depth=1
	s_load_dwordx8 s[12:19], s[24:25], 0x4
	s_load_dwordx4 s[20:23], s[24:25], 0x24
	s_load_dwordx8 s[4:11], s[26:27], 0x0
	s_add_u32 s24, s24, 48
	s_addc_u32 s25, s25, 0
	s_waitcnt lgkmcnt(0)
	v_mul_hi_u32 v2, s13, v1
	s_add_i32 s30, s30, 4
	s_add_u32 s26, s26, 32
	s_addc_u32 s27, s27, 0
	v_add_u32_e32 v2, v1, v2
	v_lshrrev_b32_e32 v2, s14, v2
	v_mul_lo_u32 v3, v2, s12
	v_mul_hi_u32 v4, s16, v2
	s_cmp_eq_u32 s28, s30
	v_sub_u32_e32 v1, v1, v3
	v_add_u32_e32 v3, v2, v4
	v_mul_lo_u32 v4, v1, s4
	v_mul_lo_u32 v5, v1, s5
	v_lshrrev_b32_e32 v1, s17, v3
	v_mul_lo_u32 v3, v1, s15
	v_mul_hi_u32 v6, s19, v1
	v_sub_u32_e32 v2, v2, v3
	v_add_u32_e32 v3, v1, v6
	v_lshrrev_b32_e32 v3, s20, v3
	v_mul_hi_u32 v7, s22, v3
	v_mul_lo_u32 v8, v3, s18
	v_mul_lo_u32 v6, v2, s6
	;; [unrolled: 1-line block ×3, first 2 shown]
	v_sub_u32_e32 v8, v1, v8
	v_add_u32_e32 v1, v3, v7
	v_lshrrev_b32_e32 v1, s23, v1
	v_mul_lo_u32 v7, v1, s21
	v_mul_lo_u32 v9, v8, s8
	;; [unrolled: 1-line block ×3, first 2 shown]
	v_add3_u32 v4, v4, v39, v6
	v_sub_u32_e32 v3, v3, v7
	v_mul_lo_u32 v7, v3, s10
	v_mul_lo_u32 v3, v3, s11
	v_add3_u32 v0, v5, v0, v2
	v_add3_u32 v39, v9, v4, v7
	;; [unrolled: 1-line block ×3, first 2 shown]
	s_cbranch_scc0 .LBB6_26
	s_branch .LBB6_30
.LBB6_27:
                                        ; implicit-def: $vgpr39
                                        ; implicit-def: $vgpr0
	s_branch .LBB6_34
.LBB6_28:
	v_mov_b32_e32 v39, 0
	v_mov_b32_e32 v0, 0
	s_branch .LBB6_33
.LBB6_29:
	s_mov_b32 s28, 0
	v_mov_b32_e32 v39, 0
	v_mov_b32_e32 v0, 0
	;; [unrolled: 1-line block ×3, first 2 shown]
.LBB6_30:
	s_and_b32 s8, s29, 3
	s_cmp_eq_u32 s8, 0
	s_cbranch_scc1 .LBB6_33
; %bb.31:
	s_lshl_b32 s4, s28, 3
	s_add_u32 s4, s34, s4
	s_addc_u32 s5, s35, 0
	s_add_u32 s4, s4, 0xc4
	s_addc_u32 s5, s5, 0
	s_mul_i32 s6, s28, 12
	s_add_u32 s6, s34, s6
	s_addc_u32 s7, s35, 0
.LBB6_32:                               ; =>This Inner Loop Header: Depth=1
	s_load_dwordx2 s[10:11], s[6:7], 0x4
	s_load_dword s9, s[6:7], 0xc
	s_load_dwordx2 s[12:13], s[4:5], 0x0
	s_add_u32 s6, s6, 12
	s_addc_u32 s7, s7, 0
	s_waitcnt lgkmcnt(0)
	v_mul_hi_u32 v2, s11, v1
	s_add_u32 s4, s4, 8
	s_addc_u32 s5, s5, 0
	s_add_i32 s8, s8, -1
	v_add_u32_e32 v2, v1, v2
	v_lshrrev_b32_e32 v2, s9, v2
	v_mul_lo_u32 v3, v2, s10
	s_cmp_lg_u32 s8, 0
	v_sub_u32_e32 v1, v1, v3
	v_mad_u64_u32 v[39:40], s[10:11], v1, s12, v[39:40]
	v_mad_u64_u32 v[0:1], s[10:11], v1, s13, v[0:1]
	v_mov_b32_e32 v1, v2
	s_cbranch_scc1 .LBB6_32
.LBB6_33:
	s_cbranch_execnz .LBB6_36
.LBB6_34:
	s_waitcnt lgkmcnt(0)
	v_mul_hi_u32 v0, s49, v41
	s_andn2_b64 vcc, exec, s[56:57]
	v_add_u32_e32 v0, v41, v0
	v_lshrrev_b32_e32 v1, s50, v0
	v_mul_lo_u32 v0, v1, s48
	v_sub_u32_e32 v0, v41, v0
	v_mul_lo_u32 v39, v0, s44
	v_mul_lo_u32 v0, v0, s45
	s_cbranch_vccnz .LBB6_36
; %bb.35:
	v_mul_hi_u32 v2, s54, v1
	v_add_u32_e32 v2, v1, v2
	v_lshrrev_b32_e32 v2, s55, v2
	v_mul_lo_u32 v2, v2, s51
	v_sub_u32_e32 v1, v1, v2
	v_mad_u64_u32 v[39:40], s[4:5], v1, s46, v[39:40]
	v_mad_u64_u32 v[0:1], s[4:5], v1, s47, v[0:1]
.LBB6_36:
	s_waitcnt lgkmcnt(0)
	global_load_dwordx4 v[0:3], v0, s[38:39]
	s_getpc_b64 s[4:5]
	s_add_u32 s4, s4, _ZZZZN2at6native16asin_kernel_cudaERNS_18TensorIteratorBaseEENKUlvE_clEvENKUlvE_clEvENKUlN3c107complexIdEEE_clES7_@rel32@lo+4
	s_addc_u32 s5, s5, _ZZZZN2at6native16asin_kernel_cudaERNS_18TensorIteratorBaseEENKUlvE_clEvENKUlvE_clEvENKUlN3c107complexIdEEE_clES7_@rel32@hi+12
	s_swappc_b64 s[30:31], s[4:5]
	v_add_u32_e32 v41, 0x80, v41
	global_store_dwordx4 v39, v[0:3], s[36:37]
	s_or_b64 exec, exec, s[62:63]
	v_cmp_gt_i32_e32 vcc, s65, v41
	s_and_saveexec_b64 s[62:63], vcc
	s_cbranch_execz .LBB6_52
.LBB6_37:
	s_andn2_b64 vcc, exec, s[42:43]
	s_cbranch_vccnz .LBB6_42
; %bb.38:
	s_andn2_b64 vcc, exec, s[60:61]
	s_cbranch_vccnz .LBB6_43
; %bb.39:
	s_add_i32 s29, s66, 1
	s_cmp_eq_u32 s64, 2
	s_cbranch_scc1 .LBB6_44
; %bb.40:
	s_and_b32 s28, s29, 28
	v_mov_b32_e32 v0, 0
	s_mov_b32 s30, 0
	s_mov_b64 s[24:25], s[34:35]
	s_mov_b64 s[26:27], s[58:59]
	v_mov_b32_e32 v39, 0
	v_mov_b32_e32 v1, v41
.LBB6_41:                               ; =>This Inner Loop Header: Depth=1
	s_load_dwordx8 s[12:19], s[24:25], 0x4
	s_load_dwordx4 s[20:23], s[24:25], 0x24
	s_load_dwordx8 s[4:11], s[26:27], 0x0
	s_add_u32 s24, s24, 48
	s_addc_u32 s25, s25, 0
	s_waitcnt lgkmcnt(0)
	v_mul_hi_u32 v2, s13, v1
	s_add_i32 s30, s30, 4
	s_add_u32 s26, s26, 32
	s_addc_u32 s27, s27, 0
	v_add_u32_e32 v2, v1, v2
	v_lshrrev_b32_e32 v2, s14, v2
	v_mul_lo_u32 v3, v2, s12
	v_mul_hi_u32 v4, s16, v2
	s_cmp_eq_u32 s28, s30
	v_sub_u32_e32 v1, v1, v3
	v_add_u32_e32 v3, v2, v4
	v_mul_lo_u32 v4, v1, s4
	v_mul_lo_u32 v5, v1, s5
	v_lshrrev_b32_e32 v1, s17, v3
	v_mul_lo_u32 v3, v1, s15
	v_mul_hi_u32 v6, s19, v1
	v_sub_u32_e32 v2, v2, v3
	v_add_u32_e32 v3, v1, v6
	v_lshrrev_b32_e32 v3, s20, v3
	v_mul_hi_u32 v7, s22, v3
	v_mul_lo_u32 v8, v3, s18
	v_mul_lo_u32 v6, v2, s6
	;; [unrolled: 1-line block ×3, first 2 shown]
	v_sub_u32_e32 v8, v1, v8
	v_add_u32_e32 v1, v3, v7
	v_lshrrev_b32_e32 v1, s23, v1
	v_mul_lo_u32 v7, v1, s21
	v_mul_lo_u32 v9, v8, s8
	;; [unrolled: 1-line block ×3, first 2 shown]
	v_add3_u32 v4, v4, v39, v6
	v_sub_u32_e32 v3, v3, v7
	v_mul_lo_u32 v7, v3, s10
	v_mul_lo_u32 v3, v3, s11
	v_add3_u32 v0, v5, v0, v2
	v_add3_u32 v39, v9, v4, v7
	;; [unrolled: 1-line block ×3, first 2 shown]
	s_cbranch_scc0 .LBB6_41
	s_branch .LBB6_45
.LBB6_42:
                                        ; implicit-def: $vgpr39
                                        ; implicit-def: $vgpr0
	s_branch .LBB6_49
.LBB6_43:
	v_mov_b32_e32 v39, 0
	v_mov_b32_e32 v0, 0
	s_branch .LBB6_48
.LBB6_44:
	s_mov_b32 s28, 0
	v_mov_b32_e32 v39, 0
	v_mov_b32_e32 v0, 0
	;; [unrolled: 1-line block ×3, first 2 shown]
.LBB6_45:
	s_and_b32 s8, s29, 3
	s_cmp_eq_u32 s8, 0
	s_cbranch_scc1 .LBB6_48
; %bb.46:
	s_lshl_b32 s4, s28, 3
	s_add_u32 s4, s34, s4
	s_addc_u32 s5, s35, 0
	s_add_u32 s4, s4, 0xc4
	s_addc_u32 s5, s5, 0
	s_mul_i32 s6, s28, 12
	s_add_u32 s6, s34, s6
	s_addc_u32 s7, s35, 0
.LBB6_47:                               ; =>This Inner Loop Header: Depth=1
	s_load_dwordx2 s[10:11], s[6:7], 0x4
	s_load_dword s9, s[6:7], 0xc
	s_load_dwordx2 s[12:13], s[4:5], 0x0
	s_add_u32 s6, s6, 12
	s_addc_u32 s7, s7, 0
	s_waitcnt lgkmcnt(0)
	v_mul_hi_u32 v2, s11, v1
	s_add_u32 s4, s4, 8
	s_addc_u32 s5, s5, 0
	s_add_i32 s8, s8, -1
	v_add_u32_e32 v2, v1, v2
	v_lshrrev_b32_e32 v2, s9, v2
	v_mul_lo_u32 v3, v2, s10
	s_cmp_lg_u32 s8, 0
	v_sub_u32_e32 v1, v1, v3
	v_mad_u64_u32 v[39:40], s[10:11], v1, s12, v[39:40]
	v_mad_u64_u32 v[0:1], s[10:11], v1, s13, v[0:1]
	v_mov_b32_e32 v1, v2
	s_cbranch_scc1 .LBB6_47
.LBB6_48:
	s_cbranch_execnz .LBB6_51
.LBB6_49:
	s_waitcnt lgkmcnt(0)
	v_mul_hi_u32 v0, s49, v41
	s_andn2_b64 vcc, exec, s[56:57]
	v_add_u32_e32 v0, v41, v0
	v_lshrrev_b32_e32 v1, s50, v0
	v_mul_lo_u32 v0, v1, s48
	v_sub_u32_e32 v0, v41, v0
	v_mul_lo_u32 v39, v0, s44
	v_mul_lo_u32 v0, v0, s45
	s_cbranch_vccnz .LBB6_51
; %bb.50:
	v_mul_hi_u32 v2, s54, v1
	v_add_u32_e32 v2, v1, v2
	v_lshrrev_b32_e32 v2, s55, v2
	v_mul_lo_u32 v2, v2, s51
	v_sub_u32_e32 v1, v1, v2
	v_mad_u64_u32 v[39:40], s[4:5], v1, s46, v[39:40]
	v_mad_u64_u32 v[0:1], s[4:5], v1, s47, v[0:1]
.LBB6_51:
	s_waitcnt lgkmcnt(0)
	global_load_dwordx4 v[0:3], v0, s[38:39]
	s_getpc_b64 s[4:5]
	s_add_u32 s4, s4, _ZZZZN2at6native16asin_kernel_cudaERNS_18TensorIteratorBaseEENKUlvE_clEvENKUlvE_clEvENKUlN3c107complexIdEEE_clES7_@rel32@lo+4
	s_addc_u32 s5, s5, _ZZZZN2at6native16asin_kernel_cudaERNS_18TensorIteratorBaseEENKUlvE_clEvENKUlvE_clEvENKUlN3c107complexIdEEE_clES7_@rel32@hi+12
	s_swappc_b64 s[30:31], s[4:5]
	v_add_u32_e32 v41, 0x80, v41
	global_store_dwordx4 v39, v[0:3], s[36:37]
.LBB6_52:
	s_or_b64 exec, exec, s[62:63]
	v_cmp_gt_i32_e32 vcc, s65, v41
	s_mov_b64 s[4:5], 0
                                        ; implicit-def: $vgpr60_vgpr61
                                        ; implicit-def: $vgpr2_vgpr3
	s_and_saveexec_b64 s[62:63], vcc
	s_cbranch_execz .LBB6_68
; %bb.53:
	s_andn2_b64 vcc, exec, s[42:43]
	s_cbranch_vccnz .LBB6_58
; %bb.54:
	s_andn2_b64 vcc, exec, s[60:61]
	s_cbranch_vccnz .LBB6_59
; %bb.55:
	s_add_i32 s66, s66, 1
	s_cmp_eq_u32 s64, 2
	s_cbranch_scc1 .LBB6_60
; %bb.56:
	s_and_b32 s26, s66, 28
	v_mov_b32_e32 v0, 0
	s_mov_b32 s27, 0
	s_mov_b64 s[24:25], s[34:35]
	v_mov_b32_e32 v39, 0
	v_mov_b32_e32 v1, v41
.LBB6_57:                               ; =>This Inner Loop Header: Depth=1
	s_load_dwordx8 s[12:19], s[24:25], 0x4
	s_load_dwordx4 s[20:23], s[24:25], 0x24
	s_load_dwordx8 s[4:11], s[58:59], 0x0
	s_add_u32 s24, s24, 48
	s_addc_u32 s25, s25, 0
	s_waitcnt lgkmcnt(0)
	v_mul_hi_u32 v2, s13, v1
	s_add_i32 s27, s27, 4
	s_add_u32 s58, s58, 32
	s_addc_u32 s59, s59, 0
	v_add_u32_e32 v2, v1, v2
	v_lshrrev_b32_e32 v2, s14, v2
	v_mul_lo_u32 v3, v2, s12
	v_mul_hi_u32 v4, s16, v2
	s_cmp_eq_u32 s26, s27
	v_sub_u32_e32 v1, v1, v3
	v_add_u32_e32 v3, v2, v4
	v_mul_lo_u32 v4, v1, s4
	v_mul_lo_u32 v5, v1, s5
	v_lshrrev_b32_e32 v1, s17, v3
	v_mul_lo_u32 v3, v1, s15
	v_mul_hi_u32 v6, s19, v1
	v_sub_u32_e32 v2, v2, v3
	v_add_u32_e32 v3, v1, v6
	v_lshrrev_b32_e32 v3, s20, v3
	v_mul_hi_u32 v7, s22, v3
	v_mul_lo_u32 v8, v3, s18
	v_mul_lo_u32 v6, v2, s6
	;; [unrolled: 1-line block ×3, first 2 shown]
	v_sub_u32_e32 v8, v1, v8
	v_add_u32_e32 v1, v3, v7
	v_lshrrev_b32_e32 v1, s23, v1
	v_mul_lo_u32 v7, v1, s21
	v_mul_lo_u32 v9, v8, s8
	;; [unrolled: 1-line block ×3, first 2 shown]
	v_add3_u32 v4, v4, v39, v6
	v_sub_u32_e32 v3, v3, v7
	v_mul_lo_u32 v7, v3, s10
	v_mul_lo_u32 v3, v3, s11
	v_add3_u32 v0, v5, v0, v2
	v_add3_u32 v39, v9, v4, v7
	;; [unrolled: 1-line block ×3, first 2 shown]
	s_cbranch_scc0 .LBB6_57
	s_branch .LBB6_61
.LBB6_58:
                                        ; implicit-def: $vgpr39
                                        ; implicit-def: $vgpr0
	s_branch .LBB6_65
.LBB6_59:
	v_mov_b32_e32 v39, 0
	v_mov_b32_e32 v0, 0
	s_branch .LBB6_64
.LBB6_60:
	s_mov_b32 s26, 0
	v_mov_b32_e32 v39, 0
	v_mov_b32_e32 v0, 0
	;; [unrolled: 1-line block ×3, first 2 shown]
.LBB6_61:
	s_and_b32 s8, s66, 3
	s_cmp_eq_u32 s8, 0
	s_cbranch_scc1 .LBB6_64
; %bb.62:
	s_lshl_b32 s4, s26, 3
	s_add_u32 s4, s34, s4
	s_addc_u32 s5, s35, 0
	s_add_u32 s4, s4, 0xc4
	s_addc_u32 s5, s5, 0
	s_mul_i32 s6, s26, 12
	s_add_u32 s6, s34, s6
	s_addc_u32 s7, s35, 0
.LBB6_63:                               ; =>This Inner Loop Header: Depth=1
	s_load_dwordx2 s[10:11], s[6:7], 0x4
	s_load_dword s9, s[6:7], 0xc
	s_load_dwordx2 s[12:13], s[4:5], 0x0
	s_add_u32 s6, s6, 12
	s_addc_u32 s7, s7, 0
	s_waitcnt lgkmcnt(0)
	v_mul_hi_u32 v2, s11, v1
	s_add_u32 s4, s4, 8
	s_addc_u32 s5, s5, 0
	s_add_i32 s8, s8, -1
	v_add_u32_e32 v2, v1, v2
	v_lshrrev_b32_e32 v2, s9, v2
	v_mul_lo_u32 v3, v2, s10
	s_cmp_lg_u32 s8, 0
	v_sub_u32_e32 v1, v1, v3
	v_mad_u64_u32 v[39:40], s[10:11], v1, s12, v[39:40]
	v_mad_u64_u32 v[0:1], s[10:11], v1, s13, v[0:1]
	v_mov_b32_e32 v1, v2
	s_cbranch_scc1 .LBB6_63
.LBB6_64:
	s_cbranch_execnz .LBB6_67
.LBB6_65:
	s_waitcnt lgkmcnt(0)
	v_mul_hi_u32 v0, s49, v41
	s_andn2_b64 vcc, exec, s[56:57]
	v_add_u32_e32 v0, v41, v0
	v_lshrrev_b32_e32 v1, s50, v0
	v_mul_lo_u32 v0, v1, s48
	v_sub_u32_e32 v0, v41, v0
	v_mul_lo_u32 v39, v0, s44
	v_mul_lo_u32 v0, v0, s45
	s_cbranch_vccnz .LBB6_67
; %bb.66:
	v_mul_hi_u32 v2, s54, v1
	v_add_u32_e32 v2, v1, v2
	v_lshrrev_b32_e32 v2, s55, v2
	v_mul_lo_u32 v2, v2, s51
	v_sub_u32_e32 v1, v1, v2
	v_mad_u64_u32 v[39:40], s[4:5], v1, s46, v[39:40]
	v_mad_u64_u32 v[0:1], s[4:5], v1, s47, v[0:1]
.LBB6_67:
	s_waitcnt lgkmcnt(0)
	global_load_dwordx4 v[0:3], v0, s[38:39]
	v_mov_b32_e32 v4, s37
	s_getpc_b64 s[4:5]
	s_add_u32 s4, s4, _ZZZZN2at6native16asin_kernel_cudaERNS_18TensorIteratorBaseEENKUlvE_clEvENKUlvE_clEvENKUlN3c107complexIdEEE_clES7_@rel32@lo+4
	s_addc_u32 s5, s5, _ZZZZN2at6native16asin_kernel_cudaERNS_18TensorIteratorBaseEENKUlvE_clEvENKUlvE_clEvENKUlN3c107complexIdEEE_clES7_@rel32@hi+12
	v_add_co_u32_e32 v60, vcc, s36, v39
	v_addc_co_u32_e32 v61, vcc, 0, v4, vcc
	s_swappc_b64 s[30:31], s[4:5]
	s_mov_b64 s[4:5], exec
	global_store_dwordx2 v39, v[0:1], s[36:37]
.LBB6_68:
	s_or_b64 exec, exec, s[62:63]
	s_waitcnt lgkmcnt(0)
	s_and_b64 s[44:45], s[4:5], exec
                                        ; implicit-def: $vgpr4
                                        ; implicit-def: $vgpr41
	s_andn2_saveexec_b64 s[46:47], s[52:53]
	s_cbranch_execz .LBB6_2
.LBB6_69:
	v_cndmask_b32_e64 v0, 0, 1, s[42:43]
	v_cmp_ne_u32_e64 s[4:5], 1, v0
	s_andn2_b64 vcc, exec, s[42:43]
	s_cbranch_vccnz .LBB6_75
; %bb.70:
	s_cmp_lg_u32 s33, 0
	s_mov_b32 s30, 0
	s_cbranch_scc0 .LBB6_76
; %bb.71:
	s_min_u32 s31, s64, 15
	s_add_i32 s31, s31, 1
	s_cmp_eq_u32 s64, 2
	s_cbranch_scc1 .LBB6_77
; %bb.72:
	s_and_b32 s30, s31, 28
	s_add_u32 s6, s34, 0xc4
	s_addc_u32 s7, s35, 0
	v_mov_b32_e32 v0, 0
	s_mov_b32 s36, 0
	s_mov_b64 s[28:29], s[34:35]
	v_mov_b32_e32 v54, 0
	v_mov_b32_e32 v1, v41
.LBB6_73:                               ; =>This Inner Loop Header: Depth=1
	s_load_dwordx8 s[16:23], s[28:29], 0x4
	s_load_dwordx4 s[24:27], s[28:29], 0x24
	s_load_dwordx8 s[8:15], s[6:7], 0x0
	s_add_u32 s28, s28, 48
	s_addc_u32 s29, s29, 0
	s_waitcnt lgkmcnt(0)
	v_mul_hi_u32 v2, s17, v1
	s_add_i32 s36, s36, 4
	s_add_u32 s6, s6, 32
	s_addc_u32 s7, s7, 0
	v_add_u32_e32 v2, v1, v2
	v_lshrrev_b32_e32 v2, s18, v2
	v_mul_lo_u32 v3, v2, s16
	v_mul_hi_u32 v5, s20, v2
	s_cmp_lg_u32 s30, s36
	v_sub_u32_e32 v1, v1, v3
	v_add_u32_e32 v3, v2, v5
	v_mul_lo_u32 v5, v1, s8
	v_mul_lo_u32 v6, v1, s9
	v_lshrrev_b32_e32 v1, s21, v3
	v_mul_lo_u32 v3, v1, s19
	v_mul_hi_u32 v7, s23, v1
	v_sub_u32_e32 v2, v2, v3
	v_add_u32_e32 v3, v1, v7
	v_lshrrev_b32_e32 v3, s24, v3
	v_mul_hi_u32 v8, s26, v3
	v_mul_lo_u32 v9, v3, s22
	v_mul_lo_u32 v7, v2, s10
	;; [unrolled: 1-line block ×3, first 2 shown]
	v_sub_u32_e32 v9, v1, v9
	v_add_u32_e32 v1, v3, v8
	v_lshrrev_b32_e32 v1, s27, v1
	v_mul_lo_u32 v8, v1, s25
	v_mul_lo_u32 v10, v9, s12
	;; [unrolled: 1-line block ×3, first 2 shown]
	v_add3_u32 v5, v5, v54, v7
	v_sub_u32_e32 v3, v3, v8
	v_mul_lo_u32 v8, v3, s14
	v_mul_lo_u32 v3, v3, s15
	v_add3_u32 v0, v6, v0, v2
	v_add3_u32 v54, v10, v5, v8
	;; [unrolled: 1-line block ×3, first 2 shown]
	s_cbranch_scc1 .LBB6_73
; %bb.74:
	s_and_b32 s10, s31, 3
	s_cmp_eq_u32 s10, 0
	s_cbranch_scc0 .LBB6_78
	s_branch .LBB6_80
.LBB6_75:
                                        ; implicit-def: $vgpr54
                                        ; implicit-def: $vgpr0
	s_branch .LBB6_81
.LBB6_76:
	v_mov_b32_e32 v54, 0
	v_mov_b32_e32 v0, 0
	s_branch .LBB6_80
.LBB6_77:
	v_mov_b32_e32 v54, 0
	v_mov_b32_e32 v0, 0
	;; [unrolled: 1-line block ×3, first 2 shown]
	s_and_b32 s10, s31, 3
	s_cmp_eq_u32 s10, 0
	s_cbranch_scc1 .LBB6_80
.LBB6_78:
	s_lshl_b32 s6, s30, 3
	s_add_u32 s6, s34, s6
	s_addc_u32 s7, s35, 0
	s_add_u32 s6, s6, 0xc4
	s_addc_u32 s7, s7, 0
	s_mul_i32 s8, s30, 12
	s_add_u32 s8, s34, s8
	s_addc_u32 s9, s35, 0
.LBB6_79:                               ; =>This Inner Loop Header: Depth=1
	s_load_dwordx2 s[12:13], s[8:9], 0x4
	s_load_dword s11, s[8:9], 0xc
	s_load_dwordx2 s[14:15], s[6:7], 0x0
	s_add_u32 s8, s8, 12
	s_addc_u32 s9, s9, 0
	s_waitcnt lgkmcnt(0)
	v_mul_hi_u32 v2, s13, v1
	s_add_u32 s6, s6, 8
	s_addc_u32 s7, s7, 0
	s_add_i32 s10, s10, -1
	v_add_u32_e32 v2, v1, v2
	v_lshrrev_b32_e32 v2, s11, v2
	v_mul_lo_u32 v3, v2, s12
	s_cmp_lg_u32 s10, 0
	v_sub_u32_e32 v1, v1, v3
	v_mad_u64_u32 v[54:55], s[12:13], v1, s14, v[54:55]
	v_mad_u64_u32 v[0:1], s[12:13], v1, s15, v[0:1]
	v_mov_b32_e32 v1, v2
	s_cbranch_scc1 .LBB6_79
.LBB6_80:
	s_cbranch_execnz .LBB6_83
.LBB6_81:
	s_load_dwordx4 s[8:11], s[34:35], 0x4
	s_load_dwordx2 s[6:7], s[34:35], 0xc4
	s_cmp_lt_u32 s33, 2
	s_waitcnt lgkmcnt(0)
	v_mul_hi_u32 v0, s9, v41
	v_add_u32_e32 v0, v41, v0
	v_lshrrev_b32_e32 v1, s10, v0
	v_mul_lo_u32 v0, v1, s8
	v_sub_u32_e32 v0, v41, v0
	v_mul_lo_u32 v54, v0, s6
	v_mul_lo_u32 v0, v0, s7
	s_cbranch_scc1 .LBB6_83
; %bb.82:
	s_load_dwordx4 s[8:11], s[34:35], 0x10
	s_load_dwordx2 s[6:7], s[34:35], 0xcc
	s_waitcnt lgkmcnt(0)
	v_mul_hi_u32 v2, s9, v1
	v_add_u32_e32 v2, v1, v2
	v_lshrrev_b32_e32 v2, s10, v2
	v_mul_lo_u32 v2, v2, s8
	v_sub_u32_e32 v1, v1, v2
	v_mad_u64_u32 v[54:55], s[8:9], v1, s6, v[54:55]
	v_mad_u64_u32 v[0:1], s[6:7], v1, s7, v[0:1]
.LBB6_83:
	s_and_b64 vcc, exec, s[4:5]
	v_add_u32_e32 v1, 0x80, v41
	s_cbranch_vccnz .LBB6_89
; %bb.84:
	s_cmp_lg_u32 s33, 0
	s_mov_b32 s30, 0
	s_cbranch_scc0 .LBB6_90
; %bb.85:
	s_min_u32 s31, s64, 15
	s_add_i32 s31, s31, 1
	s_cmp_eq_u32 s64, 2
	s_cbranch_scc1 .LBB6_91
; %bb.86:
	s_and_b32 s30, s31, 28
	s_add_u32 s6, s34, 0xc4
	s_addc_u32 s7, s35, 0
	v_mov_b32_e32 v43, 0
	s_mov_b32 s36, 0
	s_mov_b64 s[28:29], s[34:35]
	v_mov_b32_e32 v55, 0
	v_mov_b32_e32 v2, v1
.LBB6_87:                               ; =>This Inner Loop Header: Depth=1
	s_load_dwordx8 s[16:23], s[28:29], 0x4
	s_load_dwordx4 s[24:27], s[28:29], 0x24
	s_load_dwordx8 s[8:15], s[6:7], 0x0
	s_add_u32 s28, s28, 48
	s_addc_u32 s29, s29, 0
	s_waitcnt lgkmcnt(0)
	v_mul_hi_u32 v3, s17, v2
	s_add_i32 s36, s36, 4
	s_add_u32 s6, s6, 32
	s_addc_u32 s7, s7, 0
	v_add_u32_e32 v3, v2, v3
	v_lshrrev_b32_e32 v3, s18, v3
	v_mul_lo_u32 v5, v3, s16
	v_mul_hi_u32 v6, s20, v3
	s_cmp_lg_u32 s30, s36
	v_sub_u32_e32 v2, v2, v5
	v_add_u32_e32 v5, v3, v6
	v_mul_lo_u32 v6, v2, s8
	v_mul_lo_u32 v7, v2, s9
	v_lshrrev_b32_e32 v2, s21, v5
	v_mul_lo_u32 v5, v2, s19
	v_mul_hi_u32 v8, s23, v2
	v_sub_u32_e32 v3, v3, v5
	v_add_u32_e32 v5, v2, v8
	v_lshrrev_b32_e32 v5, s24, v5
	v_mul_hi_u32 v9, s26, v5
	v_mul_lo_u32 v10, v5, s22
	v_mul_lo_u32 v8, v3, s10
	;; [unrolled: 1-line block ×3, first 2 shown]
	v_sub_u32_e32 v10, v2, v10
	v_add_u32_e32 v2, v5, v9
	v_lshrrev_b32_e32 v2, s27, v2
	v_mul_lo_u32 v9, v2, s25
	v_mul_lo_u32 v11, v10, s12
	;; [unrolled: 1-line block ×3, first 2 shown]
	v_add3_u32 v6, v6, v55, v8
	v_sub_u32_e32 v5, v5, v9
	v_mul_lo_u32 v9, v5, s14
	v_mul_lo_u32 v5, v5, s15
	v_add3_u32 v3, v7, v43, v3
	v_add3_u32 v55, v11, v6, v9
	;; [unrolled: 1-line block ×3, first 2 shown]
	s_cbranch_scc1 .LBB6_87
; %bb.88:
	s_and_b32 s10, s31, 3
	s_cmp_eq_u32 s10, 0
	s_cbranch_scc0 .LBB6_92
	s_branch .LBB6_94
.LBB6_89:
                                        ; implicit-def: $vgpr55
                                        ; implicit-def: $vgpr43
	s_branch .LBB6_95
.LBB6_90:
	v_mov_b32_e32 v55, 0
	v_mov_b32_e32 v43, 0
	s_branch .LBB6_94
.LBB6_91:
	v_mov_b32_e32 v55, 0
	v_mov_b32_e32 v43, 0
	;; [unrolled: 1-line block ×3, first 2 shown]
	s_and_b32 s10, s31, 3
	s_cmp_eq_u32 s10, 0
	s_cbranch_scc1 .LBB6_94
.LBB6_92:
	s_lshl_b32 s6, s30, 3
	s_add_u32 s6, s34, s6
	s_addc_u32 s7, s35, 0
	s_add_u32 s6, s6, 0xc4
	s_addc_u32 s7, s7, 0
	s_mul_i32 s8, s30, 12
	s_add_u32 s8, s34, s8
	s_addc_u32 s9, s35, 0
.LBB6_93:                               ; =>This Inner Loop Header: Depth=1
	s_load_dwordx2 s[12:13], s[8:9], 0x4
	s_load_dword s11, s[8:9], 0xc
	s_load_dwordx2 s[14:15], s[6:7], 0x0
	s_add_u32 s8, s8, 12
	s_addc_u32 s9, s9, 0
	s_waitcnt lgkmcnt(0)
	v_mul_hi_u32 v3, s13, v2
	s_add_u32 s6, s6, 8
	s_addc_u32 s7, s7, 0
	s_add_i32 s10, s10, -1
	v_add_u32_e32 v3, v2, v3
	v_lshrrev_b32_e32 v3, s11, v3
	v_mul_lo_u32 v5, v3, s12
	s_cmp_lg_u32 s10, 0
	v_sub_u32_e32 v2, v2, v5
	v_mad_u64_u32 v[55:56], s[12:13], v2, s14, v[55:56]
	v_mad_u64_u32 v[43:44], s[12:13], v2, s15, v[43:44]
	v_mov_b32_e32 v2, v3
	s_cbranch_scc1 .LBB6_93
.LBB6_94:
	s_cbranch_execnz .LBB6_97
.LBB6_95:
	s_load_dwordx4 s[8:11], s[34:35], 0x4
	s_load_dwordx2 s[6:7], s[34:35], 0xc4
	s_cmp_lt_u32 s33, 2
	s_waitcnt lgkmcnt(0)
	v_mul_hi_u32 v2, s9, v1
	v_add_u32_e32 v2, v1, v2
	v_lshrrev_b32_e32 v2, s10, v2
	v_mul_lo_u32 v3, v2, s8
	v_sub_u32_e32 v1, v1, v3
	v_mul_lo_u32 v55, v1, s6
	v_mul_lo_u32 v43, v1, s7
	s_cbranch_scc1 .LBB6_97
; %bb.96:
	s_load_dwordx4 s[8:11], s[34:35], 0x10
	s_load_dwordx2 s[6:7], s[34:35], 0xcc
	s_waitcnt lgkmcnt(0)
	v_mul_hi_u32 v1, s9, v2
	v_add_u32_e32 v1, v2, v1
	v_lshrrev_b32_e32 v1, s10, v1
	v_mul_lo_u32 v1, v1, s8
	v_sub_u32_e32 v1, v2, v1
	v_mad_u64_u32 v[55:56], s[8:9], v1, s6, v[55:56]
	v_mad_u64_u32 v[43:44], s[6:7], v1, s7, v[43:44]
.LBB6_97:
	s_and_b64 vcc, exec, s[4:5]
	v_add_u32_e32 v1, 0x100, v41
	s_cbranch_vccnz .LBB6_103
; %bb.98:
	s_cmp_lg_u32 s33, 0
	s_mov_b32 s30, 0
	s_cbranch_scc0 .LBB6_104
; %bb.99:
	s_min_u32 s31, s64, 15
	s_add_i32 s31, s31, 1
	s_cmp_eq_u32 s64, 2
	s_cbranch_scc1 .LBB6_105
; %bb.100:
	s_and_b32 s30, s31, 28
	s_add_u32 s6, s34, 0xc4
	s_addc_u32 s7, s35, 0
	v_mov_b32_e32 v50, 0
	s_mov_b32 s36, 0
	s_mov_b64 s[28:29], s[34:35]
	v_mov_b32_e32 v56, 0
	v_mov_b32_e32 v2, v1
.LBB6_101:                              ; =>This Inner Loop Header: Depth=1
	s_load_dwordx8 s[16:23], s[28:29], 0x4
	s_load_dwordx4 s[24:27], s[28:29], 0x24
	s_load_dwordx8 s[8:15], s[6:7], 0x0
	s_add_u32 s28, s28, 48
	s_addc_u32 s29, s29, 0
	s_waitcnt lgkmcnt(0)
	v_mul_hi_u32 v3, s17, v2
	s_add_i32 s36, s36, 4
	s_add_u32 s6, s6, 32
	s_addc_u32 s7, s7, 0
	v_add_u32_e32 v3, v2, v3
	v_lshrrev_b32_e32 v3, s18, v3
	v_mul_lo_u32 v5, v3, s16
	v_mul_hi_u32 v6, s20, v3
	s_cmp_lg_u32 s30, s36
	v_sub_u32_e32 v2, v2, v5
	v_add_u32_e32 v5, v3, v6
	v_mul_lo_u32 v6, v2, s8
	v_mul_lo_u32 v7, v2, s9
	v_lshrrev_b32_e32 v2, s21, v5
	v_mul_lo_u32 v5, v2, s19
	v_mul_hi_u32 v8, s23, v2
	v_sub_u32_e32 v3, v3, v5
	v_add_u32_e32 v5, v2, v8
	v_lshrrev_b32_e32 v5, s24, v5
	v_mul_hi_u32 v9, s26, v5
	v_mul_lo_u32 v10, v5, s22
	v_mul_lo_u32 v8, v3, s10
	;; [unrolled: 1-line block ×3, first 2 shown]
	v_sub_u32_e32 v10, v2, v10
	v_add_u32_e32 v2, v5, v9
	v_lshrrev_b32_e32 v2, s27, v2
	v_mul_lo_u32 v9, v2, s25
	v_mul_lo_u32 v11, v10, s12
	;; [unrolled: 1-line block ×3, first 2 shown]
	v_add3_u32 v6, v6, v56, v8
	v_sub_u32_e32 v5, v5, v9
	v_mul_lo_u32 v9, v5, s14
	v_mul_lo_u32 v5, v5, s15
	v_add3_u32 v3, v7, v50, v3
	v_add3_u32 v56, v11, v6, v9
	;; [unrolled: 1-line block ×3, first 2 shown]
	s_cbranch_scc1 .LBB6_101
; %bb.102:
	s_and_b32 s10, s31, 3
	s_cmp_eq_u32 s10, 0
	s_cbranch_scc0 .LBB6_106
	s_branch .LBB6_108
.LBB6_103:
                                        ; implicit-def: $vgpr56
                                        ; implicit-def: $vgpr50
	s_branch .LBB6_109
.LBB6_104:
	v_mov_b32_e32 v56, 0
	v_mov_b32_e32 v50, 0
	s_branch .LBB6_108
.LBB6_105:
	v_mov_b32_e32 v56, 0
	v_mov_b32_e32 v50, 0
	;; [unrolled: 1-line block ×3, first 2 shown]
	s_and_b32 s10, s31, 3
	s_cmp_eq_u32 s10, 0
	s_cbranch_scc1 .LBB6_108
.LBB6_106:
	s_lshl_b32 s6, s30, 3
	s_add_u32 s6, s34, s6
	s_addc_u32 s7, s35, 0
	s_add_u32 s6, s6, 0xc4
	s_addc_u32 s7, s7, 0
	s_mul_i32 s8, s30, 12
	s_add_u32 s8, s34, s8
	s_addc_u32 s9, s35, 0
.LBB6_107:                              ; =>This Inner Loop Header: Depth=1
	s_load_dwordx2 s[12:13], s[8:9], 0x4
	s_load_dword s11, s[8:9], 0xc
	s_load_dwordx2 s[14:15], s[6:7], 0x0
	s_add_u32 s8, s8, 12
	s_addc_u32 s9, s9, 0
	s_waitcnt lgkmcnt(0)
	v_mul_hi_u32 v3, s13, v2
	s_add_u32 s6, s6, 8
	s_addc_u32 s7, s7, 0
	s_add_i32 s10, s10, -1
	v_add_u32_e32 v3, v2, v3
	v_lshrrev_b32_e32 v3, s11, v3
	v_mul_lo_u32 v5, v3, s12
	s_cmp_lg_u32 s10, 0
	v_sub_u32_e32 v2, v2, v5
	v_mad_u64_u32 v[56:57], s[12:13], v2, s14, v[56:57]
	v_mad_u64_u32 v[50:51], s[12:13], v2, s15, v[50:51]
	v_mov_b32_e32 v2, v3
	s_cbranch_scc1 .LBB6_107
.LBB6_108:
	s_cbranch_execnz .LBB6_111
.LBB6_109:
	s_load_dwordx4 s[8:11], s[34:35], 0x4
	s_load_dwordx2 s[6:7], s[34:35], 0xc4
	s_cmp_lt_u32 s33, 2
	s_waitcnt lgkmcnt(0)
	v_mul_hi_u32 v2, s9, v1
	v_add_u32_e32 v2, v1, v2
	v_lshrrev_b32_e32 v2, s10, v2
	v_mul_lo_u32 v3, v2, s8
	v_sub_u32_e32 v1, v1, v3
	v_mul_lo_u32 v56, v1, s6
	v_mul_lo_u32 v50, v1, s7
	s_cbranch_scc1 .LBB6_111
; %bb.110:
	s_load_dwordx4 s[8:11], s[34:35], 0x10
	s_load_dwordx2 s[6:7], s[34:35], 0xcc
	s_waitcnt lgkmcnt(0)
	v_mul_hi_u32 v1, s9, v2
	v_add_u32_e32 v1, v2, v1
	v_lshrrev_b32_e32 v1, s10, v1
	v_mul_lo_u32 v1, v1, s8
	v_sub_u32_e32 v1, v2, v1
	v_mad_u64_u32 v[56:57], s[8:9], v1, s6, v[56:57]
	v_mad_u64_u32 v[50:51], s[6:7], v1, s7, v[50:51]
.LBB6_111:
	s_and_b64 vcc, exec, s[4:5]
	s_cbranch_vccnz .LBB6_117
; %bb.112:
	s_cmp_lg_u32 s33, 0
	s_mov_b32 s28, 0
	s_cbranch_scc0 .LBB6_118
; %bb.113:
	s_min_u32 s29, s64, 15
	s_add_i32 s29, s29, 1
	s_cmp_eq_u32 s64, 2
	s_cbranch_scc1 .LBB6_119
; %bb.114:
	s_and_b32 s28, s29, 28
	s_add_u32 s24, s34, 0xc4
	s_addc_u32 s25, s35, 0
	v_mov_b32_e32 v59, 0
	s_mov_b32 s30, 0
	s_mov_b64 s[26:27], s[34:35]
	v_mov_b32_e32 v57, 0
	v_mov_b32_e32 v1, v4
.LBB6_115:                              ; =>This Inner Loop Header: Depth=1
	s_load_dwordx8 s[12:19], s[26:27], 0x4
	s_load_dwordx4 s[20:23], s[26:27], 0x24
	s_load_dwordx8 s[4:11], s[24:25], 0x0
	s_add_u32 s26, s26, 48
	s_addc_u32 s27, s27, 0
	s_waitcnt lgkmcnt(0)
	v_mul_hi_u32 v2, s13, v1
	s_add_i32 s30, s30, 4
	s_add_u32 s24, s24, 32
	s_addc_u32 s25, s25, 0
	v_add_u32_e32 v2, v1, v2
	v_lshrrev_b32_e32 v2, s14, v2
	v_mul_lo_u32 v3, v2, s12
	v_mul_hi_u32 v5, s16, v2
	s_cmp_lg_u32 s28, s30
	v_sub_u32_e32 v1, v1, v3
	v_add_u32_e32 v3, v2, v5
	v_mul_lo_u32 v5, v1, s4
	v_mul_lo_u32 v6, v1, s5
	v_lshrrev_b32_e32 v1, s17, v3
	v_mul_lo_u32 v3, v1, s15
	v_mul_hi_u32 v7, s19, v1
	v_sub_u32_e32 v2, v2, v3
	v_add_u32_e32 v3, v1, v7
	v_lshrrev_b32_e32 v3, s20, v3
	v_mul_hi_u32 v8, s22, v3
	v_mul_lo_u32 v9, v3, s18
	v_mul_lo_u32 v7, v2, s6
	;; [unrolled: 1-line block ×3, first 2 shown]
	v_sub_u32_e32 v9, v1, v9
	v_add_u32_e32 v1, v3, v8
	v_lshrrev_b32_e32 v1, s23, v1
	v_mul_lo_u32 v8, v1, s21
	v_mul_lo_u32 v10, v9, s8
	;; [unrolled: 1-line block ×3, first 2 shown]
	v_add3_u32 v5, v5, v57, v7
	v_sub_u32_e32 v3, v3, v8
	v_mul_lo_u32 v8, v3, s10
	v_mul_lo_u32 v3, v3, s11
	v_add3_u32 v2, v6, v59, v2
	v_add3_u32 v57, v10, v5, v8
	;; [unrolled: 1-line block ×3, first 2 shown]
	s_cbranch_scc1 .LBB6_115
; %bb.116:
	s_and_b32 s8, s29, 3
	s_cmp_eq_u32 s8, 0
	s_cbranch_scc0 .LBB6_120
	s_branch .LBB6_122
.LBB6_117:
                                        ; implicit-def: $vgpr57
                                        ; implicit-def: $vgpr59
	s_branch .LBB6_123
.LBB6_118:
	v_mov_b32_e32 v57, 0
	v_mov_b32_e32 v59, 0
	s_branch .LBB6_122
.LBB6_119:
	v_mov_b32_e32 v57, 0
	v_mov_b32_e32 v59, 0
	;; [unrolled: 1-line block ×3, first 2 shown]
	s_and_b32 s8, s29, 3
	s_cmp_eq_u32 s8, 0
	s_cbranch_scc1 .LBB6_122
.LBB6_120:
	s_lshl_b32 s4, s28, 3
	s_add_u32 s4, s34, s4
	s_addc_u32 s5, s35, 0
	s_add_u32 s4, s4, 0xc4
	s_addc_u32 s5, s5, 0
	s_mul_i32 s6, s28, 12
	s_add_u32 s6, s34, s6
	s_addc_u32 s7, s35, 0
.LBB6_121:                              ; =>This Inner Loop Header: Depth=1
	s_load_dwordx2 s[10:11], s[6:7], 0x4
	s_load_dword s9, s[6:7], 0xc
	s_load_dwordx2 s[12:13], s[4:5], 0x0
	s_add_u32 s6, s6, 12
	s_addc_u32 s7, s7, 0
	s_waitcnt lgkmcnt(0)
	v_mul_hi_u32 v2, s11, v1
	s_add_u32 s4, s4, 8
	s_addc_u32 s5, s5, 0
	s_add_i32 s8, s8, -1
	v_add_u32_e32 v2, v1, v2
	v_lshrrev_b32_e32 v2, s9, v2
	v_mul_lo_u32 v3, v2, s10
	s_cmp_lg_u32 s8, 0
	v_sub_u32_e32 v1, v1, v3
	v_mad_u64_u32 v[57:58], s[10:11], v1, s12, v[57:58]
	v_mad_u64_u32 v[59:60], s[10:11], v1, s13, v[59:60]
	v_mov_b32_e32 v1, v2
	s_cbranch_scc1 .LBB6_121
.LBB6_122:
	s_cbranch_execnz .LBB6_125
.LBB6_123:
	s_load_dwordx4 s[4:7], s[34:35], 0x4
	s_load_dwordx2 s[8:9], s[34:35], 0xc4
	s_cmp_lt_u32 s33, 2
	s_waitcnt lgkmcnt(0)
	v_mul_hi_u32 v1, s5, v4
	v_add_u32_e32 v1, v4, v1
	v_lshrrev_b32_e32 v1, s6, v1
	v_mul_lo_u32 v2, v1, s4
	v_sub_u32_e32 v2, v4, v2
	v_mul_lo_u32 v57, v2, s8
	v_mul_lo_u32 v59, v2, s9
	s_cbranch_scc1 .LBB6_125
; %bb.124:
	s_load_dwordx4 s[4:7], s[34:35], 0x10
	s_load_dwordx2 s[8:9], s[34:35], 0xcc
	s_waitcnt lgkmcnt(0)
	v_mul_hi_u32 v2, s5, v1
	v_add_u32_e32 v2, v1, v2
	v_lshrrev_b32_e32 v2, s6, v2
	v_mul_lo_u32 v2, v2, s4
	v_sub_u32_e32 v1, v1, v2
	v_mad_u64_u32 v[57:58], s[4:5], v1, s8, v[57:58]
	v_mad_u64_u32 v[59:60], s[4:5], v1, s9, v[59:60]
.LBB6_125:
	s_load_dwordx4 s[36:39], s[34:35], 0x148
	s_getpc_b64 s[34:35]
	s_add_u32 s34, s34, _ZZZZN2at6native16asin_kernel_cudaERNS_18TensorIteratorBaseEENKUlvE_clEvENKUlvE_clEvENKUlN3c107complexIdEEE_clES7_@rel32@lo+4
	s_addc_u32 s35, s35, _ZZZZN2at6native16asin_kernel_cudaERNS_18TensorIteratorBaseEENKUlvE_clEvENKUlvE_clEvENKUlN3c107complexIdEEE_clES7_@rel32@hi+12
	s_waitcnt lgkmcnt(0)
	global_load_dwordx4 v[0:3], v0, s[38:39]
	v_mov_b32_e32 v4, s37
	v_add_co_u32_e32 v60, vcc, s36, v57
	v_addc_co_u32_e32 v61, vcc, 0, v4, vcc
	s_swappc_b64 s[30:31], s[34:35]
	v_mov_b32_e32 v39, v0
	v_mov_b32_e32 v40, v1
	v_mov_b32_e32 v41, v2
	v_mov_b32_e32 v42, v3
	global_load_dwordx4 v[0:3], v43, s[38:39]
	s_swappc_b64 s[30:31], s[34:35]
	v_mov_b32_e32 v43, v0
	v_mov_b32_e32 v44, v1
	v_mov_b32_e32 v45, v2
	v_mov_b32_e32 v46, v3
	global_load_dwordx4 v[0:3], v50, s[38:39]
	s_swappc_b64 s[30:31], s[34:35]
	v_mov_b32_e32 v50, v0
	v_mov_b32_e32 v51, v1
	v_mov_b32_e32 v52, v2
	v_mov_b32_e32 v53, v3
	global_load_dwordx4 v[0:3], v59, s[38:39]
	s_swappc_b64 s[30:31], s[34:35]
	s_or_b64 s[44:45], s[44:45], exec
	global_store_dwordx4 v54, v[39:42], s[36:37]
	global_store_dwordx4 v55, v[43:46], s[36:37]
	;; [unrolled: 1-line block ×3, first 2 shown]
	global_store_dwordx2 v57, v[0:1], s[36:37]
	s_or_b64 exec, exec, s[46:47]
	s_and_saveexec_b64 s[4:5], s[44:45]
	s_cbranch_execz .LBB6_3
.LBB6_126:
	global_store_dwordx2 v[60:61], v[2:3], off offset:8
	s_endpgm
	.section	.rodata,"a",@progbits
	.p2align	6, 0x0
	.amdhsa_kernel _ZN2at6native32elementwise_kernel_manual_unrollILi128ELi4EZNS0_22gpu_kernel_impl_nocastIZZZNS0_16asin_kernel_cudaERNS_18TensorIteratorBaseEENKUlvE_clEvENKUlvE_clEvEUlN3c107complexIdEEE_EEvS4_RKT_EUlibE_EEviT1_
		.amdhsa_group_segment_fixed_size 0
		.amdhsa_private_segment_fixed_size 12
		.amdhsa_kernarg_size 360
		.amdhsa_user_sgpr_count 8
		.amdhsa_user_sgpr_private_segment_buffer 1
		.amdhsa_user_sgpr_dispatch_ptr 0
		.amdhsa_user_sgpr_queue_ptr 0
		.amdhsa_user_sgpr_kernarg_segment_ptr 1
		.amdhsa_user_sgpr_dispatch_id 0
		.amdhsa_user_sgpr_flat_scratch_init 1
		.amdhsa_user_sgpr_private_segment_size 0
		.amdhsa_uses_dynamic_stack 0
		.amdhsa_system_sgpr_private_segment_wavefront_offset 1
		.amdhsa_system_sgpr_workgroup_id_x 1
		.amdhsa_system_sgpr_workgroup_id_y 0
		.amdhsa_system_sgpr_workgroup_id_z 0
		.amdhsa_system_sgpr_workgroup_info 0
		.amdhsa_system_vgpr_workitem_id 0
		.amdhsa_next_free_vgpr 62
		.amdhsa_next_free_sgpr 67
		.amdhsa_reserve_vcc 1
		.amdhsa_reserve_flat_scratch 1
		.amdhsa_float_round_mode_32 0
		.amdhsa_float_round_mode_16_64 0
		.amdhsa_float_denorm_mode_32 3
		.amdhsa_float_denorm_mode_16_64 3
		.amdhsa_dx10_clamp 1
		.amdhsa_ieee_mode 1
		.amdhsa_fp16_overflow 0
		.amdhsa_exception_fp_ieee_invalid_op 0
		.amdhsa_exception_fp_denorm_src 0
		.amdhsa_exception_fp_ieee_div_zero 0
		.amdhsa_exception_fp_ieee_overflow 0
		.amdhsa_exception_fp_ieee_underflow 0
		.amdhsa_exception_fp_ieee_inexact 0
		.amdhsa_exception_int_div_zero 0
	.end_amdhsa_kernel
	.section	.text._ZN2at6native32elementwise_kernel_manual_unrollILi128ELi4EZNS0_22gpu_kernel_impl_nocastIZZZNS0_16asin_kernel_cudaERNS_18TensorIteratorBaseEENKUlvE_clEvENKUlvE_clEvEUlN3c107complexIdEEE_EEvS4_RKT_EUlibE_EEviT1_,"axG",@progbits,_ZN2at6native32elementwise_kernel_manual_unrollILi128ELi4EZNS0_22gpu_kernel_impl_nocastIZZZNS0_16asin_kernel_cudaERNS_18TensorIteratorBaseEENKUlvE_clEvENKUlvE_clEvEUlN3c107complexIdEEE_EEvS4_RKT_EUlibE_EEviT1_,comdat
.Lfunc_end6:
	.size	_ZN2at6native32elementwise_kernel_manual_unrollILi128ELi4EZNS0_22gpu_kernel_impl_nocastIZZZNS0_16asin_kernel_cudaERNS_18TensorIteratorBaseEENKUlvE_clEvENKUlvE_clEvEUlN3c107complexIdEEE_EEvS4_RKT_EUlibE_EEviT1_, .Lfunc_end6-_ZN2at6native32elementwise_kernel_manual_unrollILi128ELi4EZNS0_22gpu_kernel_impl_nocastIZZZNS0_16asin_kernel_cudaERNS_18TensorIteratorBaseEENKUlvE_clEvENKUlvE_clEvEUlN3c107complexIdEEE_EEvS4_RKT_EUlibE_EEviT1_
                                        ; -- End function
	.set _ZN2at6native32elementwise_kernel_manual_unrollILi128ELi4EZNS0_22gpu_kernel_impl_nocastIZZZNS0_16asin_kernel_cudaERNS_18TensorIteratorBaseEENKUlvE_clEvENKUlvE_clEvEUlN3c107complexIdEEE_EEvS4_RKT_EUlibE_EEviT1_.num_vgpr, max(62, .L_ZZZZN2at6native16asin_kernel_cudaERNS_18TensorIteratorBaseEENKUlvE_clEvENKUlvE_clEvENKUlN3c107complexIdEEE_clES7_.num_vgpr)
	.set _ZN2at6native32elementwise_kernel_manual_unrollILi128ELi4EZNS0_22gpu_kernel_impl_nocastIZZZNS0_16asin_kernel_cudaERNS_18TensorIteratorBaseEENKUlvE_clEvENKUlvE_clEvEUlN3c107complexIdEEE_EEvS4_RKT_EUlibE_EEviT1_.num_agpr, max(0, .L_ZZZZN2at6native16asin_kernel_cudaERNS_18TensorIteratorBaseEENKUlvE_clEvENKUlvE_clEvENKUlN3c107complexIdEEE_clES7_.num_agpr)
	.set _ZN2at6native32elementwise_kernel_manual_unrollILi128ELi4EZNS0_22gpu_kernel_impl_nocastIZZZNS0_16asin_kernel_cudaERNS_18TensorIteratorBaseEENKUlvE_clEvENKUlvE_clEvEUlN3c107complexIdEEE_EEvS4_RKT_EUlibE_EEviT1_.numbered_sgpr, max(67, .L_ZZZZN2at6native16asin_kernel_cudaERNS_18TensorIteratorBaseEENKUlvE_clEvENKUlvE_clEvENKUlN3c107complexIdEEE_clES7_.numbered_sgpr)
	.set _ZN2at6native32elementwise_kernel_manual_unrollILi128ELi4EZNS0_22gpu_kernel_impl_nocastIZZZNS0_16asin_kernel_cudaERNS_18TensorIteratorBaseEENKUlvE_clEvENKUlvE_clEvEUlN3c107complexIdEEE_EEvS4_RKT_EUlibE_EEviT1_.num_named_barrier, max(0, .L_ZZZZN2at6native16asin_kernel_cudaERNS_18TensorIteratorBaseEENKUlvE_clEvENKUlvE_clEvENKUlN3c107complexIdEEE_clES7_.num_named_barrier)
	.set _ZN2at6native32elementwise_kernel_manual_unrollILi128ELi4EZNS0_22gpu_kernel_impl_nocastIZZZNS0_16asin_kernel_cudaERNS_18TensorIteratorBaseEENKUlvE_clEvENKUlvE_clEvEUlN3c107complexIdEEE_EEvS4_RKT_EUlibE_EEviT1_.private_seg_size, 0+max(.L_ZZZZN2at6native16asin_kernel_cudaERNS_18TensorIteratorBaseEENKUlvE_clEvENKUlvE_clEvENKUlN3c107complexIdEEE_clES7_.private_seg_size)
	.set _ZN2at6native32elementwise_kernel_manual_unrollILi128ELi4EZNS0_22gpu_kernel_impl_nocastIZZZNS0_16asin_kernel_cudaERNS_18TensorIteratorBaseEENKUlvE_clEvENKUlvE_clEvEUlN3c107complexIdEEE_EEvS4_RKT_EUlibE_EEviT1_.uses_vcc, or(1, .L_ZZZZN2at6native16asin_kernel_cudaERNS_18TensorIteratorBaseEENKUlvE_clEvENKUlvE_clEvENKUlN3c107complexIdEEE_clES7_.uses_vcc)
	.set _ZN2at6native32elementwise_kernel_manual_unrollILi128ELi4EZNS0_22gpu_kernel_impl_nocastIZZZNS0_16asin_kernel_cudaERNS_18TensorIteratorBaseEENKUlvE_clEvENKUlvE_clEvEUlN3c107complexIdEEE_EEvS4_RKT_EUlibE_EEviT1_.uses_flat_scratch, or(1, .L_ZZZZN2at6native16asin_kernel_cudaERNS_18TensorIteratorBaseEENKUlvE_clEvENKUlvE_clEvENKUlN3c107complexIdEEE_clES7_.uses_flat_scratch)
	.set _ZN2at6native32elementwise_kernel_manual_unrollILi128ELi4EZNS0_22gpu_kernel_impl_nocastIZZZNS0_16asin_kernel_cudaERNS_18TensorIteratorBaseEENKUlvE_clEvENKUlvE_clEvEUlN3c107complexIdEEE_EEvS4_RKT_EUlibE_EEviT1_.has_dyn_sized_stack, or(0, .L_ZZZZN2at6native16asin_kernel_cudaERNS_18TensorIteratorBaseEENKUlvE_clEvENKUlvE_clEvENKUlN3c107complexIdEEE_clES7_.has_dyn_sized_stack)
	.set _ZN2at6native32elementwise_kernel_manual_unrollILi128ELi4EZNS0_22gpu_kernel_impl_nocastIZZZNS0_16asin_kernel_cudaERNS_18TensorIteratorBaseEENKUlvE_clEvENKUlvE_clEvEUlN3c107complexIdEEE_EEvS4_RKT_EUlibE_EEviT1_.has_recursion, or(0, .L_ZZZZN2at6native16asin_kernel_cudaERNS_18TensorIteratorBaseEENKUlvE_clEvENKUlvE_clEvENKUlN3c107complexIdEEE_clES7_.has_recursion)
	.set _ZN2at6native32elementwise_kernel_manual_unrollILi128ELi4EZNS0_22gpu_kernel_impl_nocastIZZZNS0_16asin_kernel_cudaERNS_18TensorIteratorBaseEENKUlvE_clEvENKUlvE_clEvEUlN3c107complexIdEEE_EEvS4_RKT_EUlibE_EEviT1_.has_indirect_call, or(0, .L_ZZZZN2at6native16asin_kernel_cudaERNS_18TensorIteratorBaseEENKUlvE_clEvENKUlvE_clEvENKUlN3c107complexIdEEE_clES7_.has_indirect_call)
	.section	.AMDGPU.csdata,"",@progbits
; Kernel info:
; codeLenInByte = 5884
; TotalNumSgprs: 73
; NumVgprs: 62
; ScratchSize: 12
; MemoryBound: 0
; FloatMode: 240
; IeeeMode: 1
; LDSByteSize: 0 bytes/workgroup (compile time only)
; SGPRBlocks: 9
; VGPRBlocks: 15
; NumSGPRsForWavesPerEU: 73
; NumVGPRsForWavesPerEU: 62
; Occupancy: 4
; WaveLimiterHint : 1
; COMPUTE_PGM_RSRC2:SCRATCH_EN: 1
; COMPUTE_PGM_RSRC2:USER_SGPR: 8
; COMPUTE_PGM_RSRC2:TRAP_HANDLER: 0
; COMPUTE_PGM_RSRC2:TGID_X_EN: 1
; COMPUTE_PGM_RSRC2:TGID_Y_EN: 0
; COMPUTE_PGM_RSRC2:TGID_Z_EN: 0
; COMPUTE_PGM_RSRC2:TIDIG_COMP_CNT: 0
	.section	.text._ZN2at6native32elementwise_kernel_manual_unrollILi128ELi4EZNS0_15gpu_kernel_implIZZZNS0_16asin_kernel_cudaERNS_18TensorIteratorBaseEENKUlvE_clEvENKUlvE_clEvEUlN3c107complexIdEEE_EEvS4_RKT_EUlibE_EEviT1_,"axG",@progbits,_ZN2at6native32elementwise_kernel_manual_unrollILi128ELi4EZNS0_15gpu_kernel_implIZZZNS0_16asin_kernel_cudaERNS_18TensorIteratorBaseEENKUlvE_clEvENKUlvE_clEvEUlN3c107complexIdEEE_EEvS4_RKT_EUlibE_EEviT1_,comdat
	.globl	_ZN2at6native32elementwise_kernel_manual_unrollILi128ELi4EZNS0_15gpu_kernel_implIZZZNS0_16asin_kernel_cudaERNS_18TensorIteratorBaseEENKUlvE_clEvENKUlvE_clEvEUlN3c107complexIdEEE_EEvS4_RKT_EUlibE_EEviT1_ ; -- Begin function _ZN2at6native32elementwise_kernel_manual_unrollILi128ELi4EZNS0_15gpu_kernel_implIZZZNS0_16asin_kernel_cudaERNS_18TensorIteratorBaseEENKUlvE_clEvENKUlvE_clEvEUlN3c107complexIdEEE_EEvS4_RKT_EUlibE_EEviT1_
	.p2align	8
	.type	_ZN2at6native32elementwise_kernel_manual_unrollILi128ELi4EZNS0_15gpu_kernel_implIZZZNS0_16asin_kernel_cudaERNS_18TensorIteratorBaseEENKUlvE_clEvENKUlvE_clEvEUlN3c107complexIdEEE_EEvS4_RKT_EUlibE_EEviT1_,@function
_ZN2at6native32elementwise_kernel_manual_unrollILi128ELi4EZNS0_15gpu_kernel_implIZZZNS0_16asin_kernel_cudaERNS_18TensorIteratorBaseEENKUlvE_clEvENKUlvE_clEvEUlN3c107complexIdEEE_EEvS4_RKT_EUlibE_EEviT1_: ; @_ZN2at6native32elementwise_kernel_manual_unrollILi128ELi4EZNS0_15gpu_kernel_implIZZZNS0_16asin_kernel_cudaERNS_18TensorIteratorBaseEENKUlvE_clEvENKUlvE_clEvEUlN3c107complexIdEEE_EEvS4_RKT_EUlibE_EEviT1_
; %bb.0:
	v_mov_b32_e32 v1, 0
	global_load_ushort v1, v1, s[4:5] offset:33
	s_load_dwordx4 s[36:39], s[4:5], 0x8
	s_load_dwordx2 s[34:35], s[4:5], 0x18
	s_load_dword s62, s[4:5], 0x0
	s_add_u32 flat_scratch_lo, s6, s9
	s_addc_u32 flat_scratch_hi, s7, 0
	s_add_u32 s0, s0, s9
	v_lshl_or_b32 v47, s8, 9, v0
	s_addc_u32 s1, s1, 0
	v_or_b32_e32 v0, 0x180, v47
	s_mov_b64 s[42:43], 0
	s_waitcnt lgkmcnt(0)
	v_cmp_le_i32_e32 vcc, s62, v0
	s_mov_b64 s[46:47], 0
	s_mov_b32 s32, 0
	s_waitcnt vmcnt(0)
	v_readfirstlane_b32 s27, v1
	s_and_b32 s4, 0xffff, s27
	s_lshr_b32 s33, s4, 8
	s_and_saveexec_b64 s[4:5], vcc
	s_xor_b64 s[44:45], exec, s[4:5]
	s_cbranch_execz .LBB7_1045
; %bb.1:
	v_cmp_gt_i32_e32 vcc, s62, v47
	s_mov_b64 s[6:7], -1
	s_mov_b64 s[54:55], 0
	s_mov_b64 s[48:49], 0
	s_and_saveexec_b64 s[50:51], vcc
	s_cbranch_execz .LBB7_255
; %bb.2:
	v_mul_lo_u32 v0, v47, s35
	v_mov_b32_e32 v1, s39
	s_and_b32 s10, 0xffff, s33
	s_cmp_lt_i32 s10, 11
	v_ashrrev_i32_e32 v2, 31, v0
	v_add_co_u32_e32 v4, vcc, s38, v0
	v_addc_co_u32_e32 v5, vcc, v1, v2, vcc
	s_cbranch_scc1 .LBB7_9
; %bb.3:
	s_cmp_gt_i32 s10, 25
	s_cbranch_scc0 .LBB7_18
; %bb.4:
	s_cmp_gt_i32 s10, 28
	s_cbranch_scc0 .LBB7_22
	;; [unrolled: 3-line block ×4, first 2 shown]
; %bb.7:
	s_cmp_eq_u32 s10, 46
	s_mov_b64 s[6:7], 0
	s_cbranch_scc0 .LBB7_27
; %bb.8:
	global_load_dword v0, v[4:5], off
	s_mov_b64 s[4:5], -1
	s_waitcnt vmcnt(0)
	v_and_b32_e32 v2, 0xffff0000, v0
	v_lshlrev_b32_e32 v0, 16, v0
	v_cvt_f64_f32_e32 v[0:1], v0
	v_cvt_f64_f32_e32 v[2:3], v2
	s_branch .LBB7_29
.LBB7_9:
                                        ; implicit-def: $vgpr2_vgpr3
	s_mov_b64 s[4:5], 0
	s_and_b64 vcc, exec, s[6:7]
	s_cbranch_vccnz .LBB7_204
.LBB7_10:
	s_andn2_b64 vcc, exec, s[4:5]
	s_cbranch_vccnz .LBB7_253
.LBB7_11:
	s_getpc_b64 s[4:5]
	s_add_u32 s4, s4, _ZZZZN2at6native16asin_kernel_cudaERNS_18TensorIteratorBaseEENKUlvE_clEvENKUlvE_clEvENKUlN3c107complexIdEEE_clES7_@rel32@lo+4
	s_addc_u32 s5, s5, _ZZZZN2at6native16asin_kernel_cudaERNS_18TensorIteratorBaseEENKUlvE_clEvENKUlvE_clEvENKUlN3c107complexIdEEE_clES7_@rel32@hi+12
	s_swappc_b64 s[30:31], s[4:5]
	v_mul_lo_u32 v4, v47, s34
	v_mov_b32_e32 v5, s37
	s_and_b32 s12, s27, 0xff
	s_cmp_lt_i32 s12, 11
	v_ashrrev_i32_e32 v6, 31, v4
	v_add_co_u32_e32 v4, vcc, s36, v4
	v_addc_co_u32_e32 v5, vcc, v5, v6, vcc
	s_cbranch_scc1 .LBB7_19
; %bb.12:
	s_and_b32 s13, 0xffff, s12
	s_cmp_gt_i32 s13, 25
	s_cbranch_scc0 .LBB7_23
; %bb.13:
	s_cmp_gt_i32 s13, 28
	s_cbranch_scc0 .LBB7_25
; %bb.14:
	;; [unrolled: 3-line block ×4, first 2 shown]
	s_mov_b64 s[8:9], 0
	s_mov_b64 s[6:7], -1
	s_cmp_eq_u32 s13, 46
	s_mov_b64 s[4:5], 0
	s_cbranch_scc0 .LBB7_33
; %bb.17:
	v_cvt_f32_f64_e32 v7, v[2:3]
	v_cvt_f32_f64_e32 v6, v[0:1]
	s_movk_i32 s4, 0x7fff
	v_mov_b32_e32 v10, 0x7fc00000
	v_bfe_u32 v9, v7, 16, 1
	v_add3_u32 v9, v7, v9, s4
	v_bfe_u32 v8, v6, 16, 1
	v_and_b32_e32 v9, 0xffff0000, v9
	v_cmp_o_f32_e32 vcc, v7, v7
	v_add3_u32 v8, v6, v8, s4
	v_cndmask_b32_e32 v7, v10, v9, vcc
	v_cmp_o_f32_e32 vcc, v6, v6
	v_mov_b32_e32 v6, 0x7fc0
	v_cndmask_b32_sdwa v6, v6, v8, vcc dst_sel:DWORD dst_unused:UNUSED_PAD src0_sel:DWORD src1_sel:WORD_1
	v_or_b32_e32 v6, v7, v6
	global_store_dword v[4:5], v6, off
	s_mov_b64 s[4:5], -1
	s_mov_b64 s[6:7], 0
	s_branch .LBB7_33
.LBB7_18:
	s_mov_b64 s[4:5], 0
                                        ; implicit-def: $vgpr2_vgpr3
	s_and_b64 vcc, exec, s[6:7]
	s_cbranch_vccnz .LBB7_171
	s_branch .LBB7_203
.LBB7_19:
	s_mov_b64 s[6:7], 0
	s_mov_b64 s[4:5], 0
	s_cbranch_execnz .LBB7_102
.LBB7_20:
	s_andn2_b64 vcc, exec, s[4:5]
	s_cbranch_vccnz .LBB7_140
.LBB7_21:
	v_add_u32_e32 v47, 0x80, v47
	s_mov_b64 s[4:5], -1
	s_branch .LBB7_254
.LBB7_22:
	s_mov_b64 s[4:5], 0
                                        ; implicit-def: $vgpr2_vgpr3
	s_branch .LBB7_150
.LBB7_23:
	s_mov_b64 s[8:9], -1
	s_mov_b64 s[6:7], 0
	s_mov_b64 s[4:5], 0
	s_branch .LBB7_60
.LBB7_24:
	s_mov_b64 s[4:5], 0
                                        ; implicit-def: $vgpr2_vgpr3
	s_branch .LBB7_144
.LBB7_25:
	s_mov_b64 s[8:9], -1
	s_mov_b64 s[6:7], 0
	s_mov_b64 s[4:5], 0
	s_branch .LBB7_43
.LBB7_26:
	s_mov_b64 s[8:9], -1
	s_mov_b64 s[6:7], 0
	s_mov_b64 s[4:5], 0
	s_branch .LBB7_39
.LBB7_27:
	s_mov_b64 s[48:49], -1
.LBB7_28:
	s_mov_b64 s[4:5], 0
                                        ; implicit-def: $vgpr2_vgpr3
.LBB7_29:
	s_and_b64 vcc, exec, s[6:7]
	s_cbranch_vccz .LBB7_143
; %bb.30:
	s_cmp_eq_u32 s10, 44
	s_cbranch_scc0 .LBB7_141
; %bb.31:
	global_load_ubyte v2, v[4:5], off
	s_movk_i32 s6, 0xff
	v_bfrev_b32_e32 v3, 4
	v_mov_b32_e32 v6, 0x7ff80000
	v_bfrev_b32_e32 v7, 28
	s_mov_b64 s[4:5], -1
	s_mov_b64 s[48:49], 0
	s_waitcnt vmcnt(0)
	v_lshlrev_b32_e32 v0, 23, v2
	v_cvt_f64_f32_e32 v[0:1], v0
	v_cmp_ne_u32_e32 vcc, s6, v2
	v_cndmask_b32_e32 v0, v3, v0, vcc
	v_cndmask_b32_e32 v1, v6, v1, vcc
	v_cmp_ne_u32_e32 vcc, 0, v2
	v_cndmask_b32_e32 v1, v7, v1, vcc
	v_cndmask_b32_e32 v0, 0, v0, vcc
	s_branch .LBB7_142
.LBB7_32:
	s_mov_b64 s[8:9], -1
	s_mov_b64 s[6:7], 0
	s_mov_b64 s[4:5], 0
.LBB7_33:
	s_and_b64 vcc, exec, s[8:9]
	s_cbranch_vccz .LBB7_38
; %bb.34:
	s_cmp_eq_u32 s13, 44
	s_mov_b64 s[6:7], -1
	s_cbranch_scc0 .LBB7_38
; %bb.35:
	v_cvt_f32_f64_e32 v6, v[0:1]
	s_movk_i32 s4, 0xff
	v_mov_b32_e32 v8, 0xff
	v_bfe_u32 v7, v6, 23, 8
	v_cmp_ne_u32_e32 vcc, s4, v7
	s_and_saveexec_b64 s[6:7], vcc
; %bb.36:
	s_mov_b32 s4, 0x3fffff
	v_lshrrev_b32_e32 v8, 23, v6
	v_and_b32_e32 v9, 0x400000, v6
	v_and_or_b32 v6, v6, s4, v7
	v_cmp_ne_u32_e32 vcc, 0, v9
	v_cmp_ne_u32_e64 s[4:5], 0, v6
	s_and_b64 s[4:5], vcc, s[4:5]
	v_cndmask_b32_e64 v6, 0, 1, s[4:5]
	v_add_u32_e32 v8, v8, v6
; %bb.37:
	s_or_b64 exec, exec, s[6:7]
	s_mov_b64 s[4:5], -1
	s_mov_b64 s[6:7], 0
	global_store_byte v[4:5], v8, off
.LBB7_38:
	s_mov_b64 s[8:9], 0
.LBB7_39:
	s_and_b64 vcc, exec, s[8:9]
	s_cbranch_vccz .LBB7_42
; %bb.40:
	s_cmp_eq_u32 s13, 29
	s_mov_b64 s[6:7], -1
	s_cbranch_scc0 .LBB7_42
; %bb.41:
	v_trunc_f64_e32 v[6:7], v[0:1]
	s_movk_i32 s4, 0xffe0
	s_mov_b64 s[6:7], 0
	s_mov_b64 s[8:9], 0
	v_ldexp_f64 v[8:9], v[6:7], s4
	s_mov_b32 s4, 0
	s_mov_b32 s5, 0xc1f00000
	v_floor_f64_e32 v[8:9], v[8:9]
	v_fma_f64 v[6:7], v[8:9], s[4:5], v[6:7]
	v_cvt_u32_f64_e32 v8, v[8:9]
	s_mov_b64 s[4:5], -1
	v_cvt_u32_f64_e32 v7, v[6:7]
	global_store_dwordx2 v[4:5], v[7:8], off
	s_branch .LBB7_43
.LBB7_42:
	s_mov_b64 s[8:9], 0
.LBB7_43:
	s_and_b64 vcc, exec, s[8:9]
	s_cbranch_vccz .LBB7_59
; %bb.44:
	s_cmp_lt_i32 s13, 27
	s_mov_b64 s[4:5], -1
	s_cbranch_scc1 .LBB7_50
; %bb.45:
	v_cvt_u32_f64_e32 v6, v[0:1]
	s_cmp_gt_i32 s13, 27
	s_cbranch_scc0 .LBB7_47
; %bb.46:
	s_mov_b64 s[4:5], 0
	global_store_dword v[4:5], v6, off
.LBB7_47:
	s_andn2_b64 vcc, exec, s[4:5]
	s_cbranch_vccnz .LBB7_49
; %bb.48:
	global_store_short v[4:5], v6, off
.LBB7_49:
	s_mov_b64 s[4:5], 0
.LBB7_50:
	s_andn2_b64 vcc, exec, s[4:5]
	s_cbranch_vccnz .LBB7_58
; %bb.51:
	v_cvt_f32_f64_e32 v6, v[0:1]
	s_mov_b32 s4, 0x43800000
	v_mov_b32_e32 v8, 0x80
	v_and_b32_e32 v7, 0x7fffffff, v6
	v_cmp_gt_u32_e32 vcc, s4, v7
	s_and_saveexec_b64 s[4:5], vcc
	s_cbranch_execz .LBB7_57
; %bb.52:
	s_mov_b32 s8, 0x3bffffff
	v_cmp_lt_u32_e32 vcc, s8, v7
	s_mov_b64 s[8:9], 0
                                        ; implicit-def: $vgpr7
	s_and_saveexec_b64 s[10:11], vcc
	s_xor_b64 s[10:11], exec, s[10:11]
	s_cbranch_execz .LBB7_282
; %bb.53:
	v_bfe_u32 v7, v6, 20, 1
	s_mov_b32 s14, 0x487ffff
	v_add3_u32 v7, v6, v7, s14
	s_mov_b64 s[8:9], exec
	v_lshrrev_b32_e32 v7, 20, v7
	s_andn2_saveexec_b64 s[10:11], s[10:11]
	s_cbranch_execnz .LBB7_283
.LBB7_54:
	s_or_b64 exec, exec, s[10:11]
	v_mov_b32_e32 v8, 0
	s_and_saveexec_b64 s[10:11], s[8:9]
.LBB7_55:
	v_lshrrev_b32_e32 v6, 24, v6
	s_movk_i32 s8, 0x80
	v_and_or_b32 v8, v6, s8, v7
.LBB7_56:
	s_or_b64 exec, exec, s[10:11]
.LBB7_57:
	s_or_b64 exec, exec, s[4:5]
	global_store_byte v[4:5], v8, off
.LBB7_58:
	s_mov_b64 s[4:5], -1
.LBB7_59:
	s_mov_b64 s[8:9], 0
.LBB7_60:
	s_and_b64 vcc, exec, s[8:9]
	s_cbranch_vccz .LBB7_101
; %bb.61:
	s_cmp_gt_i32 s13, 22
	s_mov_b64 s[8:9], -1
	s_cbranch_scc0 .LBB7_93
; %bb.62:
	s_cmp_lt_i32 s13, 24
	s_mov_b64 s[4:5], -1
	s_cbranch_scc1 .LBB7_82
; %bb.63:
	s_cmp_gt_i32 s13, 24
	s_cbranch_scc0 .LBB7_71
; %bb.64:
	v_cvt_f32_f64_e32 v6, v[0:1]
	s_mov_b32 s4, 0x47800000
	v_mov_b32_e32 v8, 0x80
	v_and_b32_e32 v7, 0x7fffffff, v6
	v_cmp_gt_u32_e32 vcc, s4, v7
	s_and_saveexec_b64 s[4:5], vcc
	s_cbranch_execz .LBB7_70
; %bb.65:
	s_mov_b32 s8, 0x37ffffff
	v_cmp_lt_u32_e32 vcc, s8, v7
	s_mov_b64 s[8:9], 0
                                        ; implicit-def: $vgpr7
	s_and_saveexec_b64 s[10:11], vcc
	s_xor_b64 s[10:11], exec, s[10:11]
	s_cbranch_execz .LBB7_286
; %bb.66:
	v_bfe_u32 v7, v6, 21, 1
	s_mov_b32 s14, 0x88fffff
	v_add3_u32 v7, v6, v7, s14
	s_mov_b64 s[8:9], exec
	v_lshrrev_b32_e32 v7, 21, v7
	s_andn2_saveexec_b64 s[10:11], s[10:11]
	s_cbranch_execnz .LBB7_287
.LBB7_67:
	s_or_b64 exec, exec, s[10:11]
	v_mov_b32_e32 v8, 0
	s_and_saveexec_b64 s[10:11], s[8:9]
.LBB7_68:
	v_lshrrev_b32_e32 v6, 24, v6
	s_movk_i32 s8, 0x80
	v_and_or_b32 v8, v6, s8, v7
.LBB7_69:
	s_or_b64 exec, exec, s[10:11]
.LBB7_70:
	s_or_b64 exec, exec, s[4:5]
	s_mov_b64 s[4:5], 0
	global_store_byte v[4:5], v8, off
.LBB7_71:
	s_and_b64 vcc, exec, s[4:5]
	s_cbranch_vccz .LBB7_81
; %bb.72:
	v_cvt_f32_f64_e32 v6, v[0:1]
	s_mov_b32 s4, 0x43f00000
                                        ; implicit-def: $vgpr7
	v_and_b32_e32 v8, 0x7fffffff, v6
	v_cmp_gt_u32_e32 vcc, s4, v8
	s_and_saveexec_b64 s[4:5], vcc
	s_xor_b64 s[4:5], exec, s[4:5]
	s_cbranch_execz .LBB7_78
; %bb.73:
	s_mov_b32 s8, 0x3c7fffff
	v_cmp_lt_u32_e32 vcc, s8, v8
                                        ; implicit-def: $vgpr7
	s_and_saveexec_b64 s[8:9], vcc
	s_xor_b64 s[8:9], exec, s[8:9]
; %bb.74:
	v_bfe_u32 v7, v6, 20, 1
	s_mov_b32 s10, 0x407ffff
	v_add3_u32 v7, v6, v7, s10
	v_lshrrev_b32_e32 v8, 20, v7
	v_and_b32_e32 v7, 0xff00000, v7
	s_mov_b32 s10, 0x7f00000
	v_mov_b32_e32 v9, 0x7e
	v_cmp_ne_u32_e32 vcc, s10, v7
	v_cndmask_b32_e32 v7, v9, v8, vcc
; %bb.75:
	s_andn2_saveexec_b64 s[8:9], s[8:9]
; %bb.76:
	s_mov_b32 s10, 0x46800000
	v_add_f32_e64 v7, |v6|, s10
; %bb.77:
	s_or_b64 exec, exec, s[8:9]
                                        ; implicit-def: $vgpr8
.LBB7_78:
	s_andn2_saveexec_b64 s[4:5], s[4:5]
; %bb.79:
	s_mov_b32 s8, 0x7f800000
	v_mov_b32_e32 v7, 0x7e
	v_mov_b32_e32 v9, 0x7f
	v_cmp_lt_u32_e32 vcc, s8, v8
	v_cndmask_b32_e32 v7, v7, v9, vcc
; %bb.80:
	s_or_b64 exec, exec, s[4:5]
	v_lshrrev_b32_e32 v6, 24, v6
	s_movk_i32 s4, 0x80
	v_and_or_b32 v6, v6, s4, v7
	global_store_byte v[4:5], v6, off
.LBB7_81:
	s_mov_b64 s[4:5], 0
.LBB7_82:
	s_andn2_b64 vcc, exec, s[4:5]
	s_cbranch_vccnz .LBB7_92
; %bb.83:
	v_cvt_f32_f64_e32 v6, v[0:1]
	s_mov_b32 s4, 0x47800000
                                        ; implicit-def: $vgpr7
	v_and_b32_e32 v8, 0x7fffffff, v6
	v_cmp_gt_u32_e32 vcc, s4, v8
	s_and_saveexec_b64 s[4:5], vcc
	s_xor_b64 s[4:5], exec, s[4:5]
	s_cbranch_execz .LBB7_89
; %bb.84:
	s_mov_b32 s8, 0x387fffff
	v_cmp_lt_u32_e32 vcc, s8, v8
                                        ; implicit-def: $vgpr7
	s_and_saveexec_b64 s[8:9], vcc
	s_xor_b64 s[8:9], exec, s[8:9]
; %bb.85:
	v_bfe_u32 v7, v6, 21, 1
	s_mov_b32 s10, 0x80fffff
	v_add3_u32 v7, v6, v7, s10
	v_lshrrev_b32_e32 v7, 21, v7
; %bb.86:
	s_andn2_saveexec_b64 s[8:9], s[8:9]
; %bb.87:
	s_mov_b32 s10, 0x43000000
	v_add_f32_e64 v7, |v6|, s10
; %bb.88:
	s_or_b64 exec, exec, s[8:9]
                                        ; implicit-def: $vgpr8
.LBB7_89:
	s_andn2_saveexec_b64 s[4:5], s[4:5]
; %bb.90:
	s_mov_b32 s8, 0x7f800000
	v_mov_b32_e32 v7, 0x7c
	v_mov_b32_e32 v9, 0x7f
	v_cmp_lt_u32_e32 vcc, s8, v8
	v_cndmask_b32_e32 v7, v7, v9, vcc
; %bb.91:
	s_or_b64 exec, exec, s[4:5]
	v_lshrrev_b32_e32 v6, 24, v6
	s_movk_i32 s4, 0x80
	v_and_or_b32 v6, v6, s4, v7
	global_store_byte v[4:5], v6, off
.LBB7_92:
	s_mov_b64 s[8:9], 0
	s_mov_b64 s[4:5], -1
.LBB7_93:
	s_andn2_b64 vcc, exec, s[8:9]
	s_cbranch_vccnz .LBB7_101
; %bb.94:
	s_cmp_gt_i32 s13, 14
	s_mov_b64 s[8:9], -1
	s_cbranch_scc0 .LBB7_98
; %bb.95:
	s_cmp_eq_u32 s13, 15
	s_mov_b64 s[6:7], -1
	s_cbranch_scc0 .LBB7_97
; %bb.96:
	v_cvt_f32_f64_e32 v6, v[0:1]
	s_movk_i32 s4, 0x7fff
	v_mov_b32_e32 v7, 0x7fc0
	s_mov_b64 s[6:7], 0
	v_bfe_u32 v8, v6, 16, 1
	v_cmp_o_f32_e32 vcc, v6, v6
	v_add3_u32 v6, v6, v8, s4
	v_cndmask_b32_sdwa v6, v7, v6, vcc dst_sel:DWORD dst_unused:UNUSED_PAD src0_sel:DWORD src1_sel:WORD_1
	global_store_short v[4:5], v6, off
	s_mov_b64 s[4:5], -1
.LBB7_97:
	s_mov_b64 s[8:9], 0
.LBB7_98:
	s_and_b64 vcc, exec, s[8:9]
	s_cbranch_vccz .LBB7_101
; %bb.99:
	s_cmp_eq_u32 s13, 11
	s_mov_b64 s[6:7], -1
	s_cbranch_scc0 .LBB7_101
; %bb.100:
	v_cmp_neq_f64_e32 vcc, 0, v[0:1]
	v_cmp_neq_f64_e64 s[4:5], 0, v[2:3]
	s_mov_b64 s[6:7], 0
	s_or_b64 s[4:5], vcc, s[4:5]
	v_cndmask_b32_e64 v6, 0, 1, s[4:5]
	s_mov_b64 s[4:5], -1
	global_store_byte v[4:5], v6, off
.LBB7_101:
	s_branch .LBB7_20
.LBB7_102:
	s_and_b32 s8, 0xffff, s12
	s_cmp_lt_i32 s8, 5
	s_mov_b64 s[4:5], -1
	s_cbranch_scc1 .LBB7_123
; %bb.103:
	s_cmp_lt_i32 s8, 8
	s_cbranch_scc1 .LBB7_113
; %bb.104:
	s_cmp_lt_i32 s8, 9
	s_cbranch_scc1 .LBB7_110
; %bb.105:
	s_cmp_gt_i32 s8, 9
	s_cbranch_scc0 .LBB7_107
; %bb.106:
	global_store_dwordx4 v[4:5], v[0:3], off
	s_mov_b64 s[4:5], 0
.LBB7_107:
	s_andn2_b64 vcc, exec, s[4:5]
	s_cbranch_vccnz .LBB7_109
; %bb.108:
	v_cvt_f32_f64_e32 v6, v[0:1]
	v_cvt_f32_f64_e32 v7, v[2:3]
	global_store_dwordx2 v[4:5], v[6:7], off
.LBB7_109:
	s_mov_b64 s[4:5], 0
.LBB7_110:
	s_andn2_b64 vcc, exec, s[4:5]
	s_cbranch_vccnz .LBB7_112
; %bb.111:
	s_movk_i32 s4, 0x1ff
	v_and_or_b32 v6, v1, s4, v0
	v_cmp_ne_u32_e32 vcc, 0, v6
	v_cndmask_b32_e64 v6, 0, 1, vcc
	v_lshrrev_b32_e32 v7, 8, v1
	s_movk_i32 s5, 0xffe
	v_bfe_u32 v8, v1, 20, 11
	v_and_or_b32 v6, v7, s5, v6
	v_sub_u32_e32 v9, 0x3f1, v8
	v_or_b32_e32 v7, 0x1000, v6
	v_med3_i32 v9, v9, 0, 13
	v_lshrrev_b32_e32 v10, v9, v7
	v_lshlrev_b32_e32 v9, v9, v10
	v_cmp_ne_u32_e32 vcc, v9, v7
	v_cndmask_b32_e64 v7, 0, 1, vcc
	v_add_u32_e32 v8, 0xfffffc10, v8
	v_or_b32_e32 v7, v10, v7
	v_lshl_or_b32 v9, v8, 12, v6
	v_cmp_gt_i32_e32 vcc, 1, v8
	v_cndmask_b32_e32 v7, v9, v7, vcc
	v_and_b32_e32 v9, 7, v7
	v_cmp_lt_i32_e32 vcc, 5, v9
	v_cndmask_b32_e64 v10, 0, 1, vcc
	v_cmp_eq_u32_e32 vcc, 3, v9
	v_cndmask_b32_e64 v9, 0, 1, vcc
	v_or_b32_e32 v9, v9, v10
	v_lshrrev_b32_e32 v7, 2, v7
	v_add_u32_e32 v7, v7, v9
	v_mov_b32_e32 v9, 0x7c00
	v_cmp_gt_i32_e32 vcc, 31, v8
	v_cndmask_b32_e32 v7, v9, v7, vcc
	v_mov_b32_e32 v10, 0x7e00
	v_cmp_ne_u32_e32 vcc, 0, v6
	s_movk_i32 s9, 0x40f
	v_cndmask_b32_e32 v6, v9, v10, vcc
	v_cmp_eq_u32_e32 vcc, s9, v8
	v_and_or_b32 v2, v3, s4, v2
	v_cndmask_b32_e32 v6, v7, v6, vcc
	v_lshrrev_b32_e32 v7, 16, v1
	s_mov_b32 s10, 0x8000
	v_cmp_ne_u32_e32 vcc, 0, v2
	v_and_or_b32 v6, v7, s10, v6
	v_cndmask_b32_e64 v2, 0, 1, vcc
	v_lshrrev_b32_e32 v7, 8, v3
	v_bfe_u32 v8, v3, 20, 11
	v_and_or_b32 v2, v7, s5, v2
	v_sub_u32_e32 v11, 0x3f1, v8
	v_or_b32_e32 v7, 0x1000, v2
	v_med3_i32 v11, v11, 0, 13
	v_lshrrev_b32_e32 v12, v11, v7
	v_lshlrev_b32_e32 v11, v11, v12
	v_cmp_ne_u32_e32 vcc, v11, v7
	v_cndmask_b32_e64 v7, 0, 1, vcc
	v_add_u32_e32 v8, 0xfffffc10, v8
	v_or_b32_e32 v7, v12, v7
	v_lshl_or_b32 v11, v8, 12, v2
	v_cmp_gt_i32_e32 vcc, 1, v8
	v_cndmask_b32_e32 v7, v11, v7, vcc
	v_and_b32_e32 v11, 7, v7
	v_cmp_lt_i32_e32 vcc, 5, v11
	v_cndmask_b32_e64 v12, 0, 1, vcc
	v_cmp_eq_u32_e32 vcc, 3, v11
	v_cndmask_b32_e64 v11, 0, 1, vcc
	v_or_b32_e32 v11, v11, v12
	v_lshrrev_b32_e32 v7, 2, v7
	v_add_u32_e32 v7, v7, v11
	v_cmp_gt_i32_e32 vcc, 31, v8
	v_cndmask_b32_e32 v7, v9, v7, vcc
	v_cmp_ne_u32_e32 vcc, 0, v2
	v_cndmask_b32_e32 v2, v9, v10, vcc
	v_cmp_eq_u32_e32 vcc, s9, v8
	v_cndmask_b32_e32 v2, v7, v2, vcc
	v_lshrrev_b32_e32 v3, 16, v3
	v_and_or_b32 v2, v3, s10, v2
	v_and_b32_e32 v3, 0xffff, v6
	v_lshl_or_b32 v2, v2, 16, v3
	global_store_dword v[4:5], v2, off
.LBB7_112:
	s_mov_b64 s[4:5], 0
.LBB7_113:
	s_andn2_b64 vcc, exec, s[4:5]
	s_cbranch_vccnz .LBB7_122
; %bb.114:
	s_cmp_lt_i32 s8, 6
	s_mov_b64 s[4:5], -1
	s_cbranch_scc1 .LBB7_120
; %bb.115:
	s_cmp_gt_i32 s8, 6
	s_cbranch_scc0 .LBB7_117
; %bb.116:
	global_store_dwordx2 v[4:5], v[0:1], off
	s_mov_b64 s[4:5], 0
.LBB7_117:
	s_andn2_b64 vcc, exec, s[4:5]
	s_cbranch_vccnz .LBB7_119
; %bb.118:
	v_cvt_f32_f64_e32 v2, v[0:1]
	global_store_dword v[4:5], v2, off
.LBB7_119:
	s_mov_b64 s[4:5], 0
.LBB7_120:
	s_andn2_b64 vcc, exec, s[4:5]
	s_cbranch_vccnz .LBB7_122
; %bb.121:
	s_movk_i32 s4, 0x1ff
	v_and_or_b32 v2, v1, s4, v0
	v_cmp_ne_u32_e32 vcc, 0, v2
	v_cndmask_b32_e64 v2, 0, 1, vcc
	v_lshrrev_b32_e32 v3, 8, v1
	s_movk_i32 s4, 0xffe
	v_bfe_u32 v6, v1, 20, 11
	v_and_or_b32 v2, v3, s4, v2
	v_sub_u32_e32 v7, 0x3f1, v6
	v_or_b32_e32 v3, 0x1000, v2
	v_med3_i32 v7, v7, 0, 13
	v_lshrrev_b32_e32 v8, v7, v3
	v_lshlrev_b32_e32 v7, v7, v8
	v_cmp_ne_u32_e32 vcc, v7, v3
	v_cndmask_b32_e64 v3, 0, 1, vcc
	v_add_u32_e32 v6, 0xfffffc10, v6
	v_or_b32_e32 v3, v8, v3
	v_lshl_or_b32 v7, v6, 12, v2
	v_cmp_gt_i32_e32 vcc, 1, v6
	v_cndmask_b32_e32 v3, v7, v3, vcc
	v_and_b32_e32 v7, 7, v3
	v_cmp_lt_i32_e32 vcc, 5, v7
	v_cndmask_b32_e64 v8, 0, 1, vcc
	v_cmp_eq_u32_e32 vcc, 3, v7
	v_cndmask_b32_e64 v7, 0, 1, vcc
	v_or_b32_e32 v7, v7, v8
	v_lshrrev_b32_e32 v3, 2, v3
	v_add_u32_e32 v3, v3, v7
	v_mov_b32_e32 v7, 0x7c00
	v_cmp_gt_i32_e32 vcc, 31, v6
	v_cndmask_b32_e32 v3, v7, v3, vcc
	v_mov_b32_e32 v8, 0x7e00
	v_cmp_ne_u32_e32 vcc, 0, v2
	s_movk_i32 s4, 0x40f
	v_cndmask_b32_e32 v2, v7, v8, vcc
	v_cmp_eq_u32_e32 vcc, s4, v6
	v_cndmask_b32_e32 v2, v3, v2, vcc
	v_lshrrev_b32_e32 v3, 16, v1
	s_mov_b32 s4, 0x8000
	v_and_or_b32 v2, v3, s4, v2
	global_store_short v[4:5], v2, off
.LBB7_122:
	s_mov_b64 s[4:5], 0
.LBB7_123:
	s_andn2_b64 vcc, exec, s[4:5]
	s_cbranch_vccnz .LBB7_139
; %bb.124:
	s_cmp_lt_i32 s8, 2
	s_mov_b64 s[4:5], -1
	s_cbranch_scc1 .LBB7_134
; %bb.125:
	s_cmp_lt_i32 s8, 3
	s_cbranch_scc1 .LBB7_131
; %bb.126:
	s_cmp_gt_i32 s8, 3
	s_cbranch_scc0 .LBB7_128
; %bb.127:
	v_trunc_f64_e32 v[2:3], v[0:1]
	s_movk_i32 s4, 0xffe0
	v_ldexp_f64 v[6:7], v[2:3], s4
	s_mov_b32 s4, 0
	s_mov_b32 s5, 0xc1f00000
	v_floor_f64_e32 v[6:7], v[6:7]
	v_fma_f64 v[2:3], v[6:7], s[4:5], v[2:3]
	v_cvt_i32_f64_e32 v7, v[6:7]
	s_mov_b64 s[4:5], 0
	v_cvt_u32_f64_e32 v6, v[2:3]
	global_store_dwordx2 v[4:5], v[6:7], off
.LBB7_128:
	s_andn2_b64 vcc, exec, s[4:5]
	s_cbranch_vccnz .LBB7_130
; %bb.129:
	v_cvt_i32_f64_e32 v2, v[0:1]
	global_store_dword v[4:5], v2, off
.LBB7_130:
	s_mov_b64 s[4:5], 0
.LBB7_131:
	s_andn2_b64 vcc, exec, s[4:5]
	s_cbranch_vccnz .LBB7_133
; %bb.132:
	v_cvt_i32_f64_e32 v2, v[0:1]
	global_store_short v[4:5], v2, off
.LBB7_133:
	s_mov_b64 s[4:5], 0
.LBB7_134:
	s_andn2_b64 vcc, exec, s[4:5]
	s_cbranch_vccnz .LBB7_139
; %bb.135:
	s_cmp_gt_i32 s8, 0
	s_mov_b64 s[4:5], -1
	s_cbranch_scc0 .LBB7_137
; %bb.136:
	v_cvt_i32_f64_e32 v2, v[0:1]
	s_mov_b64 s[4:5], 0
	global_store_byte v[4:5], v2, off
.LBB7_137:
	s_andn2_b64 vcc, exec, s[4:5]
	s_cbranch_vccnz .LBB7_139
; %bb.138:
	v_trunc_f64_e32 v[0:1], v[0:1]
	s_movk_i32 s4, 0xffe0
	v_ldexp_f64 v[2:3], v[0:1], s4
	s_mov_b32 s4, 0
	s_mov_b32 s5, 0xc1f00000
	v_floor_f64_e32 v[2:3], v[2:3]
	v_fma_f64 v[0:1], v[2:3], s[4:5], v[0:1]
	v_cvt_u32_f64_e32 v0, v[0:1]
	global_store_byte v[4:5], v0, off
.LBB7_139:
	s_branch .LBB7_21
.LBB7_140:
	s_mov_b64 s[4:5], 0
                                        ; implicit-def: $vgpr47
	s_branch .LBB7_254
.LBB7_141:
	s_mov_b64 s[48:49], -1
                                        ; implicit-def: $vgpr0_vgpr1
.LBB7_142:
	v_mov_b32_e32 v2, 0
	v_mov_b32_e32 v3, 0
.LBB7_143:
	s_mov_b64 s[6:7], 0
.LBB7_144:
	s_and_b64 vcc, exec, s[6:7]
	s_cbranch_vccz .LBB7_149
; %bb.145:
	s_cmp_eq_u32 s10, 29
	s_cbranch_scc0 .LBB7_147
; %bb.146:
	global_load_dwordx2 v[0:1], v[4:5], off
	s_mov_b64 s[4:5], -1
	s_mov_b64 s[48:49], 0
	s_waitcnt vmcnt(0)
	v_cvt_f64_u32_e32 v[1:2], v1
	v_cvt_f64_u32_e32 v[6:7], v0
	v_ldexp_f64 v[1:2], v[1:2], 32
	v_add_f64 v[0:1], v[1:2], v[6:7]
	s_branch .LBB7_148
.LBB7_147:
	s_mov_b64 s[48:49], -1
                                        ; implicit-def: $vgpr0_vgpr1
.LBB7_148:
	v_mov_b32_e32 v2, 0
	v_mov_b32_e32 v3, 0
.LBB7_149:
	s_mov_b64 s[6:7], 0
.LBB7_150:
	s_and_b64 vcc, exec, s[6:7]
	s_cbranch_vccz .LBB7_170
; %bb.151:
	s_cmp_lt_i32 s10, 27
	s_cbranch_scc1 .LBB7_154
; %bb.152:
	s_cmp_gt_i32 s10, 27
	s_cbranch_scc0 .LBB7_155
; %bb.153:
	global_load_dword v0, v[4:5], off
	s_mov_b64 s[4:5], 0
	s_waitcnt vmcnt(0)
	v_cvt_f64_u32_e32 v[0:1], v0
	s_branch .LBB7_156
.LBB7_154:
	s_mov_b64 s[4:5], -1
                                        ; implicit-def: $vgpr0_vgpr1
	s_branch .LBB7_159
.LBB7_155:
	s_mov_b64 s[4:5], -1
                                        ; implicit-def: $vgpr0_vgpr1
.LBB7_156:
	s_andn2_b64 vcc, exec, s[4:5]
	s_cbranch_vccnz .LBB7_158
; %bb.157:
	global_load_ushort v0, v[4:5], off
	s_waitcnt vmcnt(0)
	v_cvt_f64_u32_e32 v[0:1], v0
.LBB7_158:
	s_mov_b64 s[4:5], 0
.LBB7_159:
	s_andn2_b64 vcc, exec, s[4:5]
	s_cbranch_vccnz .LBB7_169
; %bb.160:
	global_load_ubyte v2, v[4:5], off
	s_movk_i32 s4, 0x7f
	s_waitcnt vmcnt(0)
	v_cmp_lt_i16_e32 vcc, s4, v2
	s_mov_b64 s[4:5], 0
	s_and_saveexec_b64 s[6:7], vcc
	s_xor_b64 s[6:7], exec, s[6:7]
	s_cbranch_execz .LBB7_164
; %bb.161:
	s_movk_i32 s4, 0x80
	v_cmp_eq_u16_e32 vcc, s4, v2
	s_mov_b64 s[4:5], -1
	s_and_saveexec_b64 s[8:9], vcc
; %bb.162:
	s_xor_b64 s[4:5], exec, -1
; %bb.163:
	s_or_b64 exec, exec, s[8:9]
	s_and_b64 s[4:5], s[4:5], exec
.LBB7_164:
	s_or_saveexec_b64 s[6:7], s[6:7]
	v_bfrev_b32_e32 v0, 4
	v_mov_b32_e32 v1, 0x7ff80000
	s_xor_b64 exec, exec, s[6:7]
; %bb.165:
	v_cmp_ne_u16_e32 vcc, 0, v2
	v_mov_b32_e32 v0, 0
	s_andn2_b64 s[4:5], s[4:5], exec
	s_and_b64 s[8:9], vcc, exec
	v_mov_b32_e32 v1, 0
	s_or_b64 s[4:5], s[4:5], s[8:9]
; %bb.166:
	s_or_b64 exec, exec, s[6:7]
	s_and_saveexec_b64 s[6:7], s[4:5]
	s_cbranch_execz .LBB7_168
; %bb.167:
	v_and_b32_e32 v1, 0xffff, v2
	v_lshlrev_b32_e32 v0, 24, v2
	v_and_b32_e32 v2, 7, v1
	v_ffbh_u32_e32 v6, v2
	v_min_u32_e32 v6, 32, v6
	v_subrev_u32_e32 v7, 28, v6
	v_bfe_u32 v3, v1, 3, 4
	v_lshlrev_b32_e32 v1, v7, v1
	v_sub_u32_e32 v6, 29, v6
	v_and_b32_e32 v1, 7, v1
	v_cmp_eq_u32_e32 vcc, 0, v3
	v_cndmask_b32_e32 v3, v3, v6, vcc
	v_cndmask_b32_e32 v1, v2, v1, vcc
	v_mov_b32_e32 v2, 0x3b800000
	v_lshlrev_b32_e32 v1, 20, v1
	v_and_b32_e32 v0, 0x80000000, v0
	v_lshl_add_u32 v2, v3, 23, v2
	v_or3_b32 v0, v0, v2, v1
	v_cvt_f64_f32_e32 v[0:1], v0
.LBB7_168:
	s_or_b64 exec, exec, s[6:7]
.LBB7_169:
	v_mov_b32_e32 v2, 0
	v_mov_b32_e32 v3, 0
	s_mov_b64 s[4:5], -1
.LBB7_170:
	s_branch .LBB7_203
.LBB7_171:
	s_cmp_gt_i32 s10, 22
	s_cbranch_scc0 .LBB7_183
; %bb.172:
	s_cmp_lt_i32 s10, 24
	s_cbranch_scc1 .LBB7_184
; %bb.173:
	s_cmp_gt_i32 s10, 24
	s_cbranch_scc0 .LBB7_185
; %bb.174:
	global_load_ubyte v2, v[4:5], off
	s_movk_i32 s4, 0x7f
	s_waitcnt vmcnt(0)
	v_cmp_lt_i16_e32 vcc, s4, v2
	s_mov_b64 s[4:5], 0
	s_and_saveexec_b64 s[6:7], vcc
	s_xor_b64 s[6:7], exec, s[6:7]
	s_cbranch_execz .LBB7_178
; %bb.175:
	s_movk_i32 s4, 0x80
	v_cmp_eq_u16_e32 vcc, s4, v2
	s_mov_b64 s[4:5], -1
	s_and_saveexec_b64 s[8:9], vcc
; %bb.176:
	s_xor_b64 s[4:5], exec, -1
; %bb.177:
	s_or_b64 exec, exec, s[8:9]
	s_and_b64 s[4:5], s[4:5], exec
.LBB7_178:
	s_or_saveexec_b64 s[6:7], s[6:7]
	v_bfrev_b32_e32 v0, 4
	v_mov_b32_e32 v1, 0x7ff80000
	s_xor_b64 exec, exec, s[6:7]
; %bb.179:
	v_cmp_ne_u16_e32 vcc, 0, v2
	v_mov_b32_e32 v0, 0
	s_andn2_b64 s[4:5], s[4:5], exec
	s_and_b64 s[8:9], vcc, exec
	v_mov_b32_e32 v1, 0
	s_or_b64 s[4:5], s[4:5], s[8:9]
; %bb.180:
	s_or_b64 exec, exec, s[6:7]
	s_and_saveexec_b64 s[6:7], s[4:5]
	s_cbranch_execz .LBB7_182
; %bb.181:
	v_and_b32_e32 v1, 0xffff, v2
	v_lshlrev_b32_e32 v0, 24, v2
	v_and_b32_e32 v2, 3, v1
	v_ffbh_u32_e32 v6, v2
	v_min_u32_e32 v6, 32, v6
	v_subrev_u32_e32 v7, 29, v6
	v_bfe_u32 v3, v1, 2, 5
	v_lshlrev_b32_e32 v1, v7, v1
	v_sub_u32_e32 v6, 30, v6
	v_and_b32_e32 v1, 3, v1
	v_cmp_eq_u32_e32 vcc, 0, v3
	v_cndmask_b32_e32 v3, v3, v6, vcc
	v_cndmask_b32_e32 v1, v2, v1, vcc
	v_mov_b32_e32 v2, 0x37800000
	v_lshlrev_b32_e32 v1, 21, v1
	v_and_b32_e32 v0, 0x80000000, v0
	v_lshl_add_u32 v2, v3, 23, v2
	v_or3_b32 v0, v0, v2, v1
	v_cvt_f64_f32_e32 v[0:1], v0
.LBB7_182:
	s_or_b64 exec, exec, s[6:7]
	s_mov_b64 s[4:5], 0
	s_branch .LBB7_186
.LBB7_183:
                                        ; implicit-def: $vgpr0_vgpr1
	s_branch .LBB7_192
.LBB7_184:
	s_mov_b64 s[4:5], -1
                                        ; implicit-def: $vgpr0_vgpr1
	s_branch .LBB7_189
.LBB7_185:
	s_mov_b64 s[4:5], -1
                                        ; implicit-def: $vgpr0_vgpr1
.LBB7_186:
	s_and_b64 vcc, exec, s[4:5]
	s_cbranch_vccz .LBB7_188
; %bb.187:
	global_load_ubyte v0, v[4:5], off
	s_mov_b32 s4, 0x7f800000
	s_waitcnt vmcnt(0)
	v_lshlrev_b32_e32 v0, 24, v0
	v_and_b32_e32 v1, 0x7f000000, v0
	v_ffbh_u32_e32 v2, v1
	v_min_u32_e32 v2, 32, v2
	v_sub_u32_e64 v2, v2, 4 clamp
	v_lshlrev_b32_e32 v6, v2, v1
	v_lshlrev_b32_e32 v2, 23, v2
	v_lshrrev_b32_e32 v6, 4, v6
	v_add_u32_e32 v3, 0x1000000, v1
	v_sub_u32_e32 v2, v6, v2
	v_ashrrev_i32_e32 v3, 8, v3
	v_add_u32_e32 v2, 0x3c000000, v2
	v_and_or_b32 v2, v3, s4, v2
	v_cmp_ne_u32_e32 vcc, 0, v1
	v_cndmask_b32_e32 v1, 0, v2, vcc
	s_brev_b32 s4, 1
	v_and_or_b32 v0, v0, s4, v1
	v_cvt_f64_f32_e32 v[0:1], v0
.LBB7_188:
	s_mov_b64 s[4:5], 0
.LBB7_189:
	s_andn2_b64 vcc, exec, s[4:5]
	s_cbranch_vccnz .LBB7_191
; %bb.190:
	global_load_ubyte v0, v[4:5], off
	s_movk_i32 s4, 0x7f00
	s_brev_b32 s5, 16
	s_waitcnt vmcnt(0)
	v_lshlrev_b16_e32 v1, 8, v0
	v_lshlrev_b32_e32 v0, 25, v0
	v_lshrrev_b32_e32 v2, 4, v0
	v_and_or_b32 v3, v1, s4, 0.5
	v_or_b32_e32 v2, 0x70000000, v2
	v_add_f32_e32 v3, -0.5, v3
	v_mul_f32_e32 v2, 0x7800000, v2
	v_cmp_gt_u32_e32 vcc, s5, v0
	v_bfe_i32 v1, v1, 0, 16
	v_cndmask_b32_e32 v0, v2, v3, vcc
	s_brev_b32 s4, 1
	v_and_or_b32 v0, v1, s4, v0
	v_cvt_f64_f32_e32 v[0:1], v0
.LBB7_191:
	s_mov_b64 s[4:5], -1
	s_cbranch_execnz .LBB7_202
.LBB7_192:
	s_cmp_gt_i32 s10, 14
	s_cbranch_scc0 .LBB7_195
; %bb.193:
	s_cmp_eq_u32 s10, 15
	s_cbranch_scc0 .LBB7_196
; %bb.194:
	global_load_ushort v0, v[4:5], off
	s_mov_b64 s[4:5], -1
	s_mov_b64 s[48:49], 0
	s_waitcnt vmcnt(0)
	v_lshlrev_b32_e32 v0, 16, v0
	v_cvt_f64_f32_e32 v[0:1], v0
	s_branch .LBB7_197
.LBB7_195:
	s_mov_b64 s[6:7], -1
                                        ; implicit-def: $vgpr0_vgpr1
	s_branch .LBB7_198
.LBB7_196:
	s_mov_b64 s[48:49], -1
                                        ; implicit-def: $vgpr0_vgpr1
.LBB7_197:
	s_mov_b64 s[6:7], 0
.LBB7_198:
	s_and_b64 vcc, exec, s[6:7]
	s_cbranch_vccz .LBB7_202
; %bb.199:
	s_cmp_eq_u32 s10, 11
	s_cbranch_scc0 .LBB7_201
; %bb.200:
	global_load_ubyte v1, v[4:5], off
	v_mov_b32_e32 v2, 0x3ff00000
	v_mov_b32_e32 v0, 0
	s_mov_b64 s[4:5], -1
	s_mov_b64 s[48:49], 0
	s_waitcnt vmcnt(0)
	v_cmp_ne_u16_e32 vcc, 0, v1
	v_cndmask_b32_e32 v1, 0, v2, vcc
	s_branch .LBB7_202
.LBB7_201:
	s_mov_b64 s[48:49], -1
                                        ; implicit-def: $vgpr0_vgpr1
.LBB7_202:
	v_mov_b32_e32 v2, 0
	v_mov_b32_e32 v3, 0
.LBB7_203:
	s_branch .LBB7_10
.LBB7_204:
	s_cmp_lt_i32 s10, 5
	s_cbranch_scc1 .LBB7_209
; %bb.205:
	s_cmp_lt_i32 s10, 8
	s_cbranch_scc1 .LBB7_210
; %bb.206:
	s_cmp_lt_i32 s10, 9
	s_cbranch_scc1 .LBB7_211
; %bb.207:
	s_cmp_gt_i32 s10, 9
	s_cbranch_scc0 .LBB7_212
; %bb.208:
	global_load_dwordx4 v[0:3], v[4:5], off
	s_mov_b64 s[4:5], 0
	s_branch .LBB7_213
.LBB7_209:
                                        ; implicit-def: $vgpr2_vgpr3
	s_branch .LBB7_232
.LBB7_210:
	s_mov_b64 s[4:5], -1
                                        ; implicit-def: $vgpr2_vgpr3
	s_branch .LBB7_219
.LBB7_211:
	s_mov_b64 s[4:5], -1
                                        ; implicit-def: $vgpr2_vgpr3
	s_branch .LBB7_216
.LBB7_212:
	s_mov_b64 s[4:5], -1
                                        ; implicit-def: $vgpr2_vgpr3
.LBB7_213:
	s_andn2_b64 vcc, exec, s[4:5]
	s_cbranch_vccnz .LBB7_215
; %bb.214:
	global_load_dwordx2 v[1:2], v[4:5], off
	s_waitcnt vmcnt(0)
	v_cvt_f64_f32_e32 v[0:1], v1
	v_cvt_f64_f32_e32 v[2:3], v2
.LBB7_215:
	s_mov_b64 s[4:5], 0
.LBB7_216:
	s_andn2_b64 vcc, exec, s[4:5]
	s_cbranch_vccnz .LBB7_218
; %bb.217:
	global_load_dword v0, v[4:5], off
	s_waitcnt vmcnt(0)
	v_cvt_f32_f16_e32 v1, v0
	v_cvt_f32_f16_sdwa v2, v0 dst_sel:DWORD dst_unused:UNUSED_PAD src0_sel:WORD_1
	v_cvt_f64_f32_e32 v[0:1], v1
	v_cvt_f64_f32_e32 v[2:3], v2
.LBB7_218:
	s_mov_b64 s[4:5], 0
.LBB7_219:
	s_andn2_b64 vcc, exec, s[4:5]
	s_cbranch_vccnz .LBB7_231
; %bb.220:
	s_cmp_lt_i32 s10, 6
	s_cbranch_scc1 .LBB7_223
; %bb.221:
	s_cmp_gt_i32 s10, 6
	s_cbranch_scc0 .LBB7_224
; %bb.222:
	global_load_dwordx2 v[0:1], v[4:5], off
	s_mov_b64 s[4:5], 0
	s_branch .LBB7_225
.LBB7_223:
	s_mov_b64 s[4:5], -1
                                        ; implicit-def: $vgpr0_vgpr1
	s_branch .LBB7_228
.LBB7_224:
	s_mov_b64 s[4:5], -1
                                        ; implicit-def: $vgpr0_vgpr1
.LBB7_225:
	s_andn2_b64 vcc, exec, s[4:5]
	s_cbranch_vccnz .LBB7_227
; %bb.226:
	global_load_dword v0, v[4:5], off
	s_waitcnt vmcnt(0)
	v_cvt_f64_f32_e32 v[0:1], v0
.LBB7_227:
	s_mov_b64 s[4:5], 0
.LBB7_228:
	s_andn2_b64 vcc, exec, s[4:5]
	s_cbranch_vccnz .LBB7_230
; %bb.229:
	global_load_ushort v0, v[4:5], off
	s_waitcnt vmcnt(0)
	v_cvt_f32_f16_e32 v0, v0
	v_cvt_f64_f32_e32 v[0:1], v0
.LBB7_230:
	s_waitcnt vmcnt(0)
	v_mov_b32_e32 v2, 0
	v_mov_b32_e32 v3, 0
.LBB7_231:
	s_cbranch_execnz .LBB7_252
.LBB7_232:
	s_cmp_lt_i32 s10, 2
	s_cbranch_scc1 .LBB7_236
; %bb.233:
	s_cmp_lt_i32 s10, 3
	s_cbranch_scc1 .LBB7_237
; %bb.234:
	s_cmp_gt_i32 s10, 3
	s_cbranch_scc0 .LBB7_238
; %bb.235:
	global_load_dwordx2 v[0:1], v[4:5], off
	s_mov_b64 s[4:5], 0
	s_waitcnt vmcnt(0)
	v_cvt_f64_i32_e32 v[1:2], v1
	v_cvt_f64_u32_e32 v[6:7], v0
	v_ldexp_f64 v[1:2], v[1:2], 32
	v_add_f64 v[0:1], v[1:2], v[6:7]
	s_branch .LBB7_239
.LBB7_236:
	s_mov_b64 s[4:5], -1
                                        ; implicit-def: $vgpr0_vgpr1
	s_branch .LBB7_245
.LBB7_237:
	s_mov_b64 s[4:5], -1
                                        ; implicit-def: $vgpr0_vgpr1
	s_branch .LBB7_242
.LBB7_238:
	s_mov_b64 s[4:5], -1
                                        ; implicit-def: $vgpr0_vgpr1
.LBB7_239:
	s_andn2_b64 vcc, exec, s[4:5]
	s_cbranch_vccnz .LBB7_241
; %bb.240:
	global_load_dword v0, v[4:5], off
	s_waitcnt vmcnt(0)
	v_cvt_f64_i32_e32 v[0:1], v0
.LBB7_241:
	s_mov_b64 s[4:5], 0
.LBB7_242:
	s_andn2_b64 vcc, exec, s[4:5]
	s_cbranch_vccnz .LBB7_244
; %bb.243:
	global_load_sshort v0, v[4:5], off
	s_waitcnt vmcnt(0)
	v_cvt_f64_i32_e32 v[0:1], v0
.LBB7_244:
	s_mov_b64 s[4:5], 0
.LBB7_245:
	s_andn2_b64 vcc, exec, s[4:5]
	s_cbranch_vccnz .LBB7_251
; %bb.246:
	s_cmp_gt_i32 s10, 0
	s_cbranch_scc0 .LBB7_248
; %bb.247:
	global_load_sbyte v0, v[4:5], off
	s_mov_b64 s[4:5], 0
	s_waitcnt vmcnt(0)
	v_cvt_f64_i32_e32 v[0:1], v0
	s_branch .LBB7_249
.LBB7_248:
	s_mov_b64 s[4:5], -1
                                        ; implicit-def: $vgpr0_vgpr1
.LBB7_249:
	s_andn2_b64 vcc, exec, s[4:5]
	s_cbranch_vccnz .LBB7_251
; %bb.250:
	global_load_ubyte v0, v[4:5], off
	s_waitcnt vmcnt(0)
	v_cvt_f64_u32_e32 v[0:1], v0
.LBB7_251:
	s_waitcnt vmcnt(0)
	v_mov_b32_e32 v2, 0
	v_mov_b32_e32 v3, 0
.LBB7_252:
	s_branch .LBB7_11
.LBB7_253:
	s_mov_b64 s[6:7], 0
                                        ; implicit-def: $vgpr47
	s_mov_b64 s[4:5], 0
.LBB7_254:
	s_and_b64 s[46:47], s[6:7], exec
	s_and_b64 s[48:49], s[48:49], exec
	s_orn2_b64 s[6:7], s[4:5], exec
.LBB7_255:
	s_or_b64 exec, exec, s[50:51]
	s_mov_b64 s[8:9], 0
	s_mov_b64 s[4:5], 0
                                        ; implicit-def: $vgpr0_vgpr1
                                        ; implicit-def: $vgpr6_vgpr7
	s_and_saveexec_b64 s[50:51], s[6:7]
	s_cbranch_execz .LBB7_264
; %bb.256:
	v_cmp_gt_i32_e32 vcc, s62, v47
	s_mov_b64 s[4:5], -1
	s_mov_b64 s[52:53], s[48:49]
	s_mov_b64 s[54:55], s[46:47]
	s_and_saveexec_b64 s[56:57], vcc
	s_cbranch_execz .LBB7_521
; %bb.257:
	s_waitcnt vmcnt(0)
	v_mul_lo_u32 v0, v47, s35
	v_mov_b32_e32 v1, s39
	s_and_b32 s10, 0xffff, s33
	s_cmp_lt_i32 s10, 11
	v_ashrrev_i32_e32 v2, 31, v0
	v_add_co_u32_e32 v4, vcc, s38, v0
	v_addc_co_u32_e32 v5, vcc, v1, v2, vcc
	s_cbranch_scc1 .LBB7_267
; %bb.258:
	s_cmp_gt_i32 s10, 25
	s_cbranch_scc0 .LBB7_276
; %bb.259:
	s_cmp_gt_i32 s10, 28
	s_cbranch_scc0 .LBB7_278
	;; [unrolled: 3-line block ×4, first 2 shown]
; %bb.262:
	s_cmp_eq_u32 s10, 46
	s_mov_b64 s[6:7], 0
	s_cbranch_scc0 .LBB7_288
; %bb.263:
	global_load_dword v0, v[4:5], off
	s_mov_b64 s[52:53], 0
	s_waitcnt vmcnt(0)
	v_and_b32_e32 v2, 0xffff0000, v0
	v_lshlrev_b32_e32 v0, 16, v0
	v_cvt_f64_f32_e32 v[0:1], v0
	v_cvt_f64_f32_e32 v[2:3], v2
	s_branch .LBB7_289
.LBB7_264:
	s_or_b64 exec, exec, s[50:51]
	s_mov_b64 s[50:51], 0
	s_and_saveexec_b64 s[6:7], s[48:49]
	s_cbranch_execnz .LBB7_875
.LBB7_265:
	s_or_b64 exec, exec, s[6:7]
	s_and_saveexec_b64 s[6:7], s[54:55]
	s_xor_b64 s[6:7], exec, s[6:7]
	s_cbranch_execz .LBB7_876
.LBB7_266:
	s_waitcnt vmcnt(0)
	global_load_ubyte v2, v[0:1], off
	v_mov_b32_e32 v3, 0x3ff00000
	v_mov_b32_e32 v6, 0
	;; [unrolled: 1-line block ×4, first 2 shown]
	s_or_b64 s[4:5], s[4:5], exec
	s_waitcnt vmcnt(0)
	v_cmp_ne_u16_e32 vcc, 0, v2
	v_cndmask_b32_e32 v5, 0, v3, vcc
	s_or_b64 exec, exec, s[6:7]
	s_and_saveexec_b64 s[6:7], s[8:9]
	s_cbranch_execz .LBB7_924
	s_branch .LBB7_877
.LBB7_267:
	s_mov_b64 s[4:5], 0
                                        ; implicit-def: $vgpr2_vgpr3
	s_mov_b64 s[52:53], s[48:49]
	s_cbranch_execnz .LBB7_469
.LBB7_268:
	s_andn2_b64 vcc, exec, s[4:5]
	s_cbranch_vccnz .LBB7_519
.LBB7_269:
	s_getpc_b64 s[4:5]
	s_add_u32 s4, s4, _ZZZZN2at6native16asin_kernel_cudaERNS_18TensorIteratorBaseEENKUlvE_clEvENKUlvE_clEvENKUlN3c107complexIdEEE_clES7_@rel32@lo+4
	s_addc_u32 s5, s5, _ZZZZN2at6native16asin_kernel_cudaERNS_18TensorIteratorBaseEENKUlvE_clEvENKUlvE_clEvENKUlN3c107complexIdEEE_clES7_@rel32@hi+12
	s_swappc_b64 s[30:31], s[4:5]
	v_mul_lo_u32 v4, v47, s34
	v_mov_b32_e32 v5, s37
	s_and_b32 s12, s27, 0xff
	s_cmp_lt_i32 s12, 11
	v_ashrrev_i32_e32 v6, 31, v4
	v_add_co_u32_e32 v4, vcc, s36, v4
	v_addc_co_u32_e32 v5, vcc, v5, v6, vcc
	s_cbranch_scc1 .LBB7_277
; %bb.270:
	s_and_b32 s13, 0xffff, s12
	s_cmp_gt_i32 s13, 25
	s_cbranch_scc0 .LBB7_279
; %bb.271:
	s_cmp_gt_i32 s13, 28
	s_cbranch_scc0 .LBB7_281
; %bb.272:
	s_cmp_gt_i32 s13, 43
	s_cbranch_scc0 .LBB7_285
; %bb.273:
	s_cmp_gt_i32 s13, 45
	s_cbranch_scc0 .LBB7_292
; %bb.274:
	s_mov_b64 s[8:9], 0
	s_mov_b64 s[6:7], -1
	s_cmp_eq_u32 s13, 46
	s_mov_b64 s[4:5], 0
	s_cbranch_scc0 .LBB7_293
; %bb.275:
	v_cvt_f32_f64_e32 v7, v[2:3]
	v_cvt_f32_f64_e32 v6, v[0:1]
	s_movk_i32 s4, 0x7fff
	v_mov_b32_e32 v10, 0x7fc00000
	v_bfe_u32 v9, v7, 16, 1
	v_add3_u32 v9, v7, v9, s4
	v_bfe_u32 v8, v6, 16, 1
	v_and_b32_e32 v9, 0xffff0000, v9
	v_cmp_o_f32_e32 vcc, v7, v7
	v_add3_u32 v8, v6, v8, s4
	v_cndmask_b32_e32 v7, v10, v9, vcc
	v_cmp_o_f32_e32 vcc, v6, v6
	v_mov_b32_e32 v6, 0x7fc0
	v_cndmask_b32_sdwa v6, v6, v8, vcc dst_sel:DWORD dst_unused:UNUSED_PAD src0_sel:DWORD src1_sel:WORD_1
	v_or_b32_e32 v6, v7, v6
	global_store_dword v[4:5], v6, off
	s_mov_b64 s[4:5], -1
	s_mov_b64 s[6:7], 0
	s_branch .LBB7_293
.LBB7_276:
	s_mov_b64 s[6:7], -1
	s_mov_b64 s[4:5], 0
	s_mov_b64 s[52:53], s[48:49]
                                        ; implicit-def: $vgpr2_vgpr3
	s_branch .LBB7_434
.LBB7_277:
	s_mov_b64 s[8:9], -1
	s_mov_b64 s[4:5], 0
	s_mov_b64 s[6:7], s[46:47]
	s_branch .LBB7_362
.LBB7_278:
	s_mov_b64 s[6:7], -1
	s_mov_b64 s[4:5], 0
	s_mov_b64 s[52:53], s[48:49]
                                        ; implicit-def: $vgpr2_vgpr3
	s_branch .LBB7_413
.LBB7_279:
	s_mov_b64 s[8:9], -1
	s_mov_b64 s[4:5], 0
	s_mov_b64 s[6:7], s[46:47]
	s_branch .LBB7_320
.LBB7_280:
	s_mov_b64 s[6:7], -1
	s_mov_b64 s[4:5], 0
	s_mov_b64 s[52:53], s[48:49]
                                        ; implicit-def: $vgpr2_vgpr3
	s_branch .LBB7_407
.LBB7_281:
	s_mov_b64 s[8:9], -1
	s_mov_b64 s[4:5], 0
	s_mov_b64 s[6:7], s[46:47]
	s_branch .LBB7_303
.LBB7_282:
	s_andn2_saveexec_b64 s[10:11], s[10:11]
	s_cbranch_execz .LBB7_54
.LBB7_283:
	s_mov_b32 s14, 0x46000000
	v_add_f32_e64 v7, |v6|, s14
	v_and_b32_e32 v7, 0xff, v7
	v_cmp_ne_u32_e32 vcc, 0, v7
	s_andn2_b64 s[8:9], s[8:9], exec
	s_and_b64 s[14:15], vcc, exec
	s_or_b64 s[8:9], s[8:9], s[14:15]
	s_or_b64 exec, exec, s[10:11]
	v_mov_b32_e32 v8, 0
	s_and_saveexec_b64 s[10:11], s[8:9]
	s_cbranch_execnz .LBB7_55
	s_branch .LBB7_56
.LBB7_284:
	s_mov_b64 s[6:7], -1
	s_mov_b64 s[4:5], 0
	s_mov_b64 s[52:53], s[48:49]
                                        ; implicit-def: $vgpr2_vgpr3
	s_branch .LBB7_289
.LBB7_285:
	s_mov_b64 s[8:9], -1
	s_mov_b64 s[4:5], 0
	s_mov_b64 s[6:7], s[46:47]
	s_branch .LBB7_299
.LBB7_286:
	s_andn2_saveexec_b64 s[10:11], s[10:11]
	s_cbranch_execz .LBB7_67
.LBB7_287:
	s_mov_b32 s14, 0x42800000
	v_add_f32_e64 v7, |v6|, s14
	v_and_b32_e32 v7, 0xff, v7
	v_cmp_ne_u32_e32 vcc, 0, v7
	s_andn2_b64 s[8:9], s[8:9], exec
	s_and_b64 s[14:15], vcc, exec
	s_or_b64 s[8:9], s[8:9], s[14:15]
	s_or_b64 exec, exec, s[10:11]
	v_mov_b32_e32 v8, 0
	s_and_saveexec_b64 s[10:11], s[8:9]
	s_cbranch_execnz .LBB7_68
	s_branch .LBB7_69
.LBB7_288:
	s_mov_b64 s[52:53], -1
                                        ; implicit-def: $vgpr2_vgpr3
	s_mov_b64 s[4:5], 0
.LBB7_289:
	s_and_b64 vcc, exec, s[6:7]
	s_cbranch_vccz .LBB7_406
; %bb.290:
	s_cmp_eq_u32 s10, 44
	s_cbranch_scc0 .LBB7_404
; %bb.291:
	global_load_ubyte v2, v[4:5], off
	s_movk_i32 s6, 0xff
	v_bfrev_b32_e32 v3, 4
	v_mov_b32_e32 v6, 0x7ff80000
	v_bfrev_b32_e32 v7, 28
	s_mov_b64 s[4:5], -1
	s_mov_b64 s[52:53], 0
	s_waitcnt vmcnt(0)
	v_lshlrev_b32_e32 v0, 23, v2
	v_cvt_f64_f32_e32 v[0:1], v0
	v_cmp_ne_u32_e32 vcc, s6, v2
	v_cndmask_b32_e32 v0, v3, v0, vcc
	v_cndmask_b32_e32 v1, v6, v1, vcc
	v_cmp_ne_u32_e32 vcc, 0, v2
	v_cndmask_b32_e32 v1, v7, v1, vcc
	v_cndmask_b32_e32 v0, 0, v0, vcc
	s_branch .LBB7_405
.LBB7_292:
	s_mov_b64 s[8:9], -1
	s_mov_b64 s[4:5], 0
	s_mov_b64 s[6:7], s[46:47]
.LBB7_293:
	s_and_b64 vcc, exec, s[8:9]
	s_cbranch_vccz .LBB7_298
; %bb.294:
	s_cmp_eq_u32 s13, 44
	s_mov_b64 s[6:7], -1
	s_cbranch_scc0 .LBB7_298
; %bb.295:
	v_cvt_f32_f64_e32 v6, v[0:1]
	s_movk_i32 s4, 0xff
	v_mov_b32_e32 v8, 0xff
	v_bfe_u32 v7, v6, 23, 8
	v_cmp_ne_u32_e32 vcc, s4, v7
	s_and_saveexec_b64 s[6:7], vcc
; %bb.296:
	s_mov_b32 s4, 0x3fffff
	v_lshrrev_b32_e32 v8, 23, v6
	v_and_b32_e32 v9, 0x400000, v6
	v_and_or_b32 v6, v6, s4, v7
	v_cmp_ne_u32_e32 vcc, 0, v9
	v_cmp_ne_u32_e64 s[4:5], 0, v6
	s_and_b64 s[4:5], vcc, s[4:5]
	v_cndmask_b32_e64 v6, 0, 1, s[4:5]
	v_add_u32_e32 v8, v8, v6
; %bb.297:
	s_or_b64 exec, exec, s[6:7]
	s_mov_b64 s[4:5], -1
	s_mov_b64 s[6:7], 0
	global_store_byte v[4:5], v8, off
.LBB7_298:
	s_mov_b64 s[8:9], 0
.LBB7_299:
	s_and_b64 vcc, exec, s[8:9]
	s_cbranch_vccz .LBB7_302
; %bb.300:
	s_cmp_eq_u32 s13, 29
	s_mov_b64 s[6:7], -1
	s_cbranch_scc0 .LBB7_302
; %bb.301:
	v_trunc_f64_e32 v[6:7], v[0:1]
	s_movk_i32 s4, 0xffe0
	s_mov_b64 s[6:7], 0
	s_mov_b64 s[8:9], 0
	v_ldexp_f64 v[8:9], v[6:7], s4
	s_mov_b32 s4, 0
	s_mov_b32 s5, 0xc1f00000
	v_floor_f64_e32 v[8:9], v[8:9]
	v_fma_f64 v[6:7], v[8:9], s[4:5], v[6:7]
	v_cvt_u32_f64_e32 v8, v[8:9]
	s_mov_b64 s[4:5], -1
	v_cvt_u32_f64_e32 v7, v[6:7]
	global_store_dwordx2 v[4:5], v[7:8], off
	s_branch .LBB7_303
.LBB7_302:
	s_mov_b64 s[8:9], 0
.LBB7_303:
	s_and_b64 vcc, exec, s[8:9]
	s_cbranch_vccz .LBB7_319
; %bb.304:
	s_cmp_lt_i32 s13, 27
	s_mov_b64 s[4:5], -1
	s_cbranch_scc1 .LBB7_310
; %bb.305:
	v_cvt_u32_f64_e32 v6, v[0:1]
	s_cmp_gt_i32 s13, 27
	s_cbranch_scc0 .LBB7_307
; %bb.306:
	s_mov_b64 s[4:5], 0
	global_store_dword v[4:5], v6, off
.LBB7_307:
	s_andn2_b64 vcc, exec, s[4:5]
	s_cbranch_vccnz .LBB7_309
; %bb.308:
	global_store_short v[4:5], v6, off
.LBB7_309:
	s_mov_b64 s[4:5], 0
.LBB7_310:
	s_andn2_b64 vcc, exec, s[4:5]
	s_cbranch_vccnz .LBB7_318
; %bb.311:
	v_cvt_f32_f64_e32 v6, v[0:1]
	s_mov_b32 s4, 0x43800000
	v_mov_b32_e32 v8, 0x80
	v_and_b32_e32 v7, 0x7fffffff, v6
	v_cmp_gt_u32_e32 vcc, s4, v7
	s_and_saveexec_b64 s[4:5], vcc
	s_cbranch_execz .LBB7_317
; %bb.312:
	s_mov_b32 s8, 0x3bffffff
	v_cmp_lt_u32_e32 vcc, s8, v7
	s_mov_b64 s[8:9], 0
                                        ; implicit-def: $vgpr7
	s_and_saveexec_b64 s[10:11], vcc
	s_xor_b64 s[10:11], exec, s[10:11]
	s_cbranch_execz .LBB7_534
; %bb.313:
	v_bfe_u32 v7, v6, 20, 1
	s_mov_b32 s14, 0x487ffff
	v_add3_u32 v7, v6, v7, s14
	s_mov_b64 s[8:9], exec
	v_lshrrev_b32_e32 v7, 20, v7
	s_andn2_saveexec_b64 s[10:11], s[10:11]
	s_cbranch_execnz .LBB7_535
.LBB7_314:
	s_or_b64 exec, exec, s[10:11]
	v_mov_b32_e32 v8, 0
	s_and_saveexec_b64 s[10:11], s[8:9]
.LBB7_315:
	v_lshrrev_b32_e32 v6, 24, v6
	s_movk_i32 s8, 0x80
	v_and_or_b32 v8, v6, s8, v7
.LBB7_316:
	s_or_b64 exec, exec, s[10:11]
.LBB7_317:
	s_or_b64 exec, exec, s[4:5]
	global_store_byte v[4:5], v8, off
.LBB7_318:
	s_mov_b64 s[4:5], -1
.LBB7_319:
	s_mov_b64 s[8:9], 0
.LBB7_320:
	s_and_b64 vcc, exec, s[8:9]
	s_cbranch_vccz .LBB7_361
; %bb.321:
	s_cmp_gt_i32 s13, 22
	s_mov_b64 s[8:9], -1
	s_cbranch_scc0 .LBB7_353
; %bb.322:
	s_cmp_lt_i32 s13, 24
	s_mov_b64 s[4:5], -1
	s_cbranch_scc1 .LBB7_342
; %bb.323:
	s_cmp_gt_i32 s13, 24
	s_cbranch_scc0 .LBB7_331
; %bb.324:
	v_cvt_f32_f64_e32 v6, v[0:1]
	s_mov_b32 s4, 0x47800000
	v_mov_b32_e32 v8, 0x80
	v_and_b32_e32 v7, 0x7fffffff, v6
	v_cmp_gt_u32_e32 vcc, s4, v7
	s_and_saveexec_b64 s[4:5], vcc
	s_cbranch_execz .LBB7_330
; %bb.325:
	s_mov_b32 s8, 0x37ffffff
	v_cmp_lt_u32_e32 vcc, s8, v7
	s_mov_b64 s[8:9], 0
                                        ; implicit-def: $vgpr7
	s_and_saveexec_b64 s[10:11], vcc
	s_xor_b64 s[10:11], exec, s[10:11]
	s_cbranch_execz .LBB7_537
; %bb.326:
	v_bfe_u32 v7, v6, 21, 1
	s_mov_b32 s14, 0x88fffff
	v_add3_u32 v7, v6, v7, s14
	s_mov_b64 s[8:9], exec
	v_lshrrev_b32_e32 v7, 21, v7
	s_andn2_saveexec_b64 s[10:11], s[10:11]
	s_cbranch_execnz .LBB7_538
.LBB7_327:
	s_or_b64 exec, exec, s[10:11]
	v_mov_b32_e32 v8, 0
	s_and_saveexec_b64 s[10:11], s[8:9]
.LBB7_328:
	v_lshrrev_b32_e32 v6, 24, v6
	s_movk_i32 s8, 0x80
	v_and_or_b32 v8, v6, s8, v7
.LBB7_329:
	s_or_b64 exec, exec, s[10:11]
.LBB7_330:
	s_or_b64 exec, exec, s[4:5]
	s_mov_b64 s[4:5], 0
	global_store_byte v[4:5], v8, off
.LBB7_331:
	s_and_b64 vcc, exec, s[4:5]
	s_cbranch_vccz .LBB7_341
; %bb.332:
	v_cvt_f32_f64_e32 v6, v[0:1]
	s_mov_b32 s4, 0x43f00000
                                        ; implicit-def: $vgpr7
	v_and_b32_e32 v8, 0x7fffffff, v6
	v_cmp_gt_u32_e32 vcc, s4, v8
	s_and_saveexec_b64 s[4:5], vcc
	s_xor_b64 s[4:5], exec, s[4:5]
	s_cbranch_execz .LBB7_338
; %bb.333:
	s_mov_b32 s8, 0x3c7fffff
	v_cmp_lt_u32_e32 vcc, s8, v8
                                        ; implicit-def: $vgpr7
	s_and_saveexec_b64 s[8:9], vcc
	s_xor_b64 s[8:9], exec, s[8:9]
; %bb.334:
	v_bfe_u32 v7, v6, 20, 1
	s_mov_b32 s10, 0x407ffff
	v_add3_u32 v7, v6, v7, s10
	v_lshrrev_b32_e32 v8, 20, v7
	v_and_b32_e32 v7, 0xff00000, v7
	s_mov_b32 s10, 0x7f00000
	v_mov_b32_e32 v9, 0x7e
	v_cmp_ne_u32_e32 vcc, s10, v7
	v_cndmask_b32_e32 v7, v9, v8, vcc
; %bb.335:
	s_andn2_saveexec_b64 s[8:9], s[8:9]
; %bb.336:
	s_mov_b32 s10, 0x46800000
	v_add_f32_e64 v7, |v6|, s10
; %bb.337:
	s_or_b64 exec, exec, s[8:9]
                                        ; implicit-def: $vgpr8
.LBB7_338:
	s_andn2_saveexec_b64 s[4:5], s[4:5]
; %bb.339:
	s_mov_b32 s8, 0x7f800000
	v_mov_b32_e32 v7, 0x7e
	v_mov_b32_e32 v9, 0x7f
	v_cmp_lt_u32_e32 vcc, s8, v8
	v_cndmask_b32_e32 v7, v7, v9, vcc
; %bb.340:
	s_or_b64 exec, exec, s[4:5]
	v_lshrrev_b32_e32 v6, 24, v6
	s_movk_i32 s4, 0x80
	v_and_or_b32 v6, v6, s4, v7
	global_store_byte v[4:5], v6, off
.LBB7_341:
	s_mov_b64 s[4:5], 0
.LBB7_342:
	s_andn2_b64 vcc, exec, s[4:5]
	s_cbranch_vccnz .LBB7_352
; %bb.343:
	v_cvt_f32_f64_e32 v6, v[0:1]
	s_mov_b32 s4, 0x47800000
                                        ; implicit-def: $vgpr7
	v_and_b32_e32 v8, 0x7fffffff, v6
	v_cmp_gt_u32_e32 vcc, s4, v8
	s_and_saveexec_b64 s[4:5], vcc
	s_xor_b64 s[4:5], exec, s[4:5]
	s_cbranch_execz .LBB7_349
; %bb.344:
	s_mov_b32 s8, 0x387fffff
	v_cmp_lt_u32_e32 vcc, s8, v8
                                        ; implicit-def: $vgpr7
	s_and_saveexec_b64 s[8:9], vcc
	s_xor_b64 s[8:9], exec, s[8:9]
; %bb.345:
	v_bfe_u32 v7, v6, 21, 1
	s_mov_b32 s10, 0x80fffff
	v_add3_u32 v7, v6, v7, s10
	v_lshrrev_b32_e32 v7, 21, v7
; %bb.346:
	s_andn2_saveexec_b64 s[8:9], s[8:9]
; %bb.347:
	s_mov_b32 s10, 0x43000000
	v_add_f32_e64 v7, |v6|, s10
; %bb.348:
	s_or_b64 exec, exec, s[8:9]
                                        ; implicit-def: $vgpr8
.LBB7_349:
	s_andn2_saveexec_b64 s[4:5], s[4:5]
; %bb.350:
	s_mov_b32 s8, 0x7f800000
	v_mov_b32_e32 v7, 0x7c
	v_mov_b32_e32 v9, 0x7f
	v_cmp_lt_u32_e32 vcc, s8, v8
	v_cndmask_b32_e32 v7, v7, v9, vcc
; %bb.351:
	s_or_b64 exec, exec, s[4:5]
	v_lshrrev_b32_e32 v6, 24, v6
	s_movk_i32 s4, 0x80
	v_and_or_b32 v6, v6, s4, v7
	global_store_byte v[4:5], v6, off
.LBB7_352:
	s_mov_b64 s[8:9], 0
	s_mov_b64 s[4:5], -1
.LBB7_353:
	s_andn2_b64 vcc, exec, s[8:9]
	s_cbranch_vccnz .LBB7_361
; %bb.354:
	s_cmp_gt_i32 s13, 14
	s_mov_b64 s[8:9], -1
	s_cbranch_scc0 .LBB7_358
; %bb.355:
	s_cmp_eq_u32 s13, 15
	s_mov_b64 s[6:7], -1
	s_cbranch_scc0 .LBB7_357
; %bb.356:
	v_cvt_f32_f64_e32 v6, v[0:1]
	s_movk_i32 s4, 0x7fff
	v_mov_b32_e32 v7, 0x7fc0
	s_mov_b64 s[6:7], 0
	v_bfe_u32 v8, v6, 16, 1
	v_cmp_o_f32_e32 vcc, v6, v6
	v_add3_u32 v6, v6, v8, s4
	v_cndmask_b32_sdwa v6, v7, v6, vcc dst_sel:DWORD dst_unused:UNUSED_PAD src0_sel:DWORD src1_sel:WORD_1
	global_store_short v[4:5], v6, off
	s_mov_b64 s[4:5], -1
.LBB7_357:
	s_mov_b64 s[8:9], 0
.LBB7_358:
	s_and_b64 vcc, exec, s[8:9]
	s_cbranch_vccz .LBB7_361
; %bb.359:
	s_cmp_eq_u32 s13, 11
	s_mov_b64 s[6:7], -1
	s_cbranch_scc0 .LBB7_361
; %bb.360:
	v_cmp_neq_f64_e32 vcc, 0, v[0:1]
	v_cmp_neq_f64_e64 s[4:5], 0, v[2:3]
	s_mov_b64 s[6:7], 0
	s_or_b64 s[4:5], vcc, s[4:5]
	v_cndmask_b32_e64 v6, 0, 1, s[4:5]
	s_mov_b64 s[4:5], -1
	global_store_byte v[4:5], v6, off
.LBB7_361:
	s_mov_b64 s[8:9], 0
.LBB7_362:
	s_and_b64 vcc, exec, s[8:9]
	s_cbranch_vccz .LBB7_401
; %bb.363:
	s_and_b32 s8, 0xffff, s12
	s_cmp_lt_i32 s8, 5
	s_mov_b64 s[4:5], -1
	s_cbranch_scc1 .LBB7_384
; %bb.364:
	s_cmp_lt_i32 s8, 8
	s_cbranch_scc1 .LBB7_374
; %bb.365:
	s_cmp_lt_i32 s8, 9
	s_cbranch_scc1 .LBB7_371
; %bb.366:
	s_cmp_gt_i32 s8, 9
	s_cbranch_scc0 .LBB7_368
; %bb.367:
	s_mov_b64 s[4:5], 0
	global_store_dwordx4 v[4:5], v[0:3], off
.LBB7_368:
	s_andn2_b64 vcc, exec, s[4:5]
	s_cbranch_vccnz .LBB7_370
; %bb.369:
	v_cvt_f32_f64_e32 v6, v[0:1]
	v_cvt_f32_f64_e32 v7, v[2:3]
	global_store_dwordx2 v[4:5], v[6:7], off
.LBB7_370:
	s_mov_b64 s[4:5], 0
.LBB7_371:
	s_andn2_b64 vcc, exec, s[4:5]
	s_cbranch_vccnz .LBB7_373
; %bb.372:
	s_movk_i32 s4, 0x1ff
	v_and_or_b32 v6, v1, s4, v0
	v_cmp_ne_u32_e32 vcc, 0, v6
	v_cndmask_b32_e64 v6, 0, 1, vcc
	v_lshrrev_b32_e32 v7, 8, v1
	s_movk_i32 s5, 0xffe
	v_bfe_u32 v8, v1, 20, 11
	v_and_or_b32 v6, v7, s5, v6
	v_sub_u32_e32 v9, 0x3f1, v8
	v_or_b32_e32 v7, 0x1000, v6
	v_med3_i32 v9, v9, 0, 13
	v_lshrrev_b32_e32 v10, v9, v7
	v_lshlrev_b32_e32 v9, v9, v10
	v_cmp_ne_u32_e32 vcc, v9, v7
	v_cndmask_b32_e64 v7, 0, 1, vcc
	v_add_u32_e32 v8, 0xfffffc10, v8
	v_or_b32_e32 v7, v10, v7
	v_lshl_or_b32 v9, v8, 12, v6
	v_cmp_gt_i32_e32 vcc, 1, v8
	v_cndmask_b32_e32 v7, v9, v7, vcc
	v_and_b32_e32 v9, 7, v7
	v_cmp_lt_i32_e32 vcc, 5, v9
	v_cndmask_b32_e64 v10, 0, 1, vcc
	v_cmp_eq_u32_e32 vcc, 3, v9
	v_cndmask_b32_e64 v9, 0, 1, vcc
	v_or_b32_e32 v9, v9, v10
	v_lshrrev_b32_e32 v7, 2, v7
	v_add_u32_e32 v7, v7, v9
	v_mov_b32_e32 v9, 0x7c00
	v_cmp_gt_i32_e32 vcc, 31, v8
	v_cndmask_b32_e32 v7, v9, v7, vcc
	v_mov_b32_e32 v10, 0x7e00
	v_cmp_ne_u32_e32 vcc, 0, v6
	s_movk_i32 s9, 0x40f
	v_cndmask_b32_e32 v6, v9, v10, vcc
	v_cmp_eq_u32_e32 vcc, s9, v8
	v_and_or_b32 v2, v3, s4, v2
	v_cndmask_b32_e32 v6, v7, v6, vcc
	v_lshrrev_b32_e32 v7, 16, v1
	s_mov_b32 s10, 0x8000
	v_cmp_ne_u32_e32 vcc, 0, v2
	v_and_or_b32 v6, v7, s10, v6
	v_cndmask_b32_e64 v2, 0, 1, vcc
	v_lshrrev_b32_e32 v7, 8, v3
	v_bfe_u32 v8, v3, 20, 11
	v_and_or_b32 v2, v7, s5, v2
	v_sub_u32_e32 v11, 0x3f1, v8
	v_or_b32_e32 v7, 0x1000, v2
	v_med3_i32 v11, v11, 0, 13
	v_lshrrev_b32_e32 v12, v11, v7
	v_lshlrev_b32_e32 v11, v11, v12
	v_cmp_ne_u32_e32 vcc, v11, v7
	v_cndmask_b32_e64 v7, 0, 1, vcc
	v_add_u32_e32 v8, 0xfffffc10, v8
	v_or_b32_e32 v7, v12, v7
	v_lshl_or_b32 v11, v8, 12, v2
	v_cmp_gt_i32_e32 vcc, 1, v8
	v_cndmask_b32_e32 v7, v11, v7, vcc
	v_and_b32_e32 v11, 7, v7
	v_cmp_lt_i32_e32 vcc, 5, v11
	v_cndmask_b32_e64 v12, 0, 1, vcc
	v_cmp_eq_u32_e32 vcc, 3, v11
	v_cndmask_b32_e64 v11, 0, 1, vcc
	v_or_b32_e32 v11, v11, v12
	v_lshrrev_b32_e32 v7, 2, v7
	v_add_u32_e32 v7, v7, v11
	v_cmp_gt_i32_e32 vcc, 31, v8
	v_cndmask_b32_e32 v7, v9, v7, vcc
	v_cmp_ne_u32_e32 vcc, 0, v2
	v_cndmask_b32_e32 v2, v9, v10, vcc
	v_cmp_eq_u32_e32 vcc, s9, v8
	v_cndmask_b32_e32 v2, v7, v2, vcc
	v_lshrrev_b32_e32 v3, 16, v3
	v_and_or_b32 v2, v3, s10, v2
	v_and_b32_e32 v3, 0xffff, v6
	v_lshl_or_b32 v2, v2, 16, v3
	global_store_dword v[4:5], v2, off
.LBB7_373:
	s_mov_b64 s[4:5], 0
.LBB7_374:
	s_andn2_b64 vcc, exec, s[4:5]
	s_cbranch_vccnz .LBB7_383
; %bb.375:
	s_cmp_lt_i32 s8, 6
	s_mov_b64 s[4:5], -1
	s_cbranch_scc1 .LBB7_381
; %bb.376:
	s_cmp_gt_i32 s8, 6
	s_cbranch_scc0 .LBB7_378
; %bb.377:
	s_mov_b64 s[4:5], 0
	global_store_dwordx2 v[4:5], v[0:1], off
.LBB7_378:
	s_andn2_b64 vcc, exec, s[4:5]
	s_cbranch_vccnz .LBB7_380
; %bb.379:
	v_cvt_f32_f64_e32 v2, v[0:1]
	global_store_dword v[4:5], v2, off
.LBB7_380:
	s_mov_b64 s[4:5], 0
.LBB7_381:
	s_andn2_b64 vcc, exec, s[4:5]
	s_cbranch_vccnz .LBB7_383
; %bb.382:
	s_movk_i32 s4, 0x1ff
	v_and_or_b32 v2, v1, s4, v0
	v_cmp_ne_u32_e32 vcc, 0, v2
	v_cndmask_b32_e64 v2, 0, 1, vcc
	v_lshrrev_b32_e32 v3, 8, v1
	s_movk_i32 s4, 0xffe
	v_bfe_u32 v6, v1, 20, 11
	v_and_or_b32 v2, v3, s4, v2
	v_sub_u32_e32 v7, 0x3f1, v6
	v_or_b32_e32 v3, 0x1000, v2
	v_med3_i32 v7, v7, 0, 13
	v_lshrrev_b32_e32 v8, v7, v3
	v_lshlrev_b32_e32 v7, v7, v8
	v_cmp_ne_u32_e32 vcc, v7, v3
	v_cndmask_b32_e64 v3, 0, 1, vcc
	v_add_u32_e32 v6, 0xfffffc10, v6
	v_or_b32_e32 v3, v8, v3
	v_lshl_or_b32 v7, v6, 12, v2
	v_cmp_gt_i32_e32 vcc, 1, v6
	v_cndmask_b32_e32 v3, v7, v3, vcc
	v_and_b32_e32 v7, 7, v3
	v_cmp_lt_i32_e32 vcc, 5, v7
	v_cndmask_b32_e64 v8, 0, 1, vcc
	v_cmp_eq_u32_e32 vcc, 3, v7
	v_cndmask_b32_e64 v7, 0, 1, vcc
	v_or_b32_e32 v7, v7, v8
	v_lshrrev_b32_e32 v3, 2, v3
	v_add_u32_e32 v3, v3, v7
	v_mov_b32_e32 v7, 0x7c00
	v_cmp_gt_i32_e32 vcc, 31, v6
	v_cndmask_b32_e32 v3, v7, v3, vcc
	v_mov_b32_e32 v8, 0x7e00
	v_cmp_ne_u32_e32 vcc, 0, v2
	s_movk_i32 s4, 0x40f
	v_cndmask_b32_e32 v2, v7, v8, vcc
	v_cmp_eq_u32_e32 vcc, s4, v6
	v_cndmask_b32_e32 v2, v3, v2, vcc
	v_lshrrev_b32_e32 v3, 16, v1
	s_mov_b32 s4, 0x8000
	v_and_or_b32 v2, v3, s4, v2
	global_store_short v[4:5], v2, off
.LBB7_383:
	s_mov_b64 s[4:5], 0
.LBB7_384:
	s_andn2_b64 vcc, exec, s[4:5]
	s_cbranch_vccnz .LBB7_400
; %bb.385:
	s_cmp_lt_i32 s8, 2
	s_mov_b64 s[4:5], -1
	s_cbranch_scc1 .LBB7_395
; %bb.386:
	s_cmp_lt_i32 s8, 3
	s_cbranch_scc1 .LBB7_392
; %bb.387:
	s_cmp_gt_i32 s8, 3
	s_cbranch_scc0 .LBB7_389
; %bb.388:
	v_trunc_f64_e32 v[2:3], v[0:1]
	s_movk_i32 s4, 0xffe0
	v_ldexp_f64 v[6:7], v[2:3], s4
	s_mov_b32 s4, 0
	s_mov_b32 s5, 0xc1f00000
	v_floor_f64_e32 v[6:7], v[6:7]
	v_fma_f64 v[2:3], v[6:7], s[4:5], v[2:3]
	v_cvt_i32_f64_e32 v7, v[6:7]
	s_mov_b64 s[4:5], 0
	v_cvt_u32_f64_e32 v6, v[2:3]
	global_store_dwordx2 v[4:5], v[6:7], off
.LBB7_389:
	s_andn2_b64 vcc, exec, s[4:5]
	s_cbranch_vccnz .LBB7_391
; %bb.390:
	v_cvt_i32_f64_e32 v2, v[0:1]
	global_store_dword v[4:5], v2, off
.LBB7_391:
	s_mov_b64 s[4:5], 0
.LBB7_392:
	s_andn2_b64 vcc, exec, s[4:5]
	s_cbranch_vccnz .LBB7_394
; %bb.393:
	v_cvt_i32_f64_e32 v2, v[0:1]
	global_store_short v[4:5], v2, off
.LBB7_394:
	s_mov_b64 s[4:5], 0
.LBB7_395:
	s_andn2_b64 vcc, exec, s[4:5]
	s_cbranch_vccnz .LBB7_400
; %bb.396:
	s_cmp_gt_i32 s8, 0
	s_mov_b64 s[4:5], -1
	s_cbranch_scc0 .LBB7_398
; %bb.397:
	v_cvt_i32_f64_e32 v2, v[0:1]
	s_mov_b64 s[4:5], 0
	global_store_byte v[4:5], v2, off
.LBB7_398:
	s_andn2_b64 vcc, exec, s[4:5]
	s_cbranch_vccnz .LBB7_400
; %bb.399:
	v_trunc_f64_e32 v[0:1], v[0:1]
	s_movk_i32 s4, 0xffe0
	v_ldexp_f64 v[2:3], v[0:1], s4
	s_mov_b32 s4, 0
	s_mov_b32 s5, 0xc1f00000
	v_floor_f64_e32 v[2:3], v[2:3]
	v_fma_f64 v[0:1], v[2:3], s[4:5], v[0:1]
	v_cvt_u32_f64_e32 v0, v[0:1]
	global_store_byte v[4:5], v0, off
.LBB7_400:
	s_mov_b64 s[4:5], -1
.LBB7_401:
	s_andn2_b64 vcc, exec, s[4:5]
	s_cbranch_vccnz .LBB7_403
; %bb.402:
	v_add_u32_e32 v47, 0x80, v47
	s_mov_b64 s[4:5], -1
	s_branch .LBB7_520
.LBB7_403:
	s_mov_b64 s[4:5], 0
                                        ; implicit-def: $vgpr47
	s_branch .LBB7_520
.LBB7_404:
	s_mov_b64 s[52:53], -1
                                        ; implicit-def: $vgpr0_vgpr1
.LBB7_405:
	v_mov_b32_e32 v2, 0
	v_mov_b32_e32 v3, 0
.LBB7_406:
	s_mov_b64 s[6:7], 0
.LBB7_407:
	s_and_b64 vcc, exec, s[6:7]
	s_cbranch_vccz .LBB7_412
; %bb.408:
	s_cmp_eq_u32 s10, 29
	s_cbranch_scc0 .LBB7_410
; %bb.409:
	global_load_dwordx2 v[0:1], v[4:5], off
	s_mov_b64 s[4:5], -1
	s_mov_b64 s[52:53], 0
	s_waitcnt vmcnt(0)
	v_cvt_f64_u32_e32 v[1:2], v1
	v_cvt_f64_u32_e32 v[6:7], v0
	v_ldexp_f64 v[1:2], v[1:2], 32
	v_add_f64 v[0:1], v[1:2], v[6:7]
	s_branch .LBB7_411
.LBB7_410:
	s_mov_b64 s[52:53], -1
                                        ; implicit-def: $vgpr0_vgpr1
.LBB7_411:
	v_mov_b32_e32 v2, 0
	v_mov_b32_e32 v3, 0
.LBB7_412:
	s_mov_b64 s[6:7], 0
.LBB7_413:
	s_and_b64 vcc, exec, s[6:7]
	s_cbranch_vccz .LBB7_433
; %bb.414:
	s_cmp_lt_i32 s10, 27
	s_cbranch_scc1 .LBB7_417
; %bb.415:
	s_cmp_gt_i32 s10, 27
	s_cbranch_scc0 .LBB7_418
; %bb.416:
	global_load_dword v0, v[4:5], off
	s_mov_b64 s[4:5], 0
	s_waitcnt vmcnt(0)
	v_cvt_f64_u32_e32 v[0:1], v0
	s_branch .LBB7_419
.LBB7_417:
	s_mov_b64 s[4:5], -1
                                        ; implicit-def: $vgpr0_vgpr1
	s_branch .LBB7_422
.LBB7_418:
	s_mov_b64 s[4:5], -1
                                        ; implicit-def: $vgpr0_vgpr1
.LBB7_419:
	s_andn2_b64 vcc, exec, s[4:5]
	s_cbranch_vccnz .LBB7_421
; %bb.420:
	global_load_ushort v0, v[4:5], off
	s_waitcnt vmcnt(0)
	v_cvt_f64_u32_e32 v[0:1], v0
.LBB7_421:
	s_mov_b64 s[4:5], 0
.LBB7_422:
	s_andn2_b64 vcc, exec, s[4:5]
	s_cbranch_vccnz .LBB7_432
; %bb.423:
	global_load_ubyte v2, v[4:5], off
	s_movk_i32 s4, 0x7f
	s_waitcnt vmcnt(0)
	v_cmp_lt_i16_e32 vcc, s4, v2
	s_mov_b64 s[4:5], 0
	s_and_saveexec_b64 s[6:7], vcc
	s_xor_b64 s[6:7], exec, s[6:7]
	s_cbranch_execz .LBB7_427
; %bb.424:
	s_movk_i32 s4, 0x80
	v_cmp_eq_u16_e32 vcc, s4, v2
	s_mov_b64 s[4:5], -1
	s_and_saveexec_b64 s[8:9], vcc
; %bb.425:
	s_xor_b64 s[4:5], exec, -1
; %bb.426:
	s_or_b64 exec, exec, s[8:9]
	s_and_b64 s[4:5], s[4:5], exec
.LBB7_427:
	s_or_saveexec_b64 s[6:7], s[6:7]
	v_bfrev_b32_e32 v0, 4
	v_mov_b32_e32 v1, 0x7ff80000
	s_xor_b64 exec, exec, s[6:7]
; %bb.428:
	v_cmp_ne_u16_e32 vcc, 0, v2
	v_mov_b32_e32 v0, 0
	s_andn2_b64 s[4:5], s[4:5], exec
	s_and_b64 s[8:9], vcc, exec
	v_mov_b32_e32 v1, 0
	s_or_b64 s[4:5], s[4:5], s[8:9]
; %bb.429:
	s_or_b64 exec, exec, s[6:7]
	s_and_saveexec_b64 s[6:7], s[4:5]
	s_cbranch_execz .LBB7_431
; %bb.430:
	v_and_b32_e32 v1, 0xffff, v2
	v_lshlrev_b32_e32 v0, 24, v2
	v_and_b32_e32 v2, 7, v1
	v_ffbh_u32_e32 v6, v2
	v_min_u32_e32 v6, 32, v6
	v_subrev_u32_e32 v7, 28, v6
	v_bfe_u32 v3, v1, 3, 4
	v_lshlrev_b32_e32 v1, v7, v1
	v_sub_u32_e32 v6, 29, v6
	v_and_b32_e32 v1, 7, v1
	v_cmp_eq_u32_e32 vcc, 0, v3
	v_cndmask_b32_e32 v3, v3, v6, vcc
	v_cndmask_b32_e32 v1, v2, v1, vcc
	v_mov_b32_e32 v2, 0x3b800000
	v_lshlrev_b32_e32 v1, 20, v1
	v_and_b32_e32 v0, 0x80000000, v0
	v_lshl_add_u32 v2, v3, 23, v2
	v_or3_b32 v0, v0, v2, v1
	v_cvt_f64_f32_e32 v[0:1], v0
.LBB7_431:
	s_or_b64 exec, exec, s[6:7]
.LBB7_432:
	v_mov_b32_e32 v2, 0
	v_mov_b32_e32 v3, 0
	s_mov_b64 s[4:5], -1
.LBB7_433:
	s_mov_b64 s[6:7], 0
.LBB7_434:
	s_and_b64 vcc, exec, s[6:7]
	s_cbranch_vccz .LBB7_468
; %bb.435:
	s_cmp_gt_i32 s10, 22
	s_cbranch_scc0 .LBB7_447
; %bb.436:
	s_cmp_lt_i32 s10, 24
	s_cbranch_scc1 .LBB7_448
; %bb.437:
	s_cmp_gt_i32 s10, 24
	s_cbranch_scc0 .LBB7_449
; %bb.438:
	global_load_ubyte v2, v[4:5], off
	s_movk_i32 s4, 0x7f
	s_waitcnt vmcnt(0)
	v_cmp_lt_i16_e32 vcc, s4, v2
	s_mov_b64 s[4:5], 0
	s_and_saveexec_b64 s[6:7], vcc
	s_xor_b64 s[6:7], exec, s[6:7]
	s_cbranch_execz .LBB7_442
; %bb.439:
	s_movk_i32 s4, 0x80
	v_cmp_eq_u16_e32 vcc, s4, v2
	s_mov_b64 s[4:5], -1
	s_and_saveexec_b64 s[8:9], vcc
; %bb.440:
	s_xor_b64 s[4:5], exec, -1
; %bb.441:
	s_or_b64 exec, exec, s[8:9]
	s_and_b64 s[4:5], s[4:5], exec
.LBB7_442:
	s_or_saveexec_b64 s[6:7], s[6:7]
	v_bfrev_b32_e32 v0, 4
	v_mov_b32_e32 v1, 0x7ff80000
	s_xor_b64 exec, exec, s[6:7]
; %bb.443:
	v_cmp_ne_u16_e32 vcc, 0, v2
	v_mov_b32_e32 v0, 0
	s_andn2_b64 s[4:5], s[4:5], exec
	s_and_b64 s[8:9], vcc, exec
	v_mov_b32_e32 v1, 0
	s_or_b64 s[4:5], s[4:5], s[8:9]
; %bb.444:
	s_or_b64 exec, exec, s[6:7]
	s_and_saveexec_b64 s[6:7], s[4:5]
	s_cbranch_execz .LBB7_446
; %bb.445:
	v_and_b32_e32 v1, 0xffff, v2
	v_lshlrev_b32_e32 v0, 24, v2
	v_and_b32_e32 v2, 3, v1
	v_ffbh_u32_e32 v6, v2
	v_min_u32_e32 v6, 32, v6
	v_subrev_u32_e32 v7, 29, v6
	v_bfe_u32 v3, v1, 2, 5
	v_lshlrev_b32_e32 v1, v7, v1
	v_sub_u32_e32 v6, 30, v6
	v_and_b32_e32 v1, 3, v1
	v_cmp_eq_u32_e32 vcc, 0, v3
	v_cndmask_b32_e32 v3, v3, v6, vcc
	v_cndmask_b32_e32 v1, v2, v1, vcc
	v_mov_b32_e32 v2, 0x37800000
	v_lshlrev_b32_e32 v1, 21, v1
	v_and_b32_e32 v0, 0x80000000, v0
	v_lshl_add_u32 v2, v3, 23, v2
	v_or3_b32 v0, v0, v2, v1
	v_cvt_f64_f32_e32 v[0:1], v0
.LBB7_446:
	s_or_b64 exec, exec, s[6:7]
	s_mov_b64 s[4:5], 0
	s_branch .LBB7_450
.LBB7_447:
	s_mov_b64 s[6:7], -1
                                        ; implicit-def: $vgpr0_vgpr1
	s_branch .LBB7_456
.LBB7_448:
	s_mov_b64 s[4:5], -1
                                        ; implicit-def: $vgpr0_vgpr1
	s_branch .LBB7_453
.LBB7_449:
	s_mov_b64 s[4:5], -1
                                        ; implicit-def: $vgpr0_vgpr1
.LBB7_450:
	s_and_b64 vcc, exec, s[4:5]
	s_cbranch_vccz .LBB7_452
; %bb.451:
	global_load_ubyte v0, v[4:5], off
	s_mov_b32 s4, 0x7f800000
	s_waitcnt vmcnt(0)
	v_lshlrev_b32_e32 v0, 24, v0
	v_and_b32_e32 v1, 0x7f000000, v0
	v_ffbh_u32_e32 v2, v1
	v_min_u32_e32 v2, 32, v2
	v_sub_u32_e64 v2, v2, 4 clamp
	v_lshlrev_b32_e32 v6, v2, v1
	v_lshlrev_b32_e32 v2, 23, v2
	v_lshrrev_b32_e32 v6, 4, v6
	v_add_u32_e32 v3, 0x1000000, v1
	v_sub_u32_e32 v2, v6, v2
	v_ashrrev_i32_e32 v3, 8, v3
	v_add_u32_e32 v2, 0x3c000000, v2
	v_and_or_b32 v2, v3, s4, v2
	v_cmp_ne_u32_e32 vcc, 0, v1
	v_cndmask_b32_e32 v1, 0, v2, vcc
	s_brev_b32 s4, 1
	v_and_or_b32 v0, v0, s4, v1
	v_cvt_f64_f32_e32 v[0:1], v0
.LBB7_452:
	s_mov_b64 s[4:5], 0
.LBB7_453:
	s_andn2_b64 vcc, exec, s[4:5]
	s_cbranch_vccnz .LBB7_455
; %bb.454:
	global_load_ubyte v0, v[4:5], off
	s_movk_i32 s4, 0x7f00
	s_brev_b32 s5, 16
	s_waitcnt vmcnt(0)
	v_lshlrev_b16_e32 v1, 8, v0
	v_lshlrev_b32_e32 v0, 25, v0
	v_lshrrev_b32_e32 v2, 4, v0
	v_and_or_b32 v3, v1, s4, 0.5
	v_or_b32_e32 v2, 0x70000000, v2
	v_add_f32_e32 v3, -0.5, v3
	v_mul_f32_e32 v2, 0x7800000, v2
	v_cmp_gt_u32_e32 vcc, s5, v0
	v_bfe_i32 v1, v1, 0, 16
	v_cndmask_b32_e32 v0, v2, v3, vcc
	s_brev_b32 s4, 1
	v_and_or_b32 v0, v1, s4, v0
	v_cvt_f64_f32_e32 v[0:1], v0
.LBB7_455:
	s_mov_b64 s[6:7], 0
	s_mov_b64 s[4:5], -1
.LBB7_456:
	s_andn2_b64 vcc, exec, s[6:7]
	s_cbranch_vccnz .LBB7_467
; %bb.457:
	s_cmp_gt_i32 s10, 14
	s_cbranch_scc0 .LBB7_460
; %bb.458:
	s_cmp_eq_u32 s10, 15
	s_cbranch_scc0 .LBB7_461
; %bb.459:
	global_load_ushort v0, v[4:5], off
	s_mov_b64 s[4:5], -1
	s_mov_b64 s[52:53], 0
	s_waitcnt vmcnt(0)
	v_lshlrev_b32_e32 v0, 16, v0
	v_cvt_f64_f32_e32 v[0:1], v0
	s_branch .LBB7_462
.LBB7_460:
	s_mov_b64 s[6:7], -1
                                        ; implicit-def: $vgpr0_vgpr1
	s_branch .LBB7_463
.LBB7_461:
	s_mov_b64 s[52:53], -1
                                        ; implicit-def: $vgpr0_vgpr1
.LBB7_462:
	s_mov_b64 s[6:7], 0
.LBB7_463:
	s_and_b64 vcc, exec, s[6:7]
	s_cbranch_vccz .LBB7_467
; %bb.464:
	s_cmp_eq_u32 s10, 11
	s_cbranch_scc0 .LBB7_466
; %bb.465:
	global_load_ubyte v1, v[4:5], off
	v_mov_b32_e32 v2, 0x3ff00000
	v_mov_b32_e32 v0, 0
	s_mov_b64 s[4:5], -1
	s_mov_b64 s[52:53], 0
	s_waitcnt vmcnt(0)
	v_cmp_ne_u16_e32 vcc, 0, v1
	v_cndmask_b32_e32 v1, 0, v2, vcc
	s_branch .LBB7_467
.LBB7_466:
	s_mov_b64 s[52:53], -1
                                        ; implicit-def: $vgpr0_vgpr1
.LBB7_467:
	v_mov_b32_e32 v2, 0
	v_mov_b32_e32 v3, 0
.LBB7_468:
	s_branch .LBB7_268
.LBB7_469:
	s_cmp_lt_i32 s10, 5
	s_cbranch_scc1 .LBB7_474
; %bb.470:
	s_cmp_lt_i32 s10, 8
	s_cbranch_scc1 .LBB7_475
; %bb.471:
	;; [unrolled: 3-line block ×3, first 2 shown]
	s_cmp_gt_i32 s10, 9
	s_cbranch_scc0 .LBB7_477
; %bb.473:
	global_load_dwordx4 v[0:3], v[4:5], off
	s_mov_b64 s[4:5], 0
	s_branch .LBB7_478
.LBB7_474:
	s_mov_b64 s[4:5], -1
                                        ; implicit-def: $vgpr2_vgpr3
	s_branch .LBB7_497
.LBB7_475:
	s_mov_b64 s[4:5], -1
                                        ; implicit-def: $vgpr2_vgpr3
	s_branch .LBB7_484
.LBB7_476:
	s_mov_b64 s[4:5], -1
                                        ; implicit-def: $vgpr2_vgpr3
	s_branch .LBB7_481
.LBB7_477:
	s_mov_b64 s[4:5], -1
                                        ; implicit-def: $vgpr2_vgpr3
.LBB7_478:
	s_andn2_b64 vcc, exec, s[4:5]
	s_cbranch_vccnz .LBB7_480
; %bb.479:
	global_load_dwordx2 v[1:2], v[4:5], off
	s_waitcnt vmcnt(0)
	v_cvt_f64_f32_e32 v[0:1], v1
	v_cvt_f64_f32_e32 v[2:3], v2
.LBB7_480:
	s_mov_b64 s[4:5], 0
.LBB7_481:
	s_andn2_b64 vcc, exec, s[4:5]
	s_cbranch_vccnz .LBB7_483
; %bb.482:
	global_load_dword v0, v[4:5], off
	s_waitcnt vmcnt(0)
	v_cvt_f32_f16_e32 v1, v0
	v_cvt_f32_f16_sdwa v2, v0 dst_sel:DWORD dst_unused:UNUSED_PAD src0_sel:WORD_1
	v_cvt_f64_f32_e32 v[0:1], v1
	v_cvt_f64_f32_e32 v[2:3], v2
.LBB7_483:
	s_mov_b64 s[4:5], 0
.LBB7_484:
	s_andn2_b64 vcc, exec, s[4:5]
	s_cbranch_vccnz .LBB7_496
; %bb.485:
	s_cmp_lt_i32 s10, 6
	s_cbranch_scc1 .LBB7_488
; %bb.486:
	s_cmp_gt_i32 s10, 6
	s_cbranch_scc0 .LBB7_489
; %bb.487:
	global_load_dwordx2 v[0:1], v[4:5], off
	s_mov_b64 s[4:5], 0
	s_branch .LBB7_490
.LBB7_488:
	s_mov_b64 s[4:5], -1
                                        ; implicit-def: $vgpr0_vgpr1
	s_branch .LBB7_493
.LBB7_489:
	s_mov_b64 s[4:5], -1
                                        ; implicit-def: $vgpr0_vgpr1
.LBB7_490:
	s_andn2_b64 vcc, exec, s[4:5]
	s_cbranch_vccnz .LBB7_492
; %bb.491:
	global_load_dword v0, v[4:5], off
	s_waitcnt vmcnt(0)
	v_cvt_f64_f32_e32 v[0:1], v0
.LBB7_492:
	s_mov_b64 s[4:5], 0
.LBB7_493:
	s_andn2_b64 vcc, exec, s[4:5]
	s_cbranch_vccnz .LBB7_495
; %bb.494:
	global_load_ushort v0, v[4:5], off
	s_waitcnt vmcnt(0)
	v_cvt_f32_f16_e32 v0, v0
	v_cvt_f64_f32_e32 v[0:1], v0
.LBB7_495:
	s_waitcnt vmcnt(0)
	v_mov_b32_e32 v2, 0
	v_mov_b32_e32 v3, 0
.LBB7_496:
	s_mov_b64 s[4:5], 0
.LBB7_497:
	s_andn2_b64 vcc, exec, s[4:5]
	s_cbranch_vccnz .LBB7_518
; %bb.498:
	s_cmp_lt_i32 s10, 2
	s_cbranch_scc1 .LBB7_502
; %bb.499:
	s_cmp_lt_i32 s10, 3
	s_cbranch_scc1 .LBB7_503
; %bb.500:
	s_cmp_gt_i32 s10, 3
	s_cbranch_scc0 .LBB7_504
; %bb.501:
	global_load_dwordx2 v[0:1], v[4:5], off
	s_mov_b64 s[4:5], 0
	s_waitcnt vmcnt(0)
	v_cvt_f64_i32_e32 v[1:2], v1
	v_cvt_f64_u32_e32 v[6:7], v0
	v_ldexp_f64 v[1:2], v[1:2], 32
	v_add_f64 v[0:1], v[1:2], v[6:7]
	s_branch .LBB7_505
.LBB7_502:
	s_mov_b64 s[4:5], -1
                                        ; implicit-def: $vgpr0_vgpr1
	s_branch .LBB7_511
.LBB7_503:
	s_mov_b64 s[4:5], -1
                                        ; implicit-def: $vgpr0_vgpr1
	s_branch .LBB7_508
.LBB7_504:
	s_mov_b64 s[4:5], -1
                                        ; implicit-def: $vgpr0_vgpr1
.LBB7_505:
	s_andn2_b64 vcc, exec, s[4:5]
	s_cbranch_vccnz .LBB7_507
; %bb.506:
	global_load_dword v0, v[4:5], off
	s_waitcnt vmcnt(0)
	v_cvt_f64_i32_e32 v[0:1], v0
.LBB7_507:
	s_mov_b64 s[4:5], 0
.LBB7_508:
	s_andn2_b64 vcc, exec, s[4:5]
	s_cbranch_vccnz .LBB7_510
; %bb.509:
	global_load_sshort v0, v[4:5], off
	s_waitcnt vmcnt(0)
	v_cvt_f64_i32_e32 v[0:1], v0
.LBB7_510:
	s_mov_b64 s[4:5], 0
.LBB7_511:
	s_andn2_b64 vcc, exec, s[4:5]
	s_cbranch_vccnz .LBB7_517
; %bb.512:
	s_cmp_gt_i32 s10, 0
	s_cbranch_scc0 .LBB7_514
; %bb.513:
	global_load_sbyte v0, v[4:5], off
	s_mov_b64 s[4:5], 0
	s_waitcnt vmcnt(0)
	v_cvt_f64_i32_e32 v[0:1], v0
	s_branch .LBB7_515
.LBB7_514:
	s_mov_b64 s[4:5], -1
                                        ; implicit-def: $vgpr0_vgpr1
.LBB7_515:
	s_andn2_b64 vcc, exec, s[4:5]
	s_cbranch_vccnz .LBB7_517
; %bb.516:
	global_load_ubyte v0, v[4:5], off
	s_waitcnt vmcnt(0)
	v_cvt_f64_u32_e32 v[0:1], v0
.LBB7_517:
	s_waitcnt vmcnt(0)
	v_mov_b32_e32 v2, 0
	v_mov_b32_e32 v3, 0
.LBB7_518:
	s_branch .LBB7_269
.LBB7_519:
	s_mov_b64 s[4:5], 0
                                        ; implicit-def: $vgpr47
	s_mov_b64 s[6:7], s[46:47]
.LBB7_520:
	s_andn2_b64 s[8:9], s[46:47], exec
	s_and_b64 s[6:7], s[6:7], exec
	s_or_b64 s[54:55], s[8:9], s[6:7]
	s_andn2_b64 s[6:7], s[48:49], exec
	s_and_b64 s[8:9], s[52:53], exec
	s_or_b64 s[52:53], s[6:7], s[8:9]
	s_orn2_b64 s[4:5], s[4:5], exec
.LBB7_521:
	s_or_b64 exec, exec, s[56:57]
	s_mov_b64 s[6:7], 0
	s_mov_b64 s[8:9], 0
	;; [unrolled: 1-line block ×3, first 2 shown]
                                        ; implicit-def: $vgpr0_vgpr1
                                        ; implicit-def: $vgpr6_vgpr7
	s_and_saveexec_b64 s[56:57], s[4:5]
	s_cbranch_execz .LBB7_874
; %bb.522:
	v_cmp_gt_i32_e32 vcc, s62, v47
	s_mov_b64 s[14:15], -1
	s_mov_b64 s[4:5], s[52:53]
	s_mov_b64 s[6:7], s[54:55]
	s_and_saveexec_b64 s[58:59], vcc
	s_cbranch_execz .LBB7_785
; %bb.523:
	s_waitcnt vmcnt(0)
	v_mul_lo_u32 v0, v47, s35
	v_mov_b32_e32 v1, s39
	s_and_b32 s10, 0xffff, s33
	s_cmp_lt_i32 s10, 11
	v_ashrrev_i32_e32 v2, 31, v0
	v_add_co_u32_e32 v4, vcc, s38, v0
	v_addc_co_u32_e32 v5, vcc, v1, v2, vcc
	s_cbranch_scc1 .LBB7_530
; %bb.524:
	s_cmp_gt_i32 s10, 25
	s_cbranch_scc0 .LBB7_531
; %bb.525:
	s_cmp_gt_i32 s10, 28
	s_cbranch_scc0 .LBB7_532
; %bb.526:
	s_cmp_gt_i32 s10, 43
	s_cbranch_scc0 .LBB7_533
; %bb.527:
	s_cmp_gt_i32 s10, 45
	s_cbranch_scc0 .LBB7_536
; %bb.528:
	s_cmp_eq_u32 s10, 46
	s_mov_b64 s[6:7], 0
	s_cbranch_scc0 .LBB7_539
; %bb.529:
	global_load_dword v0, v[4:5], off
	s_mov_b64 s[4:5], -1
	s_mov_b64 s[60:61], 0
	s_waitcnt vmcnt(0)
	v_and_b32_e32 v2, 0xffff0000, v0
	v_lshlrev_b32_e32 v0, 16, v0
	v_cvt_f64_f32_e32 v[0:1], v0
	v_cvt_f64_f32_e32 v[2:3], v2
	s_branch .LBB7_540
.LBB7_530:
	s_mov_b64 s[6:7], -1
	s_mov_b64 s[4:5], 0
                                        ; implicit-def: $vgpr2_vgpr3
	s_mov_b64 s[60:61], s[52:53]
	s_branch .LBB7_608
.LBB7_531:
	s_mov_b64 s[6:7], -1
	s_mov_b64 s[4:5], 0
	s_mov_b64 s[60:61], s[52:53]
                                        ; implicit-def: $vgpr2_vgpr3
	s_branch .LBB7_573
.LBB7_532:
	s_mov_b64 s[6:7], -1
	s_mov_b64 s[4:5], 0
	s_mov_b64 s[60:61], s[52:53]
                                        ; implicit-def: $vgpr2_vgpr3
	s_branch .LBB7_552
.LBB7_533:
	s_mov_b64 s[6:7], -1
	s_mov_b64 s[4:5], 0
	s_mov_b64 s[60:61], s[52:53]
                                        ; implicit-def: $vgpr2_vgpr3
	s_branch .LBB7_546
.LBB7_534:
	s_andn2_saveexec_b64 s[10:11], s[10:11]
	s_cbranch_execz .LBB7_314
.LBB7_535:
	s_mov_b32 s14, 0x46000000
	v_add_f32_e64 v7, |v6|, s14
	v_and_b32_e32 v7, 0xff, v7
	v_cmp_ne_u32_e32 vcc, 0, v7
	s_andn2_b64 s[8:9], s[8:9], exec
	s_and_b64 s[14:15], vcc, exec
	s_or_b64 s[8:9], s[8:9], s[14:15]
	s_or_b64 exec, exec, s[10:11]
	v_mov_b32_e32 v8, 0
	s_and_saveexec_b64 s[10:11], s[8:9]
	s_cbranch_execnz .LBB7_315
	s_branch .LBB7_316
.LBB7_536:
	s_mov_b64 s[6:7], -1
	s_mov_b64 s[4:5], 0
	s_mov_b64 s[60:61], s[52:53]
                                        ; implicit-def: $vgpr2_vgpr3
	s_branch .LBB7_540
.LBB7_537:
	s_andn2_saveexec_b64 s[10:11], s[10:11]
	s_cbranch_execz .LBB7_327
.LBB7_538:
	s_mov_b32 s14, 0x42800000
	v_add_f32_e64 v7, |v6|, s14
	v_and_b32_e32 v7, 0xff, v7
	v_cmp_ne_u32_e32 vcc, 0, v7
	s_andn2_b64 s[8:9], s[8:9], exec
	s_and_b64 s[14:15], vcc, exec
	s_or_b64 s[8:9], s[8:9], s[14:15]
	s_or_b64 exec, exec, s[10:11]
	v_mov_b32_e32 v8, 0
	s_and_saveexec_b64 s[10:11], s[8:9]
	s_cbranch_execnz .LBB7_328
	s_branch .LBB7_329
.LBB7_539:
	s_mov_b64 s[60:61], -1
                                        ; implicit-def: $vgpr2_vgpr3
	s_mov_b64 s[4:5], 0
.LBB7_540:
	s_and_b64 vcc, exec, s[6:7]
	s_cbranch_vccz .LBB7_545
; %bb.541:
	s_cmp_eq_u32 s10, 44
	s_cbranch_scc0 .LBB7_543
; %bb.542:
	global_load_ubyte v2, v[4:5], off
	s_movk_i32 s6, 0xff
	v_bfrev_b32_e32 v3, 4
	v_mov_b32_e32 v6, 0x7ff80000
	v_bfrev_b32_e32 v7, 28
	s_mov_b64 s[4:5], -1
	s_mov_b64 s[60:61], 0
	s_waitcnt vmcnt(0)
	v_lshlrev_b32_e32 v0, 23, v2
	v_cvt_f64_f32_e32 v[0:1], v0
	v_cmp_ne_u32_e32 vcc, s6, v2
	v_cndmask_b32_e32 v0, v3, v0, vcc
	v_cndmask_b32_e32 v1, v6, v1, vcc
	v_cmp_ne_u32_e32 vcc, 0, v2
	v_cndmask_b32_e32 v1, v7, v1, vcc
	v_cndmask_b32_e32 v0, 0, v0, vcc
	s_branch .LBB7_544
.LBB7_543:
	s_mov_b64 s[60:61], -1
                                        ; implicit-def: $vgpr0_vgpr1
.LBB7_544:
	v_mov_b32_e32 v2, 0
	v_mov_b32_e32 v3, 0
.LBB7_545:
	s_mov_b64 s[6:7], 0
.LBB7_546:
	s_and_b64 vcc, exec, s[6:7]
	s_cbranch_vccz .LBB7_551
; %bb.547:
	s_cmp_eq_u32 s10, 29
	s_cbranch_scc0 .LBB7_549
; %bb.548:
	global_load_dwordx2 v[0:1], v[4:5], off
	s_mov_b64 s[4:5], -1
	s_mov_b64 s[60:61], 0
	s_waitcnt vmcnt(0)
	v_cvt_f64_u32_e32 v[1:2], v1
	v_cvt_f64_u32_e32 v[6:7], v0
	v_ldexp_f64 v[1:2], v[1:2], 32
	v_add_f64 v[0:1], v[1:2], v[6:7]
	s_branch .LBB7_550
.LBB7_549:
	s_mov_b64 s[60:61], -1
                                        ; implicit-def: $vgpr0_vgpr1
.LBB7_550:
	v_mov_b32_e32 v2, 0
	v_mov_b32_e32 v3, 0
.LBB7_551:
	s_mov_b64 s[6:7], 0
.LBB7_552:
	s_and_b64 vcc, exec, s[6:7]
	s_cbranch_vccz .LBB7_572
; %bb.553:
	s_cmp_lt_i32 s10, 27
	s_cbranch_scc1 .LBB7_556
; %bb.554:
	s_cmp_gt_i32 s10, 27
	s_cbranch_scc0 .LBB7_557
; %bb.555:
	global_load_dword v0, v[4:5], off
	s_mov_b64 s[4:5], 0
	s_waitcnt vmcnt(0)
	v_cvt_f64_u32_e32 v[0:1], v0
	s_branch .LBB7_558
.LBB7_556:
	s_mov_b64 s[4:5], -1
                                        ; implicit-def: $vgpr0_vgpr1
	s_branch .LBB7_561
.LBB7_557:
	s_mov_b64 s[4:5], -1
                                        ; implicit-def: $vgpr0_vgpr1
.LBB7_558:
	s_andn2_b64 vcc, exec, s[4:5]
	s_cbranch_vccnz .LBB7_560
; %bb.559:
	global_load_ushort v0, v[4:5], off
	s_waitcnt vmcnt(0)
	v_cvt_f64_u32_e32 v[0:1], v0
.LBB7_560:
	s_mov_b64 s[4:5], 0
.LBB7_561:
	s_andn2_b64 vcc, exec, s[4:5]
	s_cbranch_vccnz .LBB7_571
; %bb.562:
	global_load_ubyte v2, v[4:5], off
	s_movk_i32 s4, 0x7f
	s_waitcnt vmcnt(0)
	v_cmp_lt_i16_e32 vcc, s4, v2
	s_mov_b64 s[4:5], 0
	s_and_saveexec_b64 s[6:7], vcc
	s_xor_b64 s[6:7], exec, s[6:7]
	s_cbranch_execz .LBB7_566
; %bb.563:
	s_movk_i32 s4, 0x80
	v_cmp_eq_u16_e32 vcc, s4, v2
	s_mov_b64 s[4:5], -1
	s_and_saveexec_b64 s[8:9], vcc
; %bb.564:
	s_xor_b64 s[4:5], exec, -1
; %bb.565:
	s_or_b64 exec, exec, s[8:9]
	s_and_b64 s[4:5], s[4:5], exec
.LBB7_566:
	s_or_saveexec_b64 s[6:7], s[6:7]
	v_bfrev_b32_e32 v0, 4
	v_mov_b32_e32 v1, 0x7ff80000
	s_xor_b64 exec, exec, s[6:7]
; %bb.567:
	v_cmp_ne_u16_e32 vcc, 0, v2
	v_mov_b32_e32 v0, 0
	s_andn2_b64 s[4:5], s[4:5], exec
	s_and_b64 s[8:9], vcc, exec
	v_mov_b32_e32 v1, 0
	s_or_b64 s[4:5], s[4:5], s[8:9]
; %bb.568:
	s_or_b64 exec, exec, s[6:7]
	s_and_saveexec_b64 s[6:7], s[4:5]
	s_cbranch_execz .LBB7_570
; %bb.569:
	v_and_b32_e32 v1, 0xffff, v2
	v_lshlrev_b32_e32 v0, 24, v2
	v_and_b32_e32 v2, 7, v1
	v_ffbh_u32_e32 v6, v2
	v_min_u32_e32 v6, 32, v6
	v_subrev_u32_e32 v7, 28, v6
	v_bfe_u32 v3, v1, 3, 4
	v_lshlrev_b32_e32 v1, v7, v1
	v_sub_u32_e32 v6, 29, v6
	v_and_b32_e32 v1, 7, v1
	v_cmp_eq_u32_e32 vcc, 0, v3
	v_cndmask_b32_e32 v3, v3, v6, vcc
	v_cndmask_b32_e32 v1, v2, v1, vcc
	v_mov_b32_e32 v2, 0x3b800000
	v_lshlrev_b32_e32 v1, 20, v1
	v_and_b32_e32 v0, 0x80000000, v0
	v_lshl_add_u32 v2, v3, 23, v2
	v_or3_b32 v0, v0, v2, v1
	v_cvt_f64_f32_e32 v[0:1], v0
.LBB7_570:
	s_or_b64 exec, exec, s[6:7]
.LBB7_571:
	v_mov_b32_e32 v2, 0
	v_mov_b32_e32 v3, 0
	s_mov_b64 s[4:5], -1
.LBB7_572:
	s_mov_b64 s[6:7], 0
.LBB7_573:
	s_and_b64 vcc, exec, s[6:7]
	s_cbranch_vccz .LBB7_607
; %bb.574:
	s_cmp_gt_i32 s10, 22
	s_cbranch_scc0 .LBB7_586
; %bb.575:
	s_cmp_lt_i32 s10, 24
	s_cbranch_scc1 .LBB7_587
; %bb.576:
	s_cmp_gt_i32 s10, 24
	s_cbranch_scc0 .LBB7_588
; %bb.577:
	global_load_ubyte v2, v[4:5], off
	s_movk_i32 s4, 0x7f
	s_waitcnt vmcnt(0)
	v_cmp_lt_i16_e32 vcc, s4, v2
	s_mov_b64 s[4:5], 0
	s_and_saveexec_b64 s[6:7], vcc
	s_xor_b64 s[6:7], exec, s[6:7]
	s_cbranch_execz .LBB7_581
; %bb.578:
	s_movk_i32 s4, 0x80
	v_cmp_eq_u16_e32 vcc, s4, v2
	s_mov_b64 s[4:5], -1
	s_and_saveexec_b64 s[8:9], vcc
; %bb.579:
	s_xor_b64 s[4:5], exec, -1
; %bb.580:
	s_or_b64 exec, exec, s[8:9]
	s_and_b64 s[4:5], s[4:5], exec
.LBB7_581:
	s_or_saveexec_b64 s[6:7], s[6:7]
	v_bfrev_b32_e32 v0, 4
	v_mov_b32_e32 v1, 0x7ff80000
	s_xor_b64 exec, exec, s[6:7]
; %bb.582:
	v_cmp_ne_u16_e32 vcc, 0, v2
	v_mov_b32_e32 v0, 0
	s_andn2_b64 s[4:5], s[4:5], exec
	s_and_b64 s[8:9], vcc, exec
	v_mov_b32_e32 v1, 0
	s_or_b64 s[4:5], s[4:5], s[8:9]
; %bb.583:
	s_or_b64 exec, exec, s[6:7]
	s_and_saveexec_b64 s[6:7], s[4:5]
	s_cbranch_execz .LBB7_585
; %bb.584:
	v_and_b32_e32 v1, 0xffff, v2
	v_lshlrev_b32_e32 v0, 24, v2
	v_and_b32_e32 v2, 3, v1
	v_ffbh_u32_e32 v6, v2
	v_min_u32_e32 v6, 32, v6
	v_subrev_u32_e32 v7, 29, v6
	v_bfe_u32 v3, v1, 2, 5
	v_lshlrev_b32_e32 v1, v7, v1
	v_sub_u32_e32 v6, 30, v6
	v_and_b32_e32 v1, 3, v1
	v_cmp_eq_u32_e32 vcc, 0, v3
	v_cndmask_b32_e32 v3, v3, v6, vcc
	v_cndmask_b32_e32 v1, v2, v1, vcc
	v_mov_b32_e32 v2, 0x37800000
	v_lshlrev_b32_e32 v1, 21, v1
	v_and_b32_e32 v0, 0x80000000, v0
	v_lshl_add_u32 v2, v3, 23, v2
	v_or3_b32 v0, v0, v2, v1
	v_cvt_f64_f32_e32 v[0:1], v0
.LBB7_585:
	s_or_b64 exec, exec, s[6:7]
	s_mov_b64 s[4:5], 0
	s_branch .LBB7_589
.LBB7_586:
	s_mov_b64 s[6:7], -1
                                        ; implicit-def: $vgpr0_vgpr1
	s_branch .LBB7_595
.LBB7_587:
	s_mov_b64 s[4:5], -1
                                        ; implicit-def: $vgpr0_vgpr1
	s_branch .LBB7_592
.LBB7_588:
	s_mov_b64 s[4:5], -1
                                        ; implicit-def: $vgpr0_vgpr1
.LBB7_589:
	s_and_b64 vcc, exec, s[4:5]
	s_cbranch_vccz .LBB7_591
; %bb.590:
	global_load_ubyte v0, v[4:5], off
	s_mov_b32 s4, 0x7f800000
	s_waitcnt vmcnt(0)
	v_lshlrev_b32_e32 v0, 24, v0
	v_and_b32_e32 v1, 0x7f000000, v0
	v_ffbh_u32_e32 v2, v1
	v_min_u32_e32 v2, 32, v2
	v_sub_u32_e64 v2, v2, 4 clamp
	v_lshlrev_b32_e32 v6, v2, v1
	v_lshlrev_b32_e32 v2, 23, v2
	v_lshrrev_b32_e32 v6, 4, v6
	v_add_u32_e32 v3, 0x1000000, v1
	v_sub_u32_e32 v2, v6, v2
	v_ashrrev_i32_e32 v3, 8, v3
	v_add_u32_e32 v2, 0x3c000000, v2
	v_and_or_b32 v2, v3, s4, v2
	v_cmp_ne_u32_e32 vcc, 0, v1
	v_cndmask_b32_e32 v1, 0, v2, vcc
	s_brev_b32 s4, 1
	v_and_or_b32 v0, v0, s4, v1
	v_cvt_f64_f32_e32 v[0:1], v0
.LBB7_591:
	s_mov_b64 s[4:5], 0
.LBB7_592:
	s_andn2_b64 vcc, exec, s[4:5]
	s_cbranch_vccnz .LBB7_594
; %bb.593:
	global_load_ubyte v0, v[4:5], off
	s_movk_i32 s4, 0x7f00
	s_brev_b32 s5, 16
	s_waitcnt vmcnt(0)
	v_lshlrev_b16_e32 v1, 8, v0
	v_lshlrev_b32_e32 v0, 25, v0
	v_lshrrev_b32_e32 v2, 4, v0
	v_and_or_b32 v3, v1, s4, 0.5
	v_or_b32_e32 v2, 0x70000000, v2
	v_add_f32_e32 v3, -0.5, v3
	v_mul_f32_e32 v2, 0x7800000, v2
	v_cmp_gt_u32_e32 vcc, s5, v0
	v_bfe_i32 v1, v1, 0, 16
	v_cndmask_b32_e32 v0, v2, v3, vcc
	s_brev_b32 s4, 1
	v_and_or_b32 v0, v1, s4, v0
	v_cvt_f64_f32_e32 v[0:1], v0
.LBB7_594:
	s_mov_b64 s[6:7], 0
	s_mov_b64 s[4:5], -1
.LBB7_595:
	s_andn2_b64 vcc, exec, s[6:7]
	s_cbranch_vccnz .LBB7_606
; %bb.596:
	s_cmp_gt_i32 s10, 14
	s_cbranch_scc0 .LBB7_599
; %bb.597:
	s_cmp_eq_u32 s10, 15
	s_cbranch_scc0 .LBB7_600
; %bb.598:
	global_load_ushort v0, v[4:5], off
	s_mov_b64 s[4:5], -1
	s_mov_b64 s[60:61], 0
	s_waitcnt vmcnt(0)
	v_lshlrev_b32_e32 v0, 16, v0
	v_cvt_f64_f32_e32 v[0:1], v0
	s_branch .LBB7_601
.LBB7_599:
	s_mov_b64 s[6:7], -1
                                        ; implicit-def: $vgpr0_vgpr1
	s_branch .LBB7_602
.LBB7_600:
	s_mov_b64 s[60:61], -1
                                        ; implicit-def: $vgpr0_vgpr1
.LBB7_601:
	s_mov_b64 s[6:7], 0
.LBB7_602:
	s_and_b64 vcc, exec, s[6:7]
	s_cbranch_vccz .LBB7_606
; %bb.603:
	s_cmp_eq_u32 s10, 11
	s_cbranch_scc0 .LBB7_605
; %bb.604:
	global_load_ubyte v1, v[4:5], off
	v_mov_b32_e32 v2, 0x3ff00000
	v_mov_b32_e32 v0, 0
	s_mov_b64 s[4:5], -1
	s_mov_b64 s[60:61], 0
	s_waitcnt vmcnt(0)
	v_cmp_ne_u16_e32 vcc, 0, v1
	v_cndmask_b32_e32 v1, 0, v2, vcc
	s_branch .LBB7_606
.LBB7_605:
	s_mov_b64 s[60:61], -1
                                        ; implicit-def: $vgpr0_vgpr1
.LBB7_606:
	v_mov_b32_e32 v2, 0
	v_mov_b32_e32 v3, 0
.LBB7_607:
	s_mov_b64 s[6:7], 0
.LBB7_608:
	s_and_b64 vcc, exec, s[6:7]
	s_cbranch_vccz .LBB7_659
; %bb.609:
	s_cmp_lt_i32 s10, 5
	s_cbranch_scc1 .LBB7_614
; %bb.610:
	s_cmp_lt_i32 s10, 8
	s_cbranch_scc1 .LBB7_615
	;; [unrolled: 3-line block ×3, first 2 shown]
; %bb.612:
	s_cmp_gt_i32 s10, 9
	s_cbranch_scc0 .LBB7_617
; %bb.613:
	global_load_dwordx4 v[0:3], v[4:5], off
	s_mov_b64 s[4:5], 0
	s_branch .LBB7_618
.LBB7_614:
	s_mov_b64 s[4:5], -1
                                        ; implicit-def: $vgpr2_vgpr3
	s_branch .LBB7_637
.LBB7_615:
	s_mov_b64 s[4:5], -1
                                        ; implicit-def: $vgpr2_vgpr3
	s_branch .LBB7_624
.LBB7_616:
	s_mov_b64 s[4:5], -1
                                        ; implicit-def: $vgpr2_vgpr3
	s_branch .LBB7_621
.LBB7_617:
	s_mov_b64 s[4:5], -1
                                        ; implicit-def: $vgpr2_vgpr3
.LBB7_618:
	s_andn2_b64 vcc, exec, s[4:5]
	s_cbranch_vccnz .LBB7_620
; %bb.619:
	global_load_dwordx2 v[1:2], v[4:5], off
	s_waitcnt vmcnt(0)
	v_cvt_f64_f32_e32 v[0:1], v1
	v_cvt_f64_f32_e32 v[2:3], v2
.LBB7_620:
	s_mov_b64 s[4:5], 0
.LBB7_621:
	s_andn2_b64 vcc, exec, s[4:5]
	s_cbranch_vccnz .LBB7_623
; %bb.622:
	global_load_dword v0, v[4:5], off
	s_waitcnt vmcnt(0)
	v_cvt_f32_f16_e32 v1, v0
	v_cvt_f32_f16_sdwa v2, v0 dst_sel:DWORD dst_unused:UNUSED_PAD src0_sel:WORD_1
	v_cvt_f64_f32_e32 v[0:1], v1
	v_cvt_f64_f32_e32 v[2:3], v2
.LBB7_623:
	s_mov_b64 s[4:5], 0
.LBB7_624:
	s_andn2_b64 vcc, exec, s[4:5]
	s_cbranch_vccnz .LBB7_636
; %bb.625:
	s_cmp_lt_i32 s10, 6
	s_cbranch_scc1 .LBB7_628
; %bb.626:
	s_cmp_gt_i32 s10, 6
	s_cbranch_scc0 .LBB7_629
; %bb.627:
	global_load_dwordx2 v[0:1], v[4:5], off
	s_mov_b64 s[4:5], 0
	s_branch .LBB7_630
.LBB7_628:
	s_mov_b64 s[4:5], -1
                                        ; implicit-def: $vgpr0_vgpr1
	s_branch .LBB7_633
.LBB7_629:
	s_mov_b64 s[4:5], -1
                                        ; implicit-def: $vgpr0_vgpr1
.LBB7_630:
	s_andn2_b64 vcc, exec, s[4:5]
	s_cbranch_vccnz .LBB7_632
; %bb.631:
	global_load_dword v0, v[4:5], off
	s_waitcnt vmcnt(0)
	v_cvt_f64_f32_e32 v[0:1], v0
.LBB7_632:
	s_mov_b64 s[4:5], 0
.LBB7_633:
	s_andn2_b64 vcc, exec, s[4:5]
	s_cbranch_vccnz .LBB7_635
; %bb.634:
	global_load_ushort v0, v[4:5], off
	s_waitcnt vmcnt(0)
	v_cvt_f32_f16_e32 v0, v0
	v_cvt_f64_f32_e32 v[0:1], v0
.LBB7_635:
	s_waitcnt vmcnt(0)
	v_mov_b32_e32 v2, 0
	v_mov_b32_e32 v3, 0
.LBB7_636:
	s_mov_b64 s[4:5], 0
.LBB7_637:
	s_andn2_b64 vcc, exec, s[4:5]
	s_cbranch_vccnz .LBB7_658
; %bb.638:
	s_cmp_lt_i32 s10, 2
	s_cbranch_scc1 .LBB7_642
; %bb.639:
	s_cmp_lt_i32 s10, 3
	s_cbranch_scc1 .LBB7_643
; %bb.640:
	s_cmp_gt_i32 s10, 3
	s_cbranch_scc0 .LBB7_644
; %bb.641:
	global_load_dwordx2 v[0:1], v[4:5], off
	s_mov_b64 s[4:5], 0
	s_waitcnt vmcnt(0)
	v_cvt_f64_i32_e32 v[1:2], v1
	v_cvt_f64_u32_e32 v[6:7], v0
	v_ldexp_f64 v[1:2], v[1:2], 32
	v_add_f64 v[0:1], v[1:2], v[6:7]
	s_branch .LBB7_645
.LBB7_642:
	s_mov_b64 s[4:5], -1
                                        ; implicit-def: $vgpr0_vgpr1
	s_branch .LBB7_651
.LBB7_643:
	s_mov_b64 s[4:5], -1
                                        ; implicit-def: $vgpr0_vgpr1
	s_branch .LBB7_648
.LBB7_644:
	s_mov_b64 s[4:5], -1
                                        ; implicit-def: $vgpr0_vgpr1
.LBB7_645:
	s_andn2_b64 vcc, exec, s[4:5]
	s_cbranch_vccnz .LBB7_647
; %bb.646:
	global_load_dword v0, v[4:5], off
	s_waitcnt vmcnt(0)
	v_cvt_f64_i32_e32 v[0:1], v0
.LBB7_647:
	s_mov_b64 s[4:5], 0
.LBB7_648:
	s_andn2_b64 vcc, exec, s[4:5]
	s_cbranch_vccnz .LBB7_650
; %bb.649:
	global_load_sshort v0, v[4:5], off
	s_waitcnt vmcnt(0)
	v_cvt_f64_i32_e32 v[0:1], v0
.LBB7_650:
	s_mov_b64 s[4:5], 0
.LBB7_651:
	s_andn2_b64 vcc, exec, s[4:5]
	s_cbranch_vccnz .LBB7_657
; %bb.652:
	s_cmp_gt_i32 s10, 0
	s_cbranch_scc0 .LBB7_654
; %bb.653:
	global_load_sbyte v0, v[4:5], off
	s_mov_b64 s[4:5], 0
	s_waitcnt vmcnt(0)
	v_cvt_f64_i32_e32 v[0:1], v0
	s_branch .LBB7_655
.LBB7_654:
	s_mov_b64 s[4:5], -1
                                        ; implicit-def: $vgpr0_vgpr1
.LBB7_655:
	s_andn2_b64 vcc, exec, s[4:5]
	s_cbranch_vccnz .LBB7_657
; %bb.656:
	global_load_ubyte v0, v[4:5], off
	s_waitcnt vmcnt(0)
	v_cvt_f64_u32_e32 v[0:1], v0
.LBB7_657:
	s_waitcnt vmcnt(0)
	v_mov_b32_e32 v2, 0
	v_mov_b32_e32 v3, 0
.LBB7_658:
	s_mov_b64 s[4:5], -1
.LBB7_659:
	s_andn2_b64 vcc, exec, s[4:5]
	s_cbranch_vccnz .LBB7_667
; %bb.660:
	s_getpc_b64 s[4:5]
	s_add_u32 s4, s4, _ZZZZN2at6native16asin_kernel_cudaERNS_18TensorIteratorBaseEENKUlvE_clEvENKUlvE_clEvENKUlN3c107complexIdEEE_clES7_@rel32@lo+4
	s_addc_u32 s5, s5, _ZZZZN2at6native16asin_kernel_cudaERNS_18TensorIteratorBaseEENKUlvE_clEvENKUlvE_clEvENKUlN3c107complexIdEEE_clES7_@rel32@hi+12
	s_swappc_b64 s[30:31], s[4:5]
	v_mul_lo_u32 v4, v47, s34
	v_mov_b32_e32 v5, s37
	s_and_b32 s12, s27, 0xff
	s_cmp_lt_i32 s12, 11
	v_ashrrev_i32_e32 v6, 31, v4
	v_add_co_u32_e32 v4, vcc, s36, v4
	v_addc_co_u32_e32 v5, vcc, v5, v6, vcc
	s_cbranch_scc1 .LBB7_668
; %bb.661:
	s_and_b32 s13, 0xffff, s12
	s_cmp_gt_i32 s13, 25
	s_cbranch_scc0 .LBB7_669
; %bb.662:
	s_cmp_gt_i32 s13, 28
	s_cbranch_scc0 .LBB7_670
; %bb.663:
	s_cmp_gt_i32 s13, 43
	s_cbranch_scc0 .LBB7_671
; %bb.664:
	s_cmp_gt_i32 s13, 45
	s_cbranch_scc0 .LBB7_672
; %bb.665:
	s_mov_b64 s[8:9], 0
	s_mov_b64 s[6:7], -1
	s_cmp_eq_u32 s13, 46
	s_mov_b64 s[4:5], 0
	s_cbranch_scc0 .LBB7_673
; %bb.666:
	v_cvt_f32_f64_e32 v7, v[2:3]
	v_cvt_f32_f64_e32 v6, v[0:1]
	s_movk_i32 s4, 0x7fff
	v_mov_b32_e32 v10, 0x7fc00000
	v_bfe_u32 v9, v7, 16, 1
	v_add3_u32 v9, v7, v9, s4
	v_bfe_u32 v8, v6, 16, 1
	v_and_b32_e32 v9, 0xffff0000, v9
	v_cmp_o_f32_e32 vcc, v7, v7
	v_add3_u32 v8, v6, v8, s4
	v_cndmask_b32_e32 v7, v10, v9, vcc
	v_cmp_o_f32_e32 vcc, v6, v6
	v_mov_b32_e32 v6, 0x7fc0
	v_cndmask_b32_sdwa v6, v6, v8, vcc dst_sel:DWORD dst_unused:UNUSED_PAD src0_sel:DWORD src1_sel:WORD_1
	v_or_b32_e32 v6, v7, v6
	global_store_dword v[4:5], v6, off
	s_mov_b64 s[4:5], -1
	s_mov_b64 s[6:7], 0
	s_branch .LBB7_673
.LBB7_667:
	s_mov_b64 s[8:9], 0
                                        ; implicit-def: $vgpr47
	s_mov_b64 s[6:7], s[54:55]
	s_branch .LBB7_784
.LBB7_668:
	s_mov_b64 s[8:9], -1
	s_mov_b64 s[4:5], 0
	s_mov_b64 s[6:7], s[54:55]
	s_branch .LBB7_742
.LBB7_669:
	s_mov_b64 s[8:9], -1
	s_mov_b64 s[4:5], 0
	s_mov_b64 s[6:7], s[54:55]
	s_branch .LBB7_700
.LBB7_670:
	s_mov_b64 s[8:9], -1
	s_mov_b64 s[4:5], 0
	s_mov_b64 s[6:7], s[54:55]
	s_branch .LBB7_683
.LBB7_671:
	s_mov_b64 s[8:9], -1
	s_mov_b64 s[4:5], 0
	s_mov_b64 s[6:7], s[54:55]
	s_branch .LBB7_679
.LBB7_672:
	s_mov_b64 s[8:9], -1
	s_mov_b64 s[4:5], 0
	s_mov_b64 s[6:7], s[54:55]
.LBB7_673:
	s_and_b64 vcc, exec, s[8:9]
	s_cbranch_vccz .LBB7_678
; %bb.674:
	s_cmp_eq_u32 s13, 44
	s_mov_b64 s[6:7], -1
	s_cbranch_scc0 .LBB7_678
; %bb.675:
	v_cvt_f32_f64_e32 v6, v[0:1]
	s_movk_i32 s4, 0xff
	v_mov_b32_e32 v8, 0xff
	v_bfe_u32 v7, v6, 23, 8
	v_cmp_ne_u32_e32 vcc, s4, v7
	s_and_saveexec_b64 s[6:7], vcc
; %bb.676:
	s_mov_b32 s4, 0x3fffff
	v_lshrrev_b32_e32 v8, 23, v6
	v_and_b32_e32 v9, 0x400000, v6
	v_and_or_b32 v6, v6, s4, v7
	v_cmp_ne_u32_e32 vcc, 0, v9
	v_cmp_ne_u32_e64 s[4:5], 0, v6
	s_and_b64 s[4:5], vcc, s[4:5]
	v_cndmask_b32_e64 v6, 0, 1, s[4:5]
	v_add_u32_e32 v8, v8, v6
; %bb.677:
	s_or_b64 exec, exec, s[6:7]
	s_mov_b64 s[4:5], -1
	s_mov_b64 s[6:7], 0
	global_store_byte v[4:5], v8, off
.LBB7_678:
	s_mov_b64 s[8:9], 0
.LBB7_679:
	s_and_b64 vcc, exec, s[8:9]
	s_cbranch_vccz .LBB7_682
; %bb.680:
	s_cmp_eq_u32 s13, 29
	s_mov_b64 s[6:7], -1
	s_cbranch_scc0 .LBB7_682
; %bb.681:
	v_trunc_f64_e32 v[6:7], v[0:1]
	s_movk_i32 s4, 0xffe0
	s_mov_b64 s[6:7], 0
	s_mov_b64 s[8:9], 0
	v_ldexp_f64 v[8:9], v[6:7], s4
	s_mov_b32 s4, 0
	s_mov_b32 s5, 0xc1f00000
	v_floor_f64_e32 v[8:9], v[8:9]
	v_fma_f64 v[6:7], v[8:9], s[4:5], v[6:7]
	v_cvt_u32_f64_e32 v8, v[8:9]
	s_mov_b64 s[4:5], -1
	v_cvt_u32_f64_e32 v7, v[6:7]
	global_store_dwordx2 v[4:5], v[7:8], off
	s_branch .LBB7_683
.LBB7_682:
	s_mov_b64 s[8:9], 0
.LBB7_683:
	s_and_b64 vcc, exec, s[8:9]
	s_cbranch_vccz .LBB7_699
; %bb.684:
	s_cmp_lt_i32 s13, 27
	s_mov_b64 s[4:5], -1
	s_cbranch_scc1 .LBB7_690
; %bb.685:
	v_cvt_u32_f64_e32 v6, v[0:1]
	s_cmp_gt_i32 s13, 27
	s_cbranch_scc0 .LBB7_687
; %bb.686:
	s_mov_b64 s[4:5], 0
	global_store_dword v[4:5], v6, off
.LBB7_687:
	s_andn2_b64 vcc, exec, s[4:5]
	s_cbranch_vccnz .LBB7_689
; %bb.688:
	global_store_short v[4:5], v6, off
.LBB7_689:
	s_mov_b64 s[4:5], 0
.LBB7_690:
	s_andn2_b64 vcc, exec, s[4:5]
	s_cbranch_vccnz .LBB7_698
; %bb.691:
	v_cvt_f32_f64_e32 v6, v[0:1]
	s_mov_b32 s4, 0x43800000
	v_mov_b32_e32 v8, 0x80
	v_and_b32_e32 v7, 0x7fffffff, v6
	v_cmp_gt_u32_e32 vcc, s4, v7
	s_and_saveexec_b64 s[4:5], vcc
	s_cbranch_execz .LBB7_697
; %bb.692:
	s_mov_b32 s8, 0x3bffffff
	v_cmp_lt_u32_e32 vcc, s8, v7
	s_mov_b64 s[8:9], 0
                                        ; implicit-def: $vgpr7
	s_and_saveexec_b64 s[10:11], vcc
	s_xor_b64 s[10:11], exec, s[10:11]
	s_cbranch_execz .LBB7_798
; %bb.693:
	v_bfe_u32 v7, v6, 20, 1
	s_mov_b32 s14, 0x487ffff
	v_add3_u32 v7, v6, v7, s14
	s_mov_b64 s[8:9], exec
	v_lshrrev_b32_e32 v7, 20, v7
	s_andn2_saveexec_b64 s[10:11], s[10:11]
	s_cbranch_execnz .LBB7_799
.LBB7_694:
	s_or_b64 exec, exec, s[10:11]
	v_mov_b32_e32 v8, 0
	s_and_saveexec_b64 s[10:11], s[8:9]
.LBB7_695:
	v_lshrrev_b32_e32 v6, 24, v6
	s_movk_i32 s8, 0x80
	v_and_or_b32 v8, v6, s8, v7
.LBB7_696:
	s_or_b64 exec, exec, s[10:11]
.LBB7_697:
	s_or_b64 exec, exec, s[4:5]
	global_store_byte v[4:5], v8, off
.LBB7_698:
	s_mov_b64 s[4:5], -1
.LBB7_699:
	s_mov_b64 s[8:9], 0
.LBB7_700:
	s_and_b64 vcc, exec, s[8:9]
	s_cbranch_vccz .LBB7_741
; %bb.701:
	s_cmp_gt_i32 s13, 22
	s_mov_b64 s[8:9], -1
	s_cbranch_scc0 .LBB7_733
; %bb.702:
	s_cmp_lt_i32 s13, 24
	s_mov_b64 s[4:5], -1
	s_cbranch_scc1 .LBB7_722
; %bb.703:
	s_cmp_gt_i32 s13, 24
	s_cbranch_scc0 .LBB7_711
; %bb.704:
	v_cvt_f32_f64_e32 v6, v[0:1]
	s_mov_b32 s4, 0x47800000
	v_mov_b32_e32 v8, 0x80
	v_and_b32_e32 v7, 0x7fffffff, v6
	v_cmp_gt_u32_e32 vcc, s4, v7
	s_and_saveexec_b64 s[4:5], vcc
	s_cbranch_execz .LBB7_710
; %bb.705:
	s_mov_b32 s8, 0x37ffffff
	v_cmp_lt_u32_e32 vcc, s8, v7
	s_mov_b64 s[8:9], 0
                                        ; implicit-def: $vgpr7
	s_and_saveexec_b64 s[10:11], vcc
	s_xor_b64 s[10:11], exec, s[10:11]
	s_cbranch_execz .LBB7_801
; %bb.706:
	v_bfe_u32 v7, v6, 21, 1
	s_mov_b32 s14, 0x88fffff
	v_add3_u32 v7, v6, v7, s14
	s_mov_b64 s[8:9], exec
	v_lshrrev_b32_e32 v7, 21, v7
	s_andn2_saveexec_b64 s[10:11], s[10:11]
	s_cbranch_execnz .LBB7_802
.LBB7_707:
	s_or_b64 exec, exec, s[10:11]
	v_mov_b32_e32 v8, 0
	s_and_saveexec_b64 s[10:11], s[8:9]
.LBB7_708:
	v_lshrrev_b32_e32 v6, 24, v6
	s_movk_i32 s8, 0x80
	v_and_or_b32 v8, v6, s8, v7
.LBB7_709:
	s_or_b64 exec, exec, s[10:11]
.LBB7_710:
	s_or_b64 exec, exec, s[4:5]
	s_mov_b64 s[4:5], 0
	global_store_byte v[4:5], v8, off
.LBB7_711:
	s_and_b64 vcc, exec, s[4:5]
	s_cbranch_vccz .LBB7_721
; %bb.712:
	v_cvt_f32_f64_e32 v6, v[0:1]
	s_mov_b32 s4, 0x43f00000
                                        ; implicit-def: $vgpr7
	v_and_b32_e32 v8, 0x7fffffff, v6
	v_cmp_gt_u32_e32 vcc, s4, v8
	s_and_saveexec_b64 s[4:5], vcc
	s_xor_b64 s[4:5], exec, s[4:5]
	s_cbranch_execz .LBB7_718
; %bb.713:
	s_mov_b32 s8, 0x3c7fffff
	v_cmp_lt_u32_e32 vcc, s8, v8
                                        ; implicit-def: $vgpr7
	s_and_saveexec_b64 s[8:9], vcc
	s_xor_b64 s[8:9], exec, s[8:9]
; %bb.714:
	v_bfe_u32 v7, v6, 20, 1
	s_mov_b32 s10, 0x407ffff
	v_add3_u32 v7, v6, v7, s10
	v_lshrrev_b32_e32 v8, 20, v7
	v_and_b32_e32 v7, 0xff00000, v7
	s_mov_b32 s10, 0x7f00000
	v_mov_b32_e32 v9, 0x7e
	v_cmp_ne_u32_e32 vcc, s10, v7
	v_cndmask_b32_e32 v7, v9, v8, vcc
; %bb.715:
	s_andn2_saveexec_b64 s[8:9], s[8:9]
; %bb.716:
	s_mov_b32 s10, 0x46800000
	v_add_f32_e64 v7, |v6|, s10
; %bb.717:
	s_or_b64 exec, exec, s[8:9]
                                        ; implicit-def: $vgpr8
.LBB7_718:
	s_andn2_saveexec_b64 s[4:5], s[4:5]
; %bb.719:
	s_mov_b32 s8, 0x7f800000
	v_mov_b32_e32 v7, 0x7e
	v_mov_b32_e32 v9, 0x7f
	v_cmp_lt_u32_e32 vcc, s8, v8
	v_cndmask_b32_e32 v7, v7, v9, vcc
; %bb.720:
	s_or_b64 exec, exec, s[4:5]
	v_lshrrev_b32_e32 v6, 24, v6
	s_movk_i32 s4, 0x80
	v_and_or_b32 v6, v6, s4, v7
	global_store_byte v[4:5], v6, off
.LBB7_721:
	s_mov_b64 s[4:5], 0
.LBB7_722:
	s_andn2_b64 vcc, exec, s[4:5]
	s_cbranch_vccnz .LBB7_732
; %bb.723:
	v_cvt_f32_f64_e32 v6, v[0:1]
	s_mov_b32 s4, 0x47800000
                                        ; implicit-def: $vgpr7
	v_and_b32_e32 v8, 0x7fffffff, v6
	v_cmp_gt_u32_e32 vcc, s4, v8
	s_and_saveexec_b64 s[4:5], vcc
	s_xor_b64 s[4:5], exec, s[4:5]
	s_cbranch_execz .LBB7_729
; %bb.724:
	s_mov_b32 s8, 0x387fffff
	v_cmp_lt_u32_e32 vcc, s8, v8
                                        ; implicit-def: $vgpr7
	s_and_saveexec_b64 s[8:9], vcc
	s_xor_b64 s[8:9], exec, s[8:9]
; %bb.725:
	v_bfe_u32 v7, v6, 21, 1
	s_mov_b32 s10, 0x80fffff
	v_add3_u32 v7, v6, v7, s10
	v_lshrrev_b32_e32 v7, 21, v7
; %bb.726:
	s_andn2_saveexec_b64 s[8:9], s[8:9]
; %bb.727:
	s_mov_b32 s10, 0x43000000
	v_add_f32_e64 v7, |v6|, s10
; %bb.728:
	s_or_b64 exec, exec, s[8:9]
                                        ; implicit-def: $vgpr8
.LBB7_729:
	s_andn2_saveexec_b64 s[4:5], s[4:5]
; %bb.730:
	s_mov_b32 s8, 0x7f800000
	v_mov_b32_e32 v7, 0x7c
	v_mov_b32_e32 v9, 0x7f
	v_cmp_lt_u32_e32 vcc, s8, v8
	v_cndmask_b32_e32 v7, v7, v9, vcc
; %bb.731:
	s_or_b64 exec, exec, s[4:5]
	v_lshrrev_b32_e32 v6, 24, v6
	s_movk_i32 s4, 0x80
	v_and_or_b32 v6, v6, s4, v7
	global_store_byte v[4:5], v6, off
.LBB7_732:
	s_mov_b64 s[8:9], 0
	s_mov_b64 s[4:5], -1
.LBB7_733:
	s_andn2_b64 vcc, exec, s[8:9]
	s_cbranch_vccnz .LBB7_741
; %bb.734:
	s_cmp_gt_i32 s13, 14
	s_mov_b64 s[8:9], -1
	s_cbranch_scc0 .LBB7_738
; %bb.735:
	s_cmp_eq_u32 s13, 15
	s_mov_b64 s[6:7], -1
	s_cbranch_scc0 .LBB7_737
; %bb.736:
	v_cvt_f32_f64_e32 v6, v[0:1]
	s_movk_i32 s4, 0x7fff
	v_mov_b32_e32 v7, 0x7fc0
	s_mov_b64 s[6:7], 0
	v_bfe_u32 v8, v6, 16, 1
	v_cmp_o_f32_e32 vcc, v6, v6
	v_add3_u32 v6, v6, v8, s4
	v_cndmask_b32_sdwa v6, v7, v6, vcc dst_sel:DWORD dst_unused:UNUSED_PAD src0_sel:DWORD src1_sel:WORD_1
	global_store_short v[4:5], v6, off
	s_mov_b64 s[4:5], -1
.LBB7_737:
	s_mov_b64 s[8:9], 0
.LBB7_738:
	s_and_b64 vcc, exec, s[8:9]
	s_cbranch_vccz .LBB7_741
; %bb.739:
	s_cmp_eq_u32 s13, 11
	s_mov_b64 s[6:7], -1
	s_cbranch_scc0 .LBB7_741
; %bb.740:
	v_cmp_neq_f64_e32 vcc, 0, v[0:1]
	v_cmp_neq_f64_e64 s[4:5], 0, v[2:3]
	s_mov_b64 s[6:7], 0
	s_or_b64 s[4:5], vcc, s[4:5]
	v_cndmask_b32_e64 v6, 0, 1, s[4:5]
	s_mov_b64 s[4:5], -1
	global_store_byte v[4:5], v6, off
.LBB7_741:
	s_mov_b64 s[8:9], 0
.LBB7_742:
	s_and_b64 vcc, exec, s[8:9]
	s_cbranch_vccz .LBB7_781
; %bb.743:
	s_and_b32 s8, 0xffff, s12
	s_cmp_lt_i32 s8, 5
	s_mov_b64 s[4:5], -1
	s_cbranch_scc1 .LBB7_764
; %bb.744:
	s_cmp_lt_i32 s8, 8
	s_cbranch_scc1 .LBB7_754
; %bb.745:
	s_cmp_lt_i32 s8, 9
	s_cbranch_scc1 .LBB7_751
; %bb.746:
	s_cmp_gt_i32 s8, 9
	s_cbranch_scc0 .LBB7_748
; %bb.747:
	s_mov_b64 s[4:5], 0
	global_store_dwordx4 v[4:5], v[0:3], off
.LBB7_748:
	s_andn2_b64 vcc, exec, s[4:5]
	s_cbranch_vccnz .LBB7_750
; %bb.749:
	v_cvt_f32_f64_e32 v6, v[0:1]
	v_cvt_f32_f64_e32 v7, v[2:3]
	global_store_dwordx2 v[4:5], v[6:7], off
.LBB7_750:
	s_mov_b64 s[4:5], 0
.LBB7_751:
	s_andn2_b64 vcc, exec, s[4:5]
	s_cbranch_vccnz .LBB7_753
; %bb.752:
	s_movk_i32 s4, 0x1ff
	v_and_or_b32 v6, v1, s4, v0
	v_cmp_ne_u32_e32 vcc, 0, v6
	v_cndmask_b32_e64 v6, 0, 1, vcc
	v_lshrrev_b32_e32 v7, 8, v1
	s_movk_i32 s5, 0xffe
	v_bfe_u32 v8, v1, 20, 11
	v_and_or_b32 v6, v7, s5, v6
	v_sub_u32_e32 v9, 0x3f1, v8
	v_or_b32_e32 v7, 0x1000, v6
	v_med3_i32 v9, v9, 0, 13
	v_lshrrev_b32_e32 v10, v9, v7
	v_lshlrev_b32_e32 v9, v9, v10
	v_cmp_ne_u32_e32 vcc, v9, v7
	v_cndmask_b32_e64 v7, 0, 1, vcc
	v_add_u32_e32 v8, 0xfffffc10, v8
	v_or_b32_e32 v7, v10, v7
	v_lshl_or_b32 v9, v8, 12, v6
	v_cmp_gt_i32_e32 vcc, 1, v8
	v_cndmask_b32_e32 v7, v9, v7, vcc
	v_and_b32_e32 v9, 7, v7
	v_cmp_lt_i32_e32 vcc, 5, v9
	v_cndmask_b32_e64 v10, 0, 1, vcc
	v_cmp_eq_u32_e32 vcc, 3, v9
	v_cndmask_b32_e64 v9, 0, 1, vcc
	v_or_b32_e32 v9, v9, v10
	v_lshrrev_b32_e32 v7, 2, v7
	v_add_u32_e32 v7, v7, v9
	v_mov_b32_e32 v9, 0x7c00
	v_cmp_gt_i32_e32 vcc, 31, v8
	v_cndmask_b32_e32 v7, v9, v7, vcc
	v_mov_b32_e32 v10, 0x7e00
	v_cmp_ne_u32_e32 vcc, 0, v6
	s_movk_i32 s9, 0x40f
	v_cndmask_b32_e32 v6, v9, v10, vcc
	v_cmp_eq_u32_e32 vcc, s9, v8
	v_and_or_b32 v2, v3, s4, v2
	v_cndmask_b32_e32 v6, v7, v6, vcc
	v_lshrrev_b32_e32 v7, 16, v1
	s_mov_b32 s10, 0x8000
	v_cmp_ne_u32_e32 vcc, 0, v2
	v_and_or_b32 v6, v7, s10, v6
	v_cndmask_b32_e64 v2, 0, 1, vcc
	v_lshrrev_b32_e32 v7, 8, v3
	v_bfe_u32 v8, v3, 20, 11
	v_and_or_b32 v2, v7, s5, v2
	v_sub_u32_e32 v11, 0x3f1, v8
	v_or_b32_e32 v7, 0x1000, v2
	v_med3_i32 v11, v11, 0, 13
	v_lshrrev_b32_e32 v12, v11, v7
	v_lshlrev_b32_e32 v11, v11, v12
	v_cmp_ne_u32_e32 vcc, v11, v7
	v_cndmask_b32_e64 v7, 0, 1, vcc
	v_add_u32_e32 v8, 0xfffffc10, v8
	v_or_b32_e32 v7, v12, v7
	v_lshl_or_b32 v11, v8, 12, v2
	v_cmp_gt_i32_e32 vcc, 1, v8
	v_cndmask_b32_e32 v7, v11, v7, vcc
	v_and_b32_e32 v11, 7, v7
	v_cmp_lt_i32_e32 vcc, 5, v11
	v_cndmask_b32_e64 v12, 0, 1, vcc
	v_cmp_eq_u32_e32 vcc, 3, v11
	v_cndmask_b32_e64 v11, 0, 1, vcc
	v_or_b32_e32 v11, v11, v12
	v_lshrrev_b32_e32 v7, 2, v7
	v_add_u32_e32 v7, v7, v11
	v_cmp_gt_i32_e32 vcc, 31, v8
	v_cndmask_b32_e32 v7, v9, v7, vcc
	v_cmp_ne_u32_e32 vcc, 0, v2
	v_cndmask_b32_e32 v2, v9, v10, vcc
	v_cmp_eq_u32_e32 vcc, s9, v8
	v_cndmask_b32_e32 v2, v7, v2, vcc
	v_lshrrev_b32_e32 v3, 16, v3
	v_and_or_b32 v2, v3, s10, v2
	v_and_b32_e32 v3, 0xffff, v6
	v_lshl_or_b32 v2, v2, 16, v3
	global_store_dword v[4:5], v2, off
.LBB7_753:
	s_mov_b64 s[4:5], 0
.LBB7_754:
	s_andn2_b64 vcc, exec, s[4:5]
	s_cbranch_vccnz .LBB7_763
; %bb.755:
	s_cmp_lt_i32 s8, 6
	s_mov_b64 s[4:5], -1
	s_cbranch_scc1 .LBB7_761
; %bb.756:
	s_cmp_gt_i32 s8, 6
	s_cbranch_scc0 .LBB7_758
; %bb.757:
	s_mov_b64 s[4:5], 0
	global_store_dwordx2 v[4:5], v[0:1], off
.LBB7_758:
	s_andn2_b64 vcc, exec, s[4:5]
	s_cbranch_vccnz .LBB7_760
; %bb.759:
	v_cvt_f32_f64_e32 v2, v[0:1]
	global_store_dword v[4:5], v2, off
.LBB7_760:
	s_mov_b64 s[4:5], 0
.LBB7_761:
	s_andn2_b64 vcc, exec, s[4:5]
	s_cbranch_vccnz .LBB7_763
; %bb.762:
	s_movk_i32 s4, 0x1ff
	v_and_or_b32 v2, v1, s4, v0
	v_cmp_ne_u32_e32 vcc, 0, v2
	v_cndmask_b32_e64 v2, 0, 1, vcc
	v_lshrrev_b32_e32 v3, 8, v1
	s_movk_i32 s4, 0xffe
	v_bfe_u32 v6, v1, 20, 11
	v_and_or_b32 v2, v3, s4, v2
	v_sub_u32_e32 v7, 0x3f1, v6
	v_or_b32_e32 v3, 0x1000, v2
	v_med3_i32 v7, v7, 0, 13
	v_lshrrev_b32_e32 v8, v7, v3
	v_lshlrev_b32_e32 v7, v7, v8
	v_cmp_ne_u32_e32 vcc, v7, v3
	v_cndmask_b32_e64 v3, 0, 1, vcc
	v_add_u32_e32 v6, 0xfffffc10, v6
	v_or_b32_e32 v3, v8, v3
	v_lshl_or_b32 v7, v6, 12, v2
	v_cmp_gt_i32_e32 vcc, 1, v6
	v_cndmask_b32_e32 v3, v7, v3, vcc
	v_and_b32_e32 v7, 7, v3
	v_cmp_lt_i32_e32 vcc, 5, v7
	v_cndmask_b32_e64 v8, 0, 1, vcc
	v_cmp_eq_u32_e32 vcc, 3, v7
	v_cndmask_b32_e64 v7, 0, 1, vcc
	v_or_b32_e32 v7, v7, v8
	v_lshrrev_b32_e32 v3, 2, v3
	v_add_u32_e32 v3, v3, v7
	v_mov_b32_e32 v7, 0x7c00
	v_cmp_gt_i32_e32 vcc, 31, v6
	v_cndmask_b32_e32 v3, v7, v3, vcc
	v_mov_b32_e32 v8, 0x7e00
	v_cmp_ne_u32_e32 vcc, 0, v2
	s_movk_i32 s4, 0x40f
	v_cndmask_b32_e32 v2, v7, v8, vcc
	v_cmp_eq_u32_e32 vcc, s4, v6
	v_cndmask_b32_e32 v2, v3, v2, vcc
	v_lshrrev_b32_e32 v3, 16, v1
	s_mov_b32 s4, 0x8000
	v_and_or_b32 v2, v3, s4, v2
	global_store_short v[4:5], v2, off
.LBB7_763:
	s_mov_b64 s[4:5], 0
.LBB7_764:
	s_andn2_b64 vcc, exec, s[4:5]
	s_cbranch_vccnz .LBB7_780
; %bb.765:
	s_cmp_lt_i32 s8, 2
	s_mov_b64 s[4:5], -1
	s_cbranch_scc1 .LBB7_775
; %bb.766:
	s_cmp_lt_i32 s8, 3
	s_cbranch_scc1 .LBB7_772
; %bb.767:
	s_cmp_gt_i32 s8, 3
	s_cbranch_scc0 .LBB7_769
; %bb.768:
	v_trunc_f64_e32 v[2:3], v[0:1]
	s_movk_i32 s4, 0xffe0
	v_ldexp_f64 v[6:7], v[2:3], s4
	s_mov_b32 s4, 0
	s_mov_b32 s5, 0xc1f00000
	v_floor_f64_e32 v[6:7], v[6:7]
	v_fma_f64 v[2:3], v[6:7], s[4:5], v[2:3]
	v_cvt_i32_f64_e32 v7, v[6:7]
	s_mov_b64 s[4:5], 0
	v_cvt_u32_f64_e32 v6, v[2:3]
	global_store_dwordx2 v[4:5], v[6:7], off
.LBB7_769:
	s_andn2_b64 vcc, exec, s[4:5]
	s_cbranch_vccnz .LBB7_771
; %bb.770:
	v_cvt_i32_f64_e32 v2, v[0:1]
	global_store_dword v[4:5], v2, off
.LBB7_771:
	s_mov_b64 s[4:5], 0
.LBB7_772:
	s_andn2_b64 vcc, exec, s[4:5]
	s_cbranch_vccnz .LBB7_774
; %bb.773:
	v_cvt_i32_f64_e32 v2, v[0:1]
	global_store_short v[4:5], v2, off
.LBB7_774:
	s_mov_b64 s[4:5], 0
.LBB7_775:
	s_andn2_b64 vcc, exec, s[4:5]
	s_cbranch_vccnz .LBB7_780
; %bb.776:
	s_cmp_gt_i32 s8, 0
	s_mov_b64 s[4:5], -1
	s_cbranch_scc0 .LBB7_778
; %bb.777:
	v_cvt_i32_f64_e32 v2, v[0:1]
	s_mov_b64 s[4:5], 0
	global_store_byte v[4:5], v2, off
.LBB7_778:
	s_andn2_b64 vcc, exec, s[4:5]
	s_cbranch_vccnz .LBB7_780
; %bb.779:
	v_trunc_f64_e32 v[0:1], v[0:1]
	s_movk_i32 s4, 0xffe0
	v_ldexp_f64 v[2:3], v[0:1], s4
	s_mov_b32 s4, 0
	s_mov_b32 s5, 0xc1f00000
	v_floor_f64_e32 v[2:3], v[2:3]
	v_fma_f64 v[0:1], v[2:3], s[4:5], v[0:1]
	v_cvt_u32_f64_e32 v0, v[0:1]
	global_store_byte v[4:5], v0, off
.LBB7_780:
	s_mov_b64 s[4:5], -1
.LBB7_781:
	s_andn2_b64 vcc, exec, s[4:5]
	s_cbranch_vccnz .LBB7_783
; %bb.782:
	v_add_u32_e32 v47, 0x80, v47
	s_mov_b64 s[8:9], -1
	s_branch .LBB7_784
.LBB7_783:
	s_mov_b64 s[8:9], 0
                                        ; implicit-def: $vgpr47
.LBB7_784:
	s_andn2_b64 s[4:5], s[54:55], exec
	s_and_b64 s[6:7], s[6:7], exec
	s_or_b64 s[6:7], s[4:5], s[6:7]
	s_andn2_b64 s[4:5], s[52:53], exec
	s_and_b64 s[10:11], s[60:61], exec
	s_or_b64 s[4:5], s[4:5], s[10:11]
	s_orn2_b64 s[14:15], s[8:9], exec
.LBB7_785:
	s_or_b64 exec, exec, s[58:59]
	s_mov_b64 s[12:13], 0
	s_mov_b64 s[16:17], 0
	;; [unrolled: 1-line block ×3, first 2 shown]
                                        ; implicit-def: $vgpr0_vgpr1
                                        ; implicit-def: $vgpr6_vgpr7
	s_and_saveexec_b64 s[8:9], s[14:15]
	s_cbranch_execz .LBB7_873
; %bb.786:
	v_cmp_gt_i32_e32 vcc, s62, v47
	s_mov_b64 s[14:15], 0
	s_mov_b64 s[18:19], s[4:5]
	;; [unrolled: 1-line block ×3, first 2 shown]
                                        ; implicit-def: $vgpr0_vgpr1
                                        ; implicit-def: $vgpr6_vgpr7
	s_and_saveexec_b64 s[10:11], vcc
	s_cbranch_execz .LBB7_872
; %bb.787:
	s_waitcnt vmcnt(0)
	v_mul_lo_u32 v0, v47, s35
	v_mov_b32_e32 v1, s39
	s_and_b32 s22, 0xffff, s33
	s_cmp_lt_i32 s22, 11
	v_ashrrev_i32_e32 v2, 31, v0
	v_add_co_u32_e32 v0, vcc, s38, v0
	v_addc_co_u32_e32 v1, vcc, v1, v2, vcc
	s_cbranch_scc1 .LBB7_794
; %bb.788:
	s_cmp_gt_i32 s22, 25
	s_cbranch_scc0 .LBB7_795
; %bb.789:
	s_cmp_gt_i32 s22, 28
	s_cbranch_scc0 .LBB7_796
	;; [unrolled: 3-line block ×4, first 2 shown]
; %bb.792:
	s_cmp_eq_u32 s22, 46
	s_mov_b64 s[18:19], 0
	s_cbranch_scc0 .LBB7_803
; %bb.793:
	global_load_dword v2, v[0:1], off
	s_mov_b64 s[16:17], -1
	s_waitcnt vmcnt(0)
	v_and_b32_e32 v3, 0xffff0000, v2
	v_lshlrev_b32_e32 v2, 16, v2
	v_cvt_f64_f32_e32 v[4:5], v2
	v_cvt_f64_f32_e32 v[6:7], v3
	s_branch .LBB7_805
.LBB7_794:
	s_mov_b64 s[18:19], -1
                                        ; implicit-def: $vgpr6_vgpr7
	s_mov_b64 s[12:13], s[4:5]
	s_branch .LBB7_871
.LBB7_795:
	s_mov_b64 s[18:19], -1
	s_mov_b64 s[12:13], s[4:5]
                                        ; implicit-def: $vgpr6_vgpr7
	s_branch .LBB7_838
.LBB7_796:
	s_mov_b64 s[18:19], -1
	s_mov_b64 s[12:13], s[4:5]
                                        ; implicit-def: $vgpr6_vgpr7
	s_branch .LBB7_817
.LBB7_797:
	s_mov_b64 s[18:19], -1
	s_mov_b64 s[12:13], s[4:5]
                                        ; implicit-def: $vgpr6_vgpr7
	s_branch .LBB7_811
.LBB7_798:
	s_andn2_saveexec_b64 s[10:11], s[10:11]
	s_cbranch_execz .LBB7_694
.LBB7_799:
	s_mov_b32 s14, 0x46000000
	v_add_f32_e64 v7, |v6|, s14
	v_and_b32_e32 v7, 0xff, v7
	v_cmp_ne_u32_e32 vcc, 0, v7
	s_andn2_b64 s[8:9], s[8:9], exec
	s_and_b64 s[14:15], vcc, exec
	s_or_b64 s[8:9], s[8:9], s[14:15]
	s_or_b64 exec, exec, s[10:11]
	v_mov_b32_e32 v8, 0
	s_and_saveexec_b64 s[10:11], s[8:9]
	s_cbranch_execnz .LBB7_695
	s_branch .LBB7_696
.LBB7_800:
	s_mov_b64 s[18:19], -1
	s_mov_b64 s[12:13], s[4:5]
	s_branch .LBB7_804
.LBB7_801:
	s_andn2_saveexec_b64 s[10:11], s[10:11]
	s_cbranch_execz .LBB7_707
.LBB7_802:
	s_mov_b32 s14, 0x42800000
	v_add_f32_e64 v7, |v6|, s14
	v_and_b32_e32 v7, 0xff, v7
	v_cmp_ne_u32_e32 vcc, 0, v7
	s_andn2_b64 s[8:9], s[8:9], exec
	s_and_b64 s[14:15], vcc, exec
	s_or_b64 s[8:9], s[8:9], s[14:15]
	s_or_b64 exec, exec, s[10:11]
	v_mov_b32_e32 v8, 0
	s_and_saveexec_b64 s[10:11], s[8:9]
	s_cbranch_execnz .LBB7_708
	s_branch .LBB7_709
.LBB7_803:
	s_mov_b64 s[12:13], -1
.LBB7_804:
                                        ; implicit-def: $vgpr6_vgpr7
.LBB7_805:
	s_and_b64 vcc, exec, s[18:19]
	s_cbranch_vccz .LBB7_810
; %bb.806:
	s_cmp_eq_u32 s22, 44
	s_cbranch_scc0 .LBB7_808
; %bb.807:
	global_load_ubyte v4, v[0:1], off
	s_movk_i32 s16, 0xff
	v_bfrev_b32_e32 v5, 4
	v_mov_b32_e32 v6, 0x7ff80000
	v_bfrev_b32_e32 v7, 28
	s_mov_b64 s[12:13], 0
	s_waitcnt vmcnt(0)
	v_lshlrev_b32_e32 v2, 23, v4
	v_cvt_f64_f32_e32 v[2:3], v2
	v_cmp_ne_u32_e32 vcc, s16, v4
	s_mov_b64 s[16:17], -1
	v_cndmask_b32_e32 v2, v5, v2, vcc
	v_cndmask_b32_e32 v3, v6, v3, vcc
	v_cmp_ne_u32_e32 vcc, 0, v4
	v_cndmask_b32_e32 v5, v7, v3, vcc
	v_cndmask_b32_e32 v4, 0, v2, vcc
	s_branch .LBB7_809
.LBB7_808:
	s_mov_b64 s[12:13], -1
                                        ; implicit-def: $vgpr4_vgpr5
.LBB7_809:
	v_mov_b32_e32 v6, 0
	v_mov_b32_e32 v7, 0
.LBB7_810:
	s_mov_b64 s[18:19], 0
.LBB7_811:
	s_and_b64 vcc, exec, s[18:19]
	s_cbranch_vccz .LBB7_816
; %bb.812:
	s_cmp_eq_u32 s22, 29
	s_cbranch_scc0 .LBB7_814
; %bb.813:
	global_load_dwordx2 v[2:3], v[0:1], off
	s_mov_b64 s[12:13], 0
	s_mov_b64 s[16:17], -1
	s_waitcnt vmcnt(0)
	v_cvt_f64_u32_e32 v[3:4], v3
	v_cvt_f64_u32_e32 v[5:6], v2
	v_ldexp_f64 v[3:4], v[3:4], 32
	v_add_f64 v[4:5], v[3:4], v[5:6]
	s_branch .LBB7_815
.LBB7_814:
	s_mov_b64 s[12:13], -1
                                        ; implicit-def: $vgpr4_vgpr5
.LBB7_815:
	v_mov_b32_e32 v6, 0
	v_mov_b32_e32 v7, 0
.LBB7_816:
	s_mov_b64 s[18:19], 0
.LBB7_817:
	s_and_b64 vcc, exec, s[18:19]
	s_cbranch_vccz .LBB7_837
; %bb.818:
	s_cmp_lt_i32 s22, 27
	s_cbranch_scc1 .LBB7_821
; %bb.819:
	s_cmp_gt_i32 s22, 27
	s_cbranch_scc0 .LBB7_822
; %bb.820:
	global_load_dword v2, v[0:1], off
	s_mov_b64 s[16:17], 0
	s_waitcnt vmcnt(0)
	v_cvt_f64_u32_e32 v[4:5], v2
	s_branch .LBB7_823
.LBB7_821:
	s_mov_b64 s[16:17], -1
                                        ; implicit-def: $vgpr4_vgpr5
	s_branch .LBB7_826
.LBB7_822:
	s_mov_b64 s[16:17], -1
                                        ; implicit-def: $vgpr4_vgpr5
.LBB7_823:
	s_andn2_b64 vcc, exec, s[16:17]
	s_cbranch_vccnz .LBB7_825
; %bb.824:
	global_load_ushort v2, v[0:1], off
	s_waitcnt vmcnt(0)
	v_cvt_f64_u32_e32 v[4:5], v2
.LBB7_825:
	s_mov_b64 s[16:17], 0
.LBB7_826:
	s_andn2_b64 vcc, exec, s[16:17]
	s_cbranch_vccnz .LBB7_836
; %bb.827:
	global_load_ubyte v2, v[0:1], off
	s_movk_i32 s16, 0x7f
	s_waitcnt vmcnt(0)
	v_cmp_lt_i16_e32 vcc, s16, v2
	s_mov_b64 s[16:17], 0
	s_and_saveexec_b64 s[18:19], vcc
	s_xor_b64 s[18:19], exec, s[18:19]
	s_cbranch_execz .LBB7_831
; %bb.828:
	s_movk_i32 s16, 0x80
	v_cmp_eq_u16_e32 vcc, s16, v2
	s_mov_b64 s[16:17], -1
	s_and_saveexec_b64 s[20:21], vcc
; %bb.829:
	s_xor_b64 s[16:17], exec, -1
; %bb.830:
	s_or_b64 exec, exec, s[20:21]
	s_and_b64 s[16:17], s[16:17], exec
.LBB7_831:
	s_or_saveexec_b64 s[18:19], s[18:19]
	v_bfrev_b32_e32 v4, 4
	v_mov_b32_e32 v5, 0x7ff80000
	s_xor_b64 exec, exec, s[18:19]
; %bb.832:
	v_cmp_ne_u16_e32 vcc, 0, v2
	v_mov_b32_e32 v4, 0
	s_andn2_b64 s[16:17], s[16:17], exec
	s_and_b64 s[20:21], vcc, exec
	v_mov_b32_e32 v5, 0
	s_or_b64 s[16:17], s[16:17], s[20:21]
; %bb.833:
	s_or_b64 exec, exec, s[18:19]
	s_and_saveexec_b64 s[18:19], s[16:17]
	s_cbranch_execz .LBB7_835
; %bb.834:
	v_lshlrev_b32_e32 v3, 24, v2
	v_and_b32_e32 v2, 0xffff, v2
	v_and_b32_e32 v4, 7, v2
	v_ffbh_u32_e32 v6, v4
	v_min_u32_e32 v6, 32, v6
	v_subrev_u32_e32 v7, 28, v6
	v_bfe_u32 v5, v2, 3, 4
	v_lshlrev_b32_e32 v2, v7, v2
	v_sub_u32_e32 v6, 29, v6
	v_and_b32_e32 v2, 7, v2
	v_cmp_eq_u32_e32 vcc, 0, v5
	v_cndmask_b32_e32 v5, v5, v6, vcc
	v_cndmask_b32_e32 v2, v4, v2, vcc
	v_mov_b32_e32 v4, 0x3b800000
	v_lshlrev_b32_e32 v2, 20, v2
	v_and_b32_e32 v3, 0x80000000, v3
	v_lshl_add_u32 v4, v5, 23, v4
	v_or3_b32 v2, v3, v4, v2
	v_cvt_f64_f32_e32 v[4:5], v2
.LBB7_835:
	s_or_b64 exec, exec, s[18:19]
.LBB7_836:
	v_mov_b32_e32 v6, 0
	v_mov_b32_e32 v7, 0
	s_mov_b64 s[16:17], -1
.LBB7_837:
	s_mov_b64 s[18:19], 0
.LBB7_838:
	s_and_b64 vcc, exec, s[18:19]
	s_cbranch_vccz .LBB7_870
; %bb.839:
	s_cmp_gt_i32 s22, 22
	s_cbranch_scc0 .LBB7_851
; %bb.840:
	s_cmp_lt_i32 s22, 24
	s_cbranch_scc1 .LBB7_852
; %bb.841:
	s_cmp_gt_i32 s22, 24
	s_cbranch_scc0 .LBB7_853
; %bb.842:
	global_load_ubyte v2, v[0:1], off
	s_movk_i32 s14, 0x7f
	s_waitcnt vmcnt(0)
	v_cmp_lt_i16_e32 vcc, s14, v2
	s_mov_b64 s[14:15], 0
	s_and_saveexec_b64 s[16:17], vcc
	s_xor_b64 s[16:17], exec, s[16:17]
	s_cbranch_execz .LBB7_846
; %bb.843:
	s_movk_i32 s14, 0x80
	v_cmp_eq_u16_e32 vcc, s14, v2
	s_mov_b64 s[14:15], -1
	s_and_saveexec_b64 s[18:19], vcc
; %bb.844:
	s_xor_b64 s[14:15], exec, -1
; %bb.845:
	s_or_b64 exec, exec, s[18:19]
	s_and_b64 s[14:15], s[14:15], exec
.LBB7_846:
	s_or_saveexec_b64 s[16:17], s[16:17]
	v_bfrev_b32_e32 v4, 4
	v_mov_b32_e32 v5, 0x7ff80000
	s_xor_b64 exec, exec, s[16:17]
; %bb.847:
	v_cmp_ne_u16_e32 vcc, 0, v2
	v_mov_b32_e32 v4, 0
	s_andn2_b64 s[14:15], s[14:15], exec
	s_and_b64 s[18:19], vcc, exec
	v_mov_b32_e32 v5, 0
	s_or_b64 s[14:15], s[14:15], s[18:19]
; %bb.848:
	s_or_b64 exec, exec, s[16:17]
	s_and_saveexec_b64 s[16:17], s[14:15]
	s_cbranch_execz .LBB7_850
; %bb.849:
	v_lshlrev_b32_e32 v3, 24, v2
	v_and_b32_e32 v2, 0xffff, v2
	v_and_b32_e32 v4, 3, v2
	v_ffbh_u32_e32 v6, v4
	v_min_u32_e32 v6, 32, v6
	v_subrev_u32_e32 v7, 29, v6
	v_bfe_u32 v5, v2, 2, 5
	v_lshlrev_b32_e32 v2, v7, v2
	v_sub_u32_e32 v6, 30, v6
	v_and_b32_e32 v2, 3, v2
	v_cmp_eq_u32_e32 vcc, 0, v5
	v_cndmask_b32_e32 v5, v5, v6, vcc
	v_cndmask_b32_e32 v2, v4, v2, vcc
	v_mov_b32_e32 v4, 0x37800000
	v_lshlrev_b32_e32 v2, 21, v2
	v_and_b32_e32 v3, 0x80000000, v3
	v_lshl_add_u32 v4, v5, 23, v4
	v_or3_b32 v2, v3, v4, v2
	v_cvt_f64_f32_e32 v[4:5], v2
.LBB7_850:
	s_or_b64 exec, exec, s[16:17]
	s_mov_b64 s[14:15], 0
	s_branch .LBB7_854
.LBB7_851:
	s_mov_b64 s[14:15], -1
                                        ; implicit-def: $vgpr4_vgpr5
	s_branch .LBB7_860
.LBB7_852:
	s_mov_b64 s[14:15], -1
                                        ; implicit-def: $vgpr4_vgpr5
	s_branch .LBB7_857
.LBB7_853:
	s_mov_b64 s[14:15], -1
                                        ; implicit-def: $vgpr4_vgpr5
.LBB7_854:
	s_and_b64 vcc, exec, s[14:15]
	s_cbranch_vccz .LBB7_856
; %bb.855:
	global_load_ubyte v2, v[0:1], off
	s_mov_b32 s14, 0x7f800000
	s_waitcnt vmcnt(0)
	v_lshlrev_b32_e32 v2, 24, v2
	v_and_b32_e32 v3, 0x7f000000, v2
	v_ffbh_u32_e32 v4, v3
	v_min_u32_e32 v4, 32, v4
	v_sub_u32_e64 v4, v4, 4 clamp
	v_lshlrev_b32_e32 v6, v4, v3
	v_lshlrev_b32_e32 v4, 23, v4
	v_lshrrev_b32_e32 v6, 4, v6
	v_add_u32_e32 v5, 0x1000000, v3
	v_sub_u32_e32 v4, v6, v4
	v_ashrrev_i32_e32 v5, 8, v5
	v_add_u32_e32 v4, 0x3c000000, v4
	v_and_or_b32 v4, v5, s14, v4
	v_cmp_ne_u32_e32 vcc, 0, v3
	v_cndmask_b32_e32 v3, 0, v4, vcc
	s_brev_b32 s14, 1
	v_and_or_b32 v2, v2, s14, v3
	v_cvt_f64_f32_e32 v[4:5], v2
.LBB7_856:
	s_mov_b64 s[14:15], 0
.LBB7_857:
	s_andn2_b64 vcc, exec, s[14:15]
	s_cbranch_vccnz .LBB7_859
; %bb.858:
	global_load_ubyte v2, v[0:1], off
	s_movk_i32 s14, 0x7f00
	s_brev_b32 s15, 16
	s_waitcnt vmcnt(0)
	v_lshlrev_b16_e32 v3, 8, v2
	v_lshlrev_b32_e32 v2, 25, v2
	v_lshrrev_b32_e32 v4, 4, v2
	v_and_or_b32 v5, v3, s14, 0.5
	v_or_b32_e32 v4, 0x70000000, v4
	v_add_f32_e32 v5, -0.5, v5
	v_mul_f32_e32 v4, 0x7800000, v4
	v_cmp_gt_u32_e32 vcc, s15, v2
	v_bfe_i32 v3, v3, 0, 16
	v_cndmask_b32_e32 v2, v4, v5, vcc
	s_brev_b32 s14, 1
	v_and_or_b32 v2, v3, s14, v2
	v_cvt_f64_f32_e32 v[4:5], v2
.LBB7_859:
	s_mov_b64 s[14:15], 0
	s_mov_b64 s[16:17], -1
.LBB7_860:
	s_andn2_b64 vcc, exec, s[14:15]
	s_mov_b64 s[14:15], 0
	s_cbranch_vccnz .LBB7_869
; %bb.861:
	s_cmp_gt_i32 s22, 14
	s_cbranch_scc0 .LBB7_864
; %bb.862:
	s_cmp_eq_u32 s22, 15
	s_cbranch_scc0 .LBB7_865
; %bb.863:
	global_load_ushort v2, v[0:1], off
	s_mov_b64 s[12:13], 0
	s_mov_b64 s[16:17], -1
	s_waitcnt vmcnt(0)
	v_lshlrev_b32_e32 v2, 16, v2
	v_cvt_f64_f32_e32 v[4:5], v2
	s_branch .LBB7_866
.LBB7_864:
	s_mov_b64 s[18:19], -1
                                        ; implicit-def: $vgpr4_vgpr5
	s_branch .LBB7_867
.LBB7_865:
	s_mov_b64 s[12:13], -1
                                        ; implicit-def: $vgpr4_vgpr5
.LBB7_866:
	s_mov_b64 s[18:19], 0
.LBB7_867:
	s_and_b64 vcc, exec, s[18:19]
	s_cbranch_vccz .LBB7_869
; %bb.868:
	s_cmp_lg_u32 s22, 11
	s_cselect_b64 s[18:19], -1, 0
	s_andn2_b64 s[12:13], s[12:13], exec
	s_and_b64 s[18:19], s[18:19], exec
	s_mov_b64 s[14:15], -1
	s_or_b64 s[12:13], s[12:13], s[18:19]
.LBB7_869:
	v_mov_b32_e32 v6, 0
	v_mov_b32_e32 v7, 0
.LBB7_870:
	s_mov_b64 s[18:19], 0
.LBB7_871:
	s_and_b64 s[20:21], s[16:17], exec
	s_and_b64 s[16:17], s[18:19], exec
	s_andn2_b64 s[18:19], s[4:5], exec
	s_and_b64 s[12:13], s[12:13], exec
	s_and_b64 s[14:15], s[14:15], exec
	s_or_b64 s[18:19], s[18:19], s[12:13]
.LBB7_872:
	s_or_b64 exec, exec, s[10:11]
	s_and_b64 s[12:13], s[14:15], exec
	s_andn2_b64 s[4:5], s[4:5], exec
	s_and_b64 s[14:15], s[18:19], exec
	s_and_b64 s[10:11], s[20:21], exec
	;; [unrolled: 1-line block ×3, first 2 shown]
	s_or_b64 s[4:5], s[4:5], s[14:15]
.LBB7_873:
	s_or_b64 exec, exec, s[8:9]
	s_andn2_b64 s[8:9], s[54:55], exec
	s_and_b64 s[6:7], s[6:7], exec
	s_or_b64 s[54:55], s[8:9], s[6:7]
	s_and_b64 s[6:7], s[12:13], exec
	s_andn2_b64 s[12:13], s[52:53], exec
	s_and_b64 s[4:5], s[4:5], exec
	s_and_b64 s[10:11], s[10:11], exec
	s_and_b64 s[8:9], s[16:17], exec
	s_or_b64 s[52:53], s[12:13], s[4:5]
.LBB7_874:
	s_or_b64 exec, exec, s[56:57]
	s_andn2_b64 s[4:5], s[46:47], exec
	s_and_b64 s[12:13], s[54:55], exec
	s_or_b64 s[46:47], s[4:5], s[12:13]
	s_and_b64 s[4:5], s[10:11], exec
	s_and_b64 s[54:55], s[6:7], exec
	s_andn2_b64 s[6:7], s[48:49], exec
	s_and_b64 s[10:11], s[52:53], exec
	s_and_b64 s[8:9], s[8:9], exec
	s_or_b64 s[48:49], s[6:7], s[10:11]
	s_or_b64 exec, exec, s[50:51]
	s_mov_b64 s[50:51], 0
	s_and_saveexec_b64 s[6:7], s[48:49]
	s_cbranch_execz .LBB7_265
.LBB7_875:
	s_mov_b64 s[50:51], exec
	s_andn2_b64 s[54:55], s[54:55], exec
	s_trap 2
	s_or_b64 exec, exec, s[6:7]
	s_and_saveexec_b64 s[6:7], s[54:55]
	s_xor_b64 s[6:7], exec, s[6:7]
	s_cbranch_execnz .LBB7_266
.LBB7_876:
	s_or_b64 exec, exec, s[6:7]
	s_and_saveexec_b64 s[6:7], s[8:9]
	s_cbranch_execz .LBB7_924
.LBB7_877:
	s_sext_i32_i16 s8, s33
	s_cmp_lt_i32 s8, 5
	s_cbranch_scc1 .LBB7_882
; %bb.878:
	s_cmp_lt_i32 s8, 8
	s_cbranch_scc1 .LBB7_883
; %bb.879:
	;; [unrolled: 3-line block ×3, first 2 shown]
	s_cmp_gt_i32 s8, 9
	s_cbranch_scc0 .LBB7_885
; %bb.881:
	s_waitcnt vmcnt(0)
	global_load_dwordx4 v[4:7], v[0:1], off
	s_mov_b64 s[8:9], 0
	s_branch .LBB7_886
.LBB7_882:
                                        ; implicit-def: $vgpr6_vgpr7
	s_branch .LBB7_904
.LBB7_883:
                                        ; implicit-def: $vgpr6_vgpr7
	s_branch .LBB7_892
.LBB7_884:
	s_mov_b64 s[8:9], -1
                                        ; implicit-def: $vgpr6_vgpr7
	s_branch .LBB7_889
.LBB7_885:
	s_mov_b64 s[8:9], -1
                                        ; implicit-def: $vgpr6_vgpr7
.LBB7_886:
	s_andn2_b64 vcc, exec, s[8:9]
	s_cbranch_vccnz .LBB7_888
; %bb.887:
	s_waitcnt vmcnt(0)
	global_load_dwordx2 v[2:3], v[0:1], off
	s_waitcnt vmcnt(0)
	v_cvt_f64_f32_e32 v[4:5], v2
	v_cvt_f64_f32_e32 v[6:7], v3
.LBB7_888:
	s_mov_b64 s[8:9], 0
.LBB7_889:
	s_andn2_b64 vcc, exec, s[8:9]
	s_cbranch_vccnz .LBB7_891
; %bb.890:
	s_waitcnt vmcnt(0)
	global_load_dword v2, v[0:1], off
	s_waitcnt vmcnt(0)
	v_cvt_f32_f16_e32 v3, v2
	v_cvt_f32_f16_sdwa v2, v2 dst_sel:DWORD dst_unused:UNUSED_PAD src0_sel:WORD_1
	v_cvt_f64_f32_e32 v[4:5], v3
	v_cvt_f64_f32_e32 v[6:7], v2
.LBB7_891:
	s_cbranch_execnz .LBB7_903
.LBB7_892:
	s_sext_i32_i16 s8, s33
	s_cmp_lt_i32 s8, 6
	s_cbranch_scc1 .LBB7_895
; %bb.893:
	s_cmp_gt_i32 s8, 6
	s_cbranch_scc0 .LBB7_896
; %bb.894:
	s_waitcnt vmcnt(0)
	global_load_dwordx2 v[4:5], v[0:1], off
	s_mov_b64 s[8:9], 0
	s_branch .LBB7_897
.LBB7_895:
	s_mov_b64 s[8:9], -1
                                        ; implicit-def: $vgpr4_vgpr5
	s_branch .LBB7_900
.LBB7_896:
	s_mov_b64 s[8:9], -1
                                        ; implicit-def: $vgpr4_vgpr5
.LBB7_897:
	s_andn2_b64 vcc, exec, s[8:9]
	s_cbranch_vccnz .LBB7_899
; %bb.898:
	s_waitcnt vmcnt(0)
	global_load_dword v2, v[0:1], off
	s_waitcnt vmcnt(0)
	v_cvt_f64_f32_e32 v[4:5], v2
.LBB7_899:
	s_mov_b64 s[8:9], 0
.LBB7_900:
	s_andn2_b64 vcc, exec, s[8:9]
	s_cbranch_vccnz .LBB7_902
; %bb.901:
	s_waitcnt vmcnt(0)
	global_load_ushort v2, v[0:1], off
	s_waitcnt vmcnt(0)
	v_cvt_f32_f16_e32 v2, v2
	v_cvt_f64_f32_e32 v[4:5], v2
.LBB7_902:
	s_waitcnt vmcnt(0)
	v_mov_b32_e32 v6, 0
	v_mov_b32_e32 v7, 0
.LBB7_903:
	s_cbranch_execnz .LBB7_923
.LBB7_904:
	s_sext_i32_i16 s8, s33
	s_cmp_lt_i32 s8, 2
	s_cbranch_scc1 .LBB7_908
; %bb.905:
	s_cmp_lt_i32 s8, 3
	s_cbranch_scc1 .LBB7_909
; %bb.906:
	s_cmp_gt_i32 s8, 3
	s_cbranch_scc0 .LBB7_910
; %bb.907:
	s_waitcnt vmcnt(0)
	global_load_dwordx2 v[2:3], v[0:1], off
	s_mov_b64 s[8:9], 0
	s_waitcnt vmcnt(0)
	v_cvt_f64_i32_e32 v[3:4], v3
	v_cvt_f64_u32_e32 v[5:6], v2
	v_ldexp_f64 v[3:4], v[3:4], 32
	v_add_f64 v[4:5], v[3:4], v[5:6]
	s_branch .LBB7_911
.LBB7_908:
                                        ; implicit-def: $vgpr4_vgpr5
	s_branch .LBB7_917
.LBB7_909:
	s_mov_b64 s[8:9], -1
                                        ; implicit-def: $vgpr4_vgpr5
	s_branch .LBB7_914
.LBB7_910:
	s_mov_b64 s[8:9], -1
                                        ; implicit-def: $vgpr4_vgpr5
.LBB7_911:
	s_andn2_b64 vcc, exec, s[8:9]
	s_cbranch_vccnz .LBB7_913
; %bb.912:
	s_waitcnt vmcnt(0)
	global_load_dword v2, v[0:1], off
	s_waitcnt vmcnt(0)
	v_cvt_f64_i32_e32 v[4:5], v2
.LBB7_913:
	s_mov_b64 s[8:9], 0
.LBB7_914:
	s_andn2_b64 vcc, exec, s[8:9]
	s_cbranch_vccnz .LBB7_916
; %bb.915:
	s_waitcnt vmcnt(0)
	global_load_sshort v2, v[0:1], off
	s_waitcnt vmcnt(0)
	v_cvt_f64_i32_e32 v[4:5], v2
.LBB7_916:
	s_cbranch_execnz .LBB7_922
.LBB7_917:
	s_sext_i32_i16 s8, s33
	s_cmp_gt_i32 s8, 0
	s_cbranch_scc0 .LBB7_919
; %bb.918:
	s_waitcnt vmcnt(0)
	global_load_sbyte v2, v[0:1], off
	s_mov_b64 s[8:9], 0
	s_waitcnt vmcnt(0)
	v_cvt_f64_i32_e32 v[4:5], v2
	s_branch .LBB7_920
.LBB7_919:
	s_mov_b64 s[8:9], -1
                                        ; implicit-def: $vgpr4_vgpr5
.LBB7_920:
	s_andn2_b64 vcc, exec, s[8:9]
	s_cbranch_vccnz .LBB7_922
; %bb.921:
	s_waitcnt vmcnt(0)
	global_load_ubyte v0, v[0:1], off
	s_waitcnt vmcnt(0)
	v_cvt_f64_u32_e32 v[4:5], v0
.LBB7_922:
	s_waitcnt vmcnt(0)
	v_mov_b32_e32 v6, 0
	v_mov_b32_e32 v7, 0
.LBB7_923:
	s_or_b64 s[4:5], s[4:5], exec
.LBB7_924:
	s_or_b64 exec, exec, s[6:7]
	s_mov_b64 s[8:9], 0
	s_mov_b64 s[6:7], 0
                                        ; implicit-def: $sgpr14
                                        ; implicit-def: $vgpr8_vgpr9
                                        ; implicit-def: $vgpr2_vgpr3
	s_and_saveexec_b64 s[48:49], s[4:5]
	s_cbranch_execz .LBB7_942
; %bb.925:
	s_getpc_b64 s[4:5]
	s_add_u32 s4, s4, _ZZZZN2at6native16asin_kernel_cudaERNS_18TensorIteratorBaseEENKUlvE_clEvENKUlvE_clEvENKUlN3c107complexIdEEE_clES7_@rel32@lo+4
	s_addc_u32 s5, s5, _ZZZZN2at6native16asin_kernel_cudaERNS_18TensorIteratorBaseEENKUlvE_clEvENKUlvE_clEvENKUlN3c107complexIdEEE_clES7_@rel32@hi+12
	s_waitcnt vmcnt(0)
	v_mov_b32_e32 v0, v4
	v_mov_b32_e32 v1, v5
	;; [unrolled: 1-line block ×4, first 2 shown]
	s_swappc_b64 s[30:31], s[4:5]
	v_mul_lo_u32 v4, v47, s34
	v_mov_b32_e32 v5, s37
	s_and_b32 s14, s27, 0xff
	s_cmp_lt_i32 s14, 11
	v_ashrrev_i32_e32 v6, 31, v4
	v_add_co_u32_e32 v8, vcc, s36, v4
	v_addc_co_u32_e32 v9, vcc, v5, v6, vcc
	s_cbranch_scc1 .LBB7_945
; %bb.926:
	s_and_b32 s15, 0xffff, s14
	s_mov_b64 s[8:9], -1
	s_cmp_gt_i32 s15, 25
	s_mov_b64 s[4:5], s[46:47]
	s_cbranch_scc0 .LBB7_963
; %bb.927:
	s_mov_b64 s[6:7], -1
	s_cmp_gt_i32 s15, 28
	s_mov_b64 s[4:5], s[46:47]
	s_cbranch_scc0 .LBB7_947
; %bb.928:
	s_cmp_gt_i32 s15, 43
	s_mov_b64 s[4:5], s[46:47]
	s_cbranch_scc0 .LBB7_939
; %bb.929:
	;; [unrolled: 4-line block ×3, first 2 shown]
	s_cmp_eq_u32 s15, 46
	s_mov_b64 s[4:5], -1
	s_cbranch_scc0 .LBB7_932
; %bb.931:
	v_cvt_f32_f64_e32 v5, v[2:3]
	v_cvt_f32_f64_e32 v4, v[0:1]
	s_movk_i32 s4, 0x7fff
	v_mov_b32_e32 v10, 0x7fc00000
	v_bfe_u32 v7, v5, 16, 1
	v_add3_u32 v7, v5, v7, s4
	v_bfe_u32 v6, v4, 16, 1
	v_and_b32_e32 v7, 0xffff0000, v7
	v_cmp_o_f32_e32 vcc, v5, v5
	v_add3_u32 v6, v4, v6, s4
	v_cndmask_b32_e32 v5, v10, v7, vcc
	v_cmp_o_f32_e32 vcc, v4, v4
	v_mov_b32_e32 v4, 0x7fc0
	v_cndmask_b32_sdwa v4, v4, v6, vcc dst_sel:DWORD dst_unused:UNUSED_PAD src0_sel:DWORD src1_sel:WORD_1
	v_or_b32_e32 v4, v5, v4
	global_store_dword v[8:9], v4, off
	s_mov_b64 s[4:5], 0
.LBB7_932:
	s_mov_b64 s[6:7], 0
.LBB7_933:
	s_and_b64 vcc, exec, s[6:7]
	s_cbranch_vccz .LBB7_938
; %bb.934:
	s_cmp_eq_u32 s15, 44
	s_mov_b64 s[4:5], -1
	s_cbranch_scc0 .LBB7_938
; %bb.935:
	v_cvt_f32_f64_e32 v4, v[0:1]
	s_movk_i32 s4, 0xff
	v_mov_b32_e32 v6, 0xff
	v_bfe_u32 v5, v4, 23, 8
	v_cmp_ne_u32_e32 vcc, s4, v5
	s_and_saveexec_b64 s[6:7], vcc
; %bb.936:
	s_mov_b32 s4, 0x3fffff
	v_lshrrev_b32_e32 v6, 23, v4
	v_and_b32_e32 v7, 0x400000, v4
	v_and_or_b32 v4, v4, s4, v5
	v_cmp_ne_u32_e32 vcc, 0, v7
	v_cmp_ne_u32_e64 s[4:5], 0, v4
	s_and_b64 s[4:5], vcc, s[4:5]
	v_cndmask_b32_e64 v4, 0, 1, s[4:5]
	v_add_u32_e32 v6, v6, v4
; %bb.937:
	s_or_b64 exec, exec, s[6:7]
	s_mov_b64 s[4:5], 0
	global_store_byte v[8:9], v6, off
.LBB7_938:
	s_mov_b64 s[6:7], 0
.LBB7_939:
	s_and_b64 vcc, exec, s[6:7]
	s_cbranch_vccz .LBB7_946
; %bb.940:
	s_cmp_eq_u32 s15, 29
	s_mov_b64 s[4:5], -1
	s_cbranch_scc0 .LBB7_946
; %bb.941:
	v_trunc_f64_e32 v[4:5], v[0:1]
	s_movk_i32 s4, 0xffe0
	s_mov_b64 s[6:7], 0
	v_ldexp_f64 v[6:7], v[4:5], s4
	s_mov_b32 s4, 0
	s_mov_b32 s5, 0xc1f00000
	v_floor_f64_e32 v[6:7], v[6:7]
	v_fma_f64 v[4:5], v[6:7], s[4:5], v[4:5]
	v_cvt_u32_f64_e32 v6, v[6:7]
	s_mov_b64 s[4:5], 0
	v_cvt_u32_f64_e32 v5, v[4:5]
	global_store_dwordx2 v[8:9], v[5:6], off
	s_branch .LBB7_947
.LBB7_942:
	s_or_b64 exec, exec, s[48:49]
	s_and_saveexec_b64 s[4:5], s[46:47]
	s_cbranch_execnz .LBB7_1005
.LBB7_943:
	s_or_b64 exec, exec, s[4:5]
	s_and_saveexec_b64 s[4:5], s[8:9]
	s_xor_b64 s[8:9], exec, s[4:5]
	s_cbranch_execz .LBB7_1006
.LBB7_944:
	s_waitcnt vmcnt(0)
	v_cmp_neq_f64_e32 vcc, 0, v[0:1]
	v_cmp_neq_f64_e64 s[4:5], 0, v[2:3]
	s_or_b64 s[4:5], vcc, s[4:5]
	v_cndmask_b32_e64 v4, 0, 1, s[4:5]
	global_store_byte v[8:9], v4, off
	s_or_b64 exec, exec, s[8:9]
	s_and_saveexec_b64 s[4:5], s[6:7]
	s_xor_b64 s[4:5], exec, s[4:5]
	s_cbranch_execz .LBB7_1044
	s_branch .LBB7_1007
.LBB7_945:
	s_mov_b64 s[8:9], 0
	s_mov_b64 s[6:7], -1
	s_mov_b64 s[4:5], s[46:47]
	s_branch .LBB7_1004
.LBB7_946:
	s_mov_b64 s[6:7], 0
.LBB7_947:
	s_and_b64 vcc, exec, s[6:7]
	s_cbranch_vccz .LBB7_962
; %bb.948:
	s_cmp_lt_i32 s15, 27
	s_mov_b64 s[6:7], -1
	s_cbranch_scc1 .LBB7_954
; %bb.949:
	v_cvt_u32_f64_e32 v4, v[0:1]
	s_cmp_gt_i32 s15, 27
	s_cbranch_scc0 .LBB7_951
; %bb.950:
	s_mov_b64 s[6:7], 0
	global_store_dword v[8:9], v4, off
.LBB7_951:
	s_andn2_b64 vcc, exec, s[6:7]
	s_cbranch_vccnz .LBB7_953
; %bb.952:
	global_store_short v[8:9], v4, off
.LBB7_953:
	s_mov_b64 s[6:7], 0
.LBB7_954:
	s_andn2_b64 vcc, exec, s[6:7]
	s_cbranch_vccnz .LBB7_962
; %bb.955:
	v_cvt_f32_f64_e32 v4, v[0:1]
	s_mov_b32 s6, 0x43800000
	v_mov_b32_e32 v6, 0x80
	v_and_b32_e32 v5, 0x7fffffff, v4
	v_cmp_gt_u32_e32 vcc, s6, v5
	s_and_saveexec_b64 s[6:7], vcc
	s_cbranch_execz .LBB7_961
; %bb.956:
	s_mov_b32 s8, 0x3bffffff
	v_cmp_lt_u32_e32 vcc, s8, v5
	s_mov_b64 s[8:9], 0
                                        ; implicit-def: $vgpr5
	s_and_saveexec_b64 s[10:11], vcc
	s_xor_b64 s[10:11], exec, s[10:11]
	s_cbranch_execz .LBB7_1059
; %bb.957:
	v_bfe_u32 v5, v4, 20, 1
	s_mov_b32 s12, 0x487ffff
	v_add3_u32 v5, v4, v5, s12
	s_mov_b64 s[8:9], exec
	v_lshrrev_b32_e32 v5, 20, v5
	s_andn2_saveexec_b64 s[10:11], s[10:11]
	s_cbranch_execnz .LBB7_1060
.LBB7_958:
	s_or_b64 exec, exec, s[10:11]
	v_mov_b32_e32 v6, 0
	s_and_saveexec_b64 s[10:11], s[8:9]
.LBB7_959:
	v_lshrrev_b32_e32 v4, 24, v4
	s_movk_i32 s8, 0x80
	v_and_or_b32 v6, v4, s8, v5
.LBB7_960:
	s_or_b64 exec, exec, s[10:11]
.LBB7_961:
	s_or_b64 exec, exec, s[6:7]
	global_store_byte v[8:9], v6, off
.LBB7_962:
	s_mov_b64 s[8:9], 0
.LBB7_963:
	s_mov_b64 s[6:7], 0
	s_and_b64 vcc, exec, s[8:9]
	s_cbranch_vccz .LBB7_1003
; %bb.964:
	s_cmp_gt_i32 s15, 22
	s_mov_b64 s[8:9], -1
	s_cbranch_scc0 .LBB7_996
; %bb.965:
	s_cmp_lt_i32 s15, 24
	s_cbranch_scc1 .LBB7_985
; %bb.966:
	s_cmp_gt_i32 s15, 24
	s_cbranch_scc0 .LBB7_974
; %bb.967:
	v_cvt_f32_f64_e32 v4, v[0:1]
	s_mov_b32 s8, 0x47800000
	v_mov_b32_e32 v6, 0x80
	v_and_b32_e32 v5, 0x7fffffff, v4
	v_cmp_gt_u32_e32 vcc, s8, v5
	s_and_saveexec_b64 s[8:9], vcc
	s_cbranch_execz .LBB7_973
; %bb.968:
	s_mov_b32 s10, 0x37ffffff
	v_cmp_lt_u32_e32 vcc, s10, v5
	s_mov_b64 s[10:11], 0
                                        ; implicit-def: $vgpr5
	s_and_saveexec_b64 s[12:13], vcc
	s_xor_b64 s[12:13], exec, s[12:13]
	s_cbranch_execz .LBB7_1190
; %bb.969:
	v_bfe_u32 v5, v4, 21, 1
	s_mov_b32 s16, 0x88fffff
	v_add3_u32 v5, v4, v5, s16
	s_mov_b64 s[10:11], exec
	v_lshrrev_b32_e32 v5, 21, v5
	s_andn2_saveexec_b64 s[12:13], s[12:13]
	s_cbranch_execnz .LBB7_1191
.LBB7_970:
	s_or_b64 exec, exec, s[12:13]
	v_mov_b32_e32 v6, 0
	s_and_saveexec_b64 s[12:13], s[10:11]
.LBB7_971:
	v_lshrrev_b32_e32 v4, 24, v4
	s_movk_i32 s10, 0x80
	v_and_or_b32 v6, v4, s10, v5
.LBB7_972:
	s_or_b64 exec, exec, s[12:13]
.LBB7_973:
	s_or_b64 exec, exec, s[8:9]
	s_mov_b64 s[8:9], 0
	global_store_byte v[8:9], v6, off
.LBB7_974:
	s_and_b64 vcc, exec, s[8:9]
	s_cbranch_vccz .LBB7_984
; %bb.975:
	v_cvt_f32_f64_e32 v4, v[0:1]
	s_mov_b32 s8, 0x43f00000
                                        ; implicit-def: $vgpr5
	v_and_b32_e32 v6, 0x7fffffff, v4
	v_cmp_gt_u32_e32 vcc, s8, v6
	s_and_saveexec_b64 s[8:9], vcc
	s_xor_b64 s[8:9], exec, s[8:9]
	s_cbranch_execz .LBB7_981
; %bb.976:
	s_mov_b32 s10, 0x3c7fffff
	v_cmp_lt_u32_e32 vcc, s10, v6
                                        ; implicit-def: $vgpr5
	s_and_saveexec_b64 s[10:11], vcc
	s_xor_b64 s[10:11], exec, s[10:11]
; %bb.977:
	v_bfe_u32 v5, v4, 20, 1
	s_mov_b32 s12, 0x407ffff
	v_add3_u32 v5, v4, v5, s12
	v_lshrrev_b32_e32 v6, 20, v5
	v_and_b32_e32 v5, 0xff00000, v5
	s_mov_b32 s12, 0x7f00000
	v_mov_b32_e32 v7, 0x7e
	v_cmp_ne_u32_e32 vcc, s12, v5
	v_cndmask_b32_e32 v5, v7, v6, vcc
; %bb.978:
	s_andn2_saveexec_b64 s[10:11], s[10:11]
; %bb.979:
	s_mov_b32 s12, 0x46800000
	v_add_f32_e64 v5, |v4|, s12
; %bb.980:
	s_or_b64 exec, exec, s[10:11]
                                        ; implicit-def: $vgpr6
.LBB7_981:
	s_andn2_saveexec_b64 s[8:9], s[8:9]
; %bb.982:
	s_mov_b32 s10, 0x7f800000
	v_mov_b32_e32 v5, 0x7e
	v_mov_b32_e32 v7, 0x7f
	v_cmp_lt_u32_e32 vcc, s10, v6
	v_cndmask_b32_e32 v5, v5, v7, vcc
; %bb.983:
	s_or_b64 exec, exec, s[8:9]
	v_lshrrev_b32_e32 v4, 24, v4
	s_movk_i32 s8, 0x80
	v_and_or_b32 v4, v4, s8, v5
	global_store_byte v[8:9], v4, off
.LBB7_984:
	s_mov_b64 s[8:9], 0
.LBB7_985:
	s_andn2_b64 vcc, exec, s[8:9]
	s_cbranch_vccnz .LBB7_995
; %bb.986:
	v_cvt_f32_f64_e32 v4, v[0:1]
	s_mov_b32 s8, 0x47800000
                                        ; implicit-def: $vgpr5
	v_and_b32_e32 v6, 0x7fffffff, v4
	v_cmp_gt_u32_e32 vcc, s8, v6
	s_and_saveexec_b64 s[8:9], vcc
	s_xor_b64 s[8:9], exec, s[8:9]
	s_cbranch_execz .LBB7_992
; %bb.987:
	s_mov_b32 s10, 0x387fffff
	v_cmp_lt_u32_e32 vcc, s10, v6
                                        ; implicit-def: $vgpr5
	s_and_saveexec_b64 s[10:11], vcc
	s_xor_b64 s[10:11], exec, s[10:11]
; %bb.988:
	v_bfe_u32 v5, v4, 21, 1
	s_mov_b32 s12, 0x80fffff
	v_add3_u32 v5, v4, v5, s12
	v_lshrrev_b32_e32 v5, 21, v5
; %bb.989:
	s_andn2_saveexec_b64 s[10:11], s[10:11]
; %bb.990:
	s_mov_b32 s12, 0x43000000
	v_add_f32_e64 v5, |v4|, s12
; %bb.991:
	s_or_b64 exec, exec, s[10:11]
                                        ; implicit-def: $vgpr6
.LBB7_992:
	s_andn2_saveexec_b64 s[8:9], s[8:9]
; %bb.993:
	s_mov_b32 s10, 0x7f800000
	v_mov_b32_e32 v5, 0x7c
	v_mov_b32_e32 v7, 0x7f
	v_cmp_lt_u32_e32 vcc, s10, v6
	v_cndmask_b32_e32 v5, v5, v7, vcc
; %bb.994:
	s_or_b64 exec, exec, s[8:9]
	v_lshrrev_b32_e32 v4, 24, v4
	s_movk_i32 s8, 0x80
	v_and_or_b32 v4, v4, s8, v5
	global_store_byte v[8:9], v4, off
.LBB7_995:
	s_mov_b64 s[8:9], 0
.LBB7_996:
	s_andn2_b64 vcc, exec, s[8:9]
	s_mov_b64 s[8:9], 0
	s_cbranch_vccnz .LBB7_1004
; %bb.997:
	s_cmp_gt_i32 s15, 14
	s_mov_b64 s[10:11], -1
	s_cbranch_scc0 .LBB7_1001
; %bb.998:
	s_cmp_eq_u32 s15, 15
	s_mov_b64 s[4:5], -1
	s_cbranch_scc0 .LBB7_1000
; %bb.999:
	v_cvt_f32_f64_e32 v4, v[0:1]
	s_movk_i32 s4, 0x7fff
	v_mov_b32_e32 v5, 0x7fc0
	v_bfe_u32 v6, v4, 16, 1
	v_cmp_o_f32_e32 vcc, v4, v4
	v_add3_u32 v4, v4, v6, s4
	v_cndmask_b32_sdwa v4, v5, v4, vcc dst_sel:DWORD dst_unused:UNUSED_PAD src0_sel:DWORD src1_sel:WORD_1
	global_store_short v[8:9], v4, off
	s_mov_b64 s[4:5], 0
.LBB7_1000:
	s_mov_b64 s[10:11], 0
.LBB7_1001:
	s_and_b64 vcc, exec, s[10:11]
	s_cbranch_vccz .LBB7_1004
; %bb.1002:
	s_cmp_lg_u32 s15, 11
	s_cselect_b64 s[10:11], -1, 0
	s_andn2_b64 s[4:5], s[4:5], exec
	s_and_b64 s[10:11], s[10:11], exec
	s_mov_b64 s[8:9], -1
	s_or_b64 s[4:5], s[4:5], s[10:11]
	s_branch .LBB7_1004
.LBB7_1003:
	s_mov_b64 s[8:9], 0
.LBB7_1004:
	s_andn2_b64 s[10:11], s[46:47], exec
	s_and_b64 s[4:5], s[4:5], exec
	s_and_b64 s[6:7], s[6:7], exec
	;; [unrolled: 1-line block ×3, first 2 shown]
	s_or_b64 s[46:47], s[10:11], s[4:5]
	s_or_b64 exec, exec, s[48:49]
	s_and_saveexec_b64 s[4:5], s[46:47]
	s_cbranch_execz .LBB7_943
.LBB7_1005:
	s_or_b64 s[50:51], s[50:51], exec
	s_andn2_b64 s[8:9], s[8:9], exec
	s_trap 2
	s_or_b64 exec, exec, s[4:5]
	s_and_saveexec_b64 s[4:5], s[8:9]
	s_xor_b64 s[8:9], exec, s[4:5]
	s_cbranch_execnz .LBB7_944
.LBB7_1006:
	s_or_b64 exec, exec, s[8:9]
	s_and_saveexec_b64 s[4:5], s[6:7]
	s_xor_b64 s[4:5], exec, s[4:5]
	s_cbranch_execz .LBB7_1044
.LBB7_1007:
	s_sext_i32_i16 s8, s14
	s_cmp_lt_i32 s8, 5
	s_mov_b64 s[6:7], -1
	s_cbranch_scc1 .LBB7_1028
; %bb.1008:
	s_cmp_lt_i32 s8, 8
	s_cbranch_scc1 .LBB7_1018
; %bb.1009:
	s_cmp_lt_i32 s8, 9
	s_cbranch_scc1 .LBB7_1015
; %bb.1010:
	s_cmp_gt_i32 s8, 9
	s_cbranch_scc0 .LBB7_1012
; %bb.1011:
	s_mov_b64 s[6:7], 0
	s_waitcnt vmcnt(0)
	global_store_dwordx4 v[8:9], v[0:3], off
.LBB7_1012:
	s_andn2_b64 vcc, exec, s[6:7]
	s_cbranch_vccnz .LBB7_1014
; %bb.1013:
	s_waitcnt vmcnt(0)
	v_cvt_f32_f64_e32 v4, v[0:1]
	v_cvt_f32_f64_e32 v5, v[2:3]
	global_store_dwordx2 v[8:9], v[4:5], off
.LBB7_1014:
	s_mov_b64 s[6:7], 0
.LBB7_1015:
	s_andn2_b64 vcc, exec, s[6:7]
	s_cbranch_vccnz .LBB7_1017
; %bb.1016:
	s_movk_i32 s6, 0x1ff
	s_waitcnt vmcnt(0)
	v_and_or_b32 v4, v1, s6, v0
	v_cmp_ne_u32_e32 vcc, 0, v4
	v_cndmask_b32_e64 v4, 0, 1, vcc
	v_lshrrev_b32_e32 v5, 8, v1
	s_movk_i32 s7, 0xffe
	v_bfe_u32 v6, v1, 20, 11
	v_and_or_b32 v4, v5, s7, v4
	v_sub_u32_e32 v7, 0x3f1, v6
	v_or_b32_e32 v5, 0x1000, v4
	v_med3_i32 v7, v7, 0, 13
	v_lshrrev_b32_e32 v10, v7, v5
	v_lshlrev_b32_e32 v7, v7, v10
	v_cmp_ne_u32_e32 vcc, v7, v5
	v_cndmask_b32_e64 v5, 0, 1, vcc
	v_add_u32_e32 v6, 0xfffffc10, v6
	v_or_b32_e32 v5, v10, v5
	v_lshl_or_b32 v7, v6, 12, v4
	v_cmp_gt_i32_e32 vcc, 1, v6
	v_cndmask_b32_e32 v5, v7, v5, vcc
	v_and_b32_e32 v7, 7, v5
	v_cmp_lt_i32_e32 vcc, 5, v7
	v_cndmask_b32_e64 v10, 0, 1, vcc
	v_cmp_eq_u32_e32 vcc, 3, v7
	v_cndmask_b32_e64 v7, 0, 1, vcc
	v_or_b32_e32 v7, v7, v10
	v_lshrrev_b32_e32 v5, 2, v5
	v_add_u32_e32 v5, v5, v7
	v_mov_b32_e32 v7, 0x7c00
	v_cmp_gt_i32_e32 vcc, 31, v6
	v_cndmask_b32_e32 v5, v7, v5, vcc
	v_mov_b32_e32 v10, 0x7e00
	v_cmp_ne_u32_e32 vcc, 0, v4
	s_movk_i32 s8, 0x40f
	v_cndmask_b32_e32 v4, v7, v10, vcc
	v_cmp_eq_u32_e32 vcc, s8, v6
	v_and_or_b32 v2, v3, s6, v2
	v_cndmask_b32_e32 v4, v5, v4, vcc
	v_lshrrev_b32_e32 v5, 16, v1
	s_mov_b32 s9, 0x8000
	v_cmp_ne_u32_e32 vcc, 0, v2
	v_and_or_b32 v4, v5, s9, v4
	v_cndmask_b32_e64 v2, 0, 1, vcc
	v_lshrrev_b32_e32 v5, 8, v3
	v_bfe_u32 v6, v3, 20, 11
	v_and_or_b32 v2, v5, s7, v2
	v_sub_u32_e32 v11, 0x3f1, v6
	v_or_b32_e32 v5, 0x1000, v2
	v_med3_i32 v11, v11, 0, 13
	v_lshrrev_b32_e32 v12, v11, v5
	v_lshlrev_b32_e32 v11, v11, v12
	v_cmp_ne_u32_e32 vcc, v11, v5
	v_cndmask_b32_e64 v5, 0, 1, vcc
	v_add_u32_e32 v6, 0xfffffc10, v6
	v_or_b32_e32 v5, v12, v5
	v_lshl_or_b32 v11, v6, 12, v2
	v_cmp_gt_i32_e32 vcc, 1, v6
	v_cndmask_b32_e32 v5, v11, v5, vcc
	v_and_b32_e32 v11, 7, v5
	v_cmp_lt_i32_e32 vcc, 5, v11
	v_cndmask_b32_e64 v12, 0, 1, vcc
	v_cmp_eq_u32_e32 vcc, 3, v11
	v_cndmask_b32_e64 v11, 0, 1, vcc
	v_or_b32_e32 v11, v11, v12
	v_lshrrev_b32_e32 v5, 2, v5
	v_add_u32_e32 v5, v5, v11
	v_cmp_gt_i32_e32 vcc, 31, v6
	v_cndmask_b32_e32 v5, v7, v5, vcc
	v_cmp_ne_u32_e32 vcc, 0, v2
	v_cndmask_b32_e32 v2, v7, v10, vcc
	v_cmp_eq_u32_e32 vcc, s8, v6
	v_cndmask_b32_e32 v2, v5, v2, vcc
	v_lshrrev_b32_e32 v3, 16, v3
	v_and_or_b32 v2, v3, s9, v2
	v_and_b32_e32 v3, 0xffff, v4
	v_lshl_or_b32 v2, v2, 16, v3
	global_store_dword v[8:9], v2, off
.LBB7_1017:
	s_mov_b64 s[6:7], 0
.LBB7_1018:
	s_andn2_b64 vcc, exec, s[6:7]
	s_cbranch_vccnz .LBB7_1027
; %bb.1019:
	s_sext_i32_i16 s8, s14
	s_cmp_lt_i32 s8, 6
	s_mov_b64 s[6:7], -1
	s_cbranch_scc1 .LBB7_1025
; %bb.1020:
	s_cmp_gt_i32 s8, 6
	s_cbranch_scc0 .LBB7_1022
; %bb.1021:
	s_mov_b64 s[6:7], 0
	s_waitcnt vmcnt(0)
	global_store_dwordx2 v[8:9], v[0:1], off
.LBB7_1022:
	s_andn2_b64 vcc, exec, s[6:7]
	s_cbranch_vccnz .LBB7_1024
; %bb.1023:
	s_waitcnt vmcnt(0)
	v_cvt_f32_f64_e32 v2, v[0:1]
	global_store_dword v[8:9], v2, off
.LBB7_1024:
	s_mov_b64 s[6:7], 0
.LBB7_1025:
	s_andn2_b64 vcc, exec, s[6:7]
	s_cbranch_vccnz .LBB7_1027
; %bb.1026:
	s_movk_i32 s6, 0x1ff
	s_waitcnt vmcnt(0)
	v_and_or_b32 v2, v1, s6, v0
	v_cmp_ne_u32_e32 vcc, 0, v2
	v_cndmask_b32_e64 v2, 0, 1, vcc
	v_lshrrev_b32_e32 v3, 8, v1
	s_movk_i32 s6, 0xffe
	v_bfe_u32 v4, v1, 20, 11
	v_and_or_b32 v2, v3, s6, v2
	v_sub_u32_e32 v5, 0x3f1, v4
	v_or_b32_e32 v3, 0x1000, v2
	v_med3_i32 v5, v5, 0, 13
	v_lshrrev_b32_e32 v6, v5, v3
	v_lshlrev_b32_e32 v5, v5, v6
	v_cmp_ne_u32_e32 vcc, v5, v3
	v_cndmask_b32_e64 v3, 0, 1, vcc
	v_add_u32_e32 v4, 0xfffffc10, v4
	v_or_b32_e32 v3, v6, v3
	v_lshl_or_b32 v5, v4, 12, v2
	v_cmp_gt_i32_e32 vcc, 1, v4
	v_cndmask_b32_e32 v3, v5, v3, vcc
	v_and_b32_e32 v5, 7, v3
	v_cmp_lt_i32_e32 vcc, 5, v5
	v_cndmask_b32_e64 v6, 0, 1, vcc
	v_cmp_eq_u32_e32 vcc, 3, v5
	v_cndmask_b32_e64 v5, 0, 1, vcc
	v_or_b32_e32 v5, v5, v6
	v_lshrrev_b32_e32 v3, 2, v3
	v_add_u32_e32 v3, v3, v5
	v_mov_b32_e32 v5, 0x7c00
	v_cmp_gt_i32_e32 vcc, 31, v4
	v_cndmask_b32_e32 v3, v5, v3, vcc
	v_mov_b32_e32 v6, 0x7e00
	v_cmp_ne_u32_e32 vcc, 0, v2
	s_movk_i32 s6, 0x40f
	v_cndmask_b32_e32 v2, v5, v6, vcc
	v_cmp_eq_u32_e32 vcc, s6, v4
	v_cndmask_b32_e32 v2, v3, v2, vcc
	v_lshrrev_b32_e32 v3, 16, v1
	s_mov_b32 s6, 0x8000
	v_and_or_b32 v2, v3, s6, v2
	global_store_short v[8:9], v2, off
.LBB7_1027:
	s_mov_b64 s[6:7], 0
.LBB7_1028:
	s_andn2_b64 vcc, exec, s[6:7]
	s_cbranch_vccnz .LBB7_1044
; %bb.1029:
	s_sext_i32_i16 s8, s14
	s_cmp_lt_i32 s8, 2
	s_mov_b64 s[6:7], -1
	s_cbranch_scc1 .LBB7_1039
; %bb.1030:
	s_cmp_lt_i32 s8, 3
	s_cbranch_scc1 .LBB7_1036
; %bb.1031:
	s_cmp_gt_i32 s8, 3
	s_cbranch_scc0 .LBB7_1033
; %bb.1032:
	s_waitcnt vmcnt(0)
	v_trunc_f64_e32 v[2:3], v[0:1]
	s_movk_i32 s6, 0xffe0
	v_ldexp_f64 v[4:5], v[2:3], s6
	s_mov_b32 s6, 0
	s_mov_b32 s7, 0xc1f00000
	v_floor_f64_e32 v[4:5], v[4:5]
	v_fma_f64 v[2:3], v[4:5], s[6:7], v[2:3]
	v_cvt_i32_f64_e32 v4, v[4:5]
	s_mov_b64 s[6:7], 0
	v_cvt_u32_f64_e32 v3, v[2:3]
	global_store_dwordx2 v[8:9], v[3:4], off
.LBB7_1033:
	s_andn2_b64 vcc, exec, s[6:7]
	s_cbranch_vccnz .LBB7_1035
; %bb.1034:
	s_waitcnt vmcnt(0)
	v_cvt_i32_f64_e32 v2, v[0:1]
	global_store_dword v[8:9], v2, off
.LBB7_1035:
	s_mov_b64 s[6:7], 0
.LBB7_1036:
	s_andn2_b64 vcc, exec, s[6:7]
	s_cbranch_vccnz .LBB7_1038
; %bb.1037:
	s_waitcnt vmcnt(0)
	v_cvt_i32_f64_e32 v2, v[0:1]
	global_store_short v[8:9], v2, off
.LBB7_1038:
	s_mov_b64 s[6:7], 0
.LBB7_1039:
	s_andn2_b64 vcc, exec, s[6:7]
	s_cbranch_vccnz .LBB7_1044
; %bb.1040:
	s_sext_i32_i16 s6, s14
	s_cmp_gt_i32 s6, 0
	s_mov_b64 s[6:7], -1
	s_cbranch_scc0 .LBB7_1042
; %bb.1041:
	s_waitcnt vmcnt(0)
	v_cvt_i32_f64_e32 v2, v[0:1]
	s_mov_b64 s[6:7], 0
	global_store_byte v[8:9], v2, off
.LBB7_1042:
	s_andn2_b64 vcc, exec, s[6:7]
	s_cbranch_vccnz .LBB7_1044
; %bb.1043:
	s_waitcnt vmcnt(0)
	v_trunc_f64_e32 v[0:1], v[0:1]
	s_movk_i32 s6, 0xffe0
	v_ldexp_f64 v[2:3], v[0:1], s6
	s_mov_b32 s6, 0
	s_mov_b32 s7, 0xc1f00000
	v_floor_f64_e32 v[2:3], v[2:3]
	v_fma_f64 v[0:1], v[2:3], s[6:7], v[0:1]
	v_cvt_u32_f64_e32 v0, v[0:1]
	global_store_byte v[8:9], v0, off
.LBB7_1044:
	s_or_b64 exec, exec, s[4:5]
	s_and_b64 s[46:47], s[50:51], exec
                                        ; implicit-def: $vgpr47
.LBB7_1045:
	s_or_saveexec_b64 s[44:45], s[44:45]
	s_mov_b64 s[8:9], 0
                                        ; implicit-def: $sgpr14
                                        ; implicit-def: $vgpr4_vgpr5
                                        ; implicit-def: $vgpr2_vgpr3
	s_xor_b64 exec, exec, s[44:45]
	s_cbranch_execz .LBB7_2014
; %bb.1046:
	v_mul_lo_u32 v39, s35, v47
	s_waitcnt vmcnt(0)
	v_mov_b32_e32 v0, s39
	s_and_b32 s33, 0xffff, s33
	s_cmp_lt_i32 s33, 11
	v_ashrrev_i32_e32 v1, 31, v39
	v_add_co_u32_e32 v4, vcc, s38, v39
	v_addc_co_u32_e32 v5, vcc, v0, v1, vcc
	s_cbranch_scc1 .LBB7_1053
; %bb.1047:
	s_cmp_gt_i32 s33, 25
	s_mov_b64 s[6:7], 0
	s_cbranch_scc0 .LBB7_1055
; %bb.1048:
	s_cmp_gt_i32 s33, 28
	s_cbranch_scc0 .LBB7_1056
; %bb.1049:
	s_cmp_gt_i32 s33, 43
	;; [unrolled: 3-line block ×3, first 2 shown]
	s_cbranch_scc0 .LBB7_1058
; %bb.1051:
	s_cmp_eq_u32 s33, 46
	s_mov_b64 s[10:11], 0
	s_cbranch_scc0 .LBB7_1061
; %bb.1052:
	global_load_dword v0, v[4:5], off
	s_mov_b64 s[4:5], 0
	s_mov_b64 s[8:9], -1
	s_waitcnt vmcnt(0)
	v_and_b32_e32 v2, 0xffff0000, v0
	v_lshlrev_b32_e32 v0, 16, v0
	v_cvt_f64_f32_e32 v[0:1], v0
	v_cvt_f64_f32_e32 v[2:3], v2
	s_branch .LBB7_1063
.LBB7_1053:
                                        ; implicit-def: $vgpr2_vgpr3
	s_mov_b64 s[48:49], s[46:47]
	s_cbranch_execnz .LBB7_1129
.LBB7_1054:
	s_andn2_b64 vcc, exec, s[8:9]
	s_cbranch_vccz .LBB7_1176
	s_branch .LBB7_2012
.LBB7_1055:
	s_mov_b64 s[4:5], 0
                                        ; implicit-def: $vgpr2_vgpr3
	s_cbranch_execnz .LBB7_1095
	s_branch .LBB7_1125
.LBB7_1056:
	s_mov_b64 s[4:5], 0
                                        ; implicit-def: $vgpr2_vgpr3
	s_cbranch_execnz .LBB7_1075
	s_branch .LBB7_1094
.LBB7_1057:
	s_mov_b64 s[10:11], -1
	s_mov_b64 s[4:5], 0
                                        ; implicit-def: $vgpr2_vgpr3
	s_branch .LBB7_1069
.LBB7_1058:
	s_mov_b64 s[10:11], -1
	s_mov_b64 s[4:5], 0
	s_branch .LBB7_1062
.LBB7_1059:
	s_andn2_saveexec_b64 s[10:11], s[10:11]
	s_cbranch_execz .LBB7_958
.LBB7_1060:
	s_mov_b32 s12, 0x46000000
	v_add_f32_e64 v5, |v4|, s12
	v_and_b32_e32 v5, 0xff, v5
	v_cmp_ne_u32_e32 vcc, 0, v5
	s_andn2_b64 s[8:9], s[8:9], exec
	s_and_b64 s[12:13], vcc, exec
	s_or_b64 s[8:9], s[8:9], s[12:13]
	s_or_b64 exec, exec, s[10:11]
	v_mov_b32_e32 v6, 0
	s_and_saveexec_b64 s[10:11], s[8:9]
	s_cbranch_execnz .LBB7_959
	s_branch .LBB7_960
.LBB7_1061:
	s_mov_b64 s[4:5], -1
.LBB7_1062:
                                        ; implicit-def: $vgpr2_vgpr3
.LBB7_1063:
	s_and_b64 vcc, exec, s[10:11]
	s_cbranch_vccz .LBB7_1068
; %bb.1064:
	s_cmp_eq_u32 s33, 44
	s_cbranch_scc0 .LBB7_1066
; %bb.1065:
	global_load_ubyte v2, v[4:5], off
	s_movk_i32 s8, 0xff
	v_bfrev_b32_e32 v3, 4
	v_mov_b32_e32 v6, 0x7ff80000
	v_bfrev_b32_e32 v7, 28
	s_mov_b64 s[4:5], 0
	s_waitcnt vmcnt(0)
	v_lshlrev_b32_e32 v0, 23, v2
	v_cvt_f64_f32_e32 v[0:1], v0
	v_cmp_ne_u32_e32 vcc, s8, v2
	s_mov_b64 s[8:9], -1
	v_cndmask_b32_e32 v0, v3, v0, vcc
	v_cndmask_b32_e32 v1, v6, v1, vcc
	v_cmp_ne_u32_e32 vcc, 0, v2
	v_cndmask_b32_e32 v1, v7, v1, vcc
	v_cndmask_b32_e32 v0, 0, v0, vcc
	s_branch .LBB7_1067
.LBB7_1066:
	s_mov_b64 s[4:5], -1
                                        ; implicit-def: $vgpr0_vgpr1
.LBB7_1067:
	v_mov_b32_e32 v2, 0
	v_mov_b32_e32 v3, 0
.LBB7_1068:
	s_mov_b64 s[10:11], 0
.LBB7_1069:
	s_and_b64 vcc, exec, s[10:11]
	s_cbranch_vccz .LBB7_1074
; %bb.1070:
	s_cmp_eq_u32 s33, 29
	s_cbranch_scc0 .LBB7_1072
; %bb.1071:
	global_load_dwordx2 v[0:1], v[4:5], off
	s_mov_b64 s[4:5], 0
	s_mov_b64 s[8:9], -1
	s_waitcnt vmcnt(0)
	v_cvt_f64_u32_e32 v[1:2], v1
	v_cvt_f64_u32_e32 v[6:7], v0
	v_ldexp_f64 v[1:2], v[1:2], 32
	v_add_f64 v[0:1], v[1:2], v[6:7]
	s_branch .LBB7_1073
.LBB7_1072:
	s_mov_b64 s[4:5], -1
                                        ; implicit-def: $vgpr0_vgpr1
.LBB7_1073:
	v_mov_b32_e32 v2, 0
	v_mov_b32_e32 v3, 0
.LBB7_1074:
	s_branch .LBB7_1094
.LBB7_1075:
	s_cmp_lt_i32 s33, 27
	s_cbranch_scc1 .LBB7_1078
; %bb.1076:
	s_cmp_gt_i32 s33, 27
	s_cbranch_scc0 .LBB7_1079
; %bb.1077:
	global_load_dword v0, v[4:5], off
	s_mov_b64 s[8:9], 0
	s_waitcnt vmcnt(0)
	v_cvt_f64_u32_e32 v[0:1], v0
	s_branch .LBB7_1080
.LBB7_1078:
	s_mov_b64 s[8:9], -1
                                        ; implicit-def: $vgpr0_vgpr1
	s_branch .LBB7_1083
.LBB7_1079:
	s_mov_b64 s[8:9], -1
                                        ; implicit-def: $vgpr0_vgpr1
.LBB7_1080:
	s_andn2_b64 vcc, exec, s[8:9]
	s_cbranch_vccnz .LBB7_1082
; %bb.1081:
	global_load_ushort v0, v[4:5], off
	s_waitcnt vmcnt(0)
	v_cvt_f64_u32_e32 v[0:1], v0
.LBB7_1082:
	s_mov_b64 s[8:9], 0
.LBB7_1083:
	s_andn2_b64 vcc, exec, s[8:9]
	s_cbranch_vccnz .LBB7_1093
; %bb.1084:
	global_load_ubyte v2, v[4:5], off
	s_movk_i32 s8, 0x7f
	s_waitcnt vmcnt(0)
	v_cmp_lt_i16_e32 vcc, s8, v2
	s_mov_b64 s[8:9], 0
	s_and_saveexec_b64 s[10:11], vcc
	s_xor_b64 s[10:11], exec, s[10:11]
	s_cbranch_execz .LBB7_1088
; %bb.1085:
	s_movk_i32 s8, 0x80
	v_cmp_eq_u16_e32 vcc, s8, v2
	s_mov_b64 s[8:9], -1
	s_and_saveexec_b64 s[12:13], vcc
; %bb.1086:
	s_xor_b64 s[8:9], exec, -1
; %bb.1087:
	s_or_b64 exec, exec, s[12:13]
	s_and_b64 s[8:9], s[8:9], exec
.LBB7_1088:
	s_or_saveexec_b64 s[10:11], s[10:11]
	v_bfrev_b32_e32 v0, 4
	v_mov_b32_e32 v1, 0x7ff80000
	s_xor_b64 exec, exec, s[10:11]
; %bb.1089:
	v_cmp_ne_u16_e32 vcc, 0, v2
	v_mov_b32_e32 v0, 0
	s_andn2_b64 s[8:9], s[8:9], exec
	s_and_b64 s[12:13], vcc, exec
	v_mov_b32_e32 v1, 0
	s_or_b64 s[8:9], s[8:9], s[12:13]
; %bb.1090:
	s_or_b64 exec, exec, s[10:11]
	s_and_saveexec_b64 s[10:11], s[8:9]
	s_cbranch_execz .LBB7_1092
; %bb.1091:
	v_and_b32_e32 v1, 0xffff, v2
	v_lshlrev_b32_e32 v0, 24, v2
	v_and_b32_e32 v2, 7, v1
	v_ffbh_u32_e32 v6, v2
	v_min_u32_e32 v6, 32, v6
	v_subrev_u32_e32 v7, 28, v6
	v_bfe_u32 v3, v1, 3, 4
	v_lshlrev_b32_e32 v1, v7, v1
	v_sub_u32_e32 v6, 29, v6
	v_and_b32_e32 v1, 7, v1
	v_cmp_eq_u32_e32 vcc, 0, v3
	v_cndmask_b32_e32 v3, v3, v6, vcc
	v_cndmask_b32_e32 v1, v2, v1, vcc
	v_mov_b32_e32 v2, 0x3b800000
	v_lshlrev_b32_e32 v1, 20, v1
	v_and_b32_e32 v0, 0x80000000, v0
	v_lshl_add_u32 v2, v3, 23, v2
	v_or3_b32 v0, v0, v2, v1
	v_cvt_f64_f32_e32 v[0:1], v0
.LBB7_1092:
	s_or_b64 exec, exec, s[10:11]
.LBB7_1093:
	v_mov_b32_e32 v2, 0
	v_mov_b32_e32 v3, 0
	s_mov_b64 s[8:9], -1
.LBB7_1094:
	s_branch .LBB7_1125
.LBB7_1095:
	s_cmp_gt_i32 s33, 22
	s_cbranch_scc0 .LBB7_1107
; %bb.1096:
	s_cmp_lt_i32 s33, 24
	s_cbranch_scc1 .LBB7_1108
; %bb.1097:
	s_cmp_gt_i32 s33, 24
	s_cbranch_scc0 .LBB7_1109
; %bb.1098:
	global_load_ubyte v2, v[4:5], off
	s_movk_i32 s6, 0x7f
	s_waitcnt vmcnt(0)
	v_cmp_lt_i16_e32 vcc, s6, v2
	s_mov_b64 s[6:7], 0
	s_and_saveexec_b64 s[8:9], vcc
	s_xor_b64 s[8:9], exec, s[8:9]
	s_cbranch_execz .LBB7_1102
; %bb.1099:
	s_movk_i32 s6, 0x80
	v_cmp_eq_u16_e32 vcc, s6, v2
	s_mov_b64 s[6:7], -1
	s_and_saveexec_b64 s[10:11], vcc
; %bb.1100:
	s_xor_b64 s[6:7], exec, -1
; %bb.1101:
	s_or_b64 exec, exec, s[10:11]
	s_and_b64 s[6:7], s[6:7], exec
.LBB7_1102:
	s_or_saveexec_b64 s[8:9], s[8:9]
	v_bfrev_b32_e32 v0, 4
	v_mov_b32_e32 v1, 0x7ff80000
	s_xor_b64 exec, exec, s[8:9]
; %bb.1103:
	v_cmp_ne_u16_e32 vcc, 0, v2
	v_mov_b32_e32 v0, 0
	s_andn2_b64 s[6:7], s[6:7], exec
	s_and_b64 s[10:11], vcc, exec
	v_mov_b32_e32 v1, 0
	s_or_b64 s[6:7], s[6:7], s[10:11]
; %bb.1104:
	s_or_b64 exec, exec, s[8:9]
	s_and_saveexec_b64 s[8:9], s[6:7]
	s_cbranch_execz .LBB7_1106
; %bb.1105:
	v_and_b32_e32 v1, 0xffff, v2
	v_lshlrev_b32_e32 v0, 24, v2
	v_and_b32_e32 v2, 3, v1
	v_ffbh_u32_e32 v6, v2
	v_min_u32_e32 v6, 32, v6
	v_subrev_u32_e32 v7, 29, v6
	v_bfe_u32 v3, v1, 2, 5
	v_lshlrev_b32_e32 v1, v7, v1
	v_sub_u32_e32 v6, 30, v6
	v_and_b32_e32 v1, 3, v1
	v_cmp_eq_u32_e32 vcc, 0, v3
	v_cndmask_b32_e32 v3, v3, v6, vcc
	v_cndmask_b32_e32 v1, v2, v1, vcc
	v_mov_b32_e32 v2, 0x37800000
	v_lshlrev_b32_e32 v1, 21, v1
	v_and_b32_e32 v0, 0x80000000, v0
	v_lshl_add_u32 v2, v3, 23, v2
	v_or3_b32 v0, v0, v2, v1
	v_cvt_f64_f32_e32 v[0:1], v0
.LBB7_1106:
	s_or_b64 exec, exec, s[8:9]
	s_mov_b64 s[6:7], 0
	s_branch .LBB7_1110
.LBB7_1107:
                                        ; implicit-def: $vgpr0_vgpr1
	s_mov_b64 s[6:7], 0
	s_branch .LBB7_1116
.LBB7_1108:
	s_mov_b64 s[6:7], -1
                                        ; implicit-def: $vgpr0_vgpr1
	s_branch .LBB7_1113
.LBB7_1109:
	s_mov_b64 s[6:7], -1
                                        ; implicit-def: $vgpr0_vgpr1
.LBB7_1110:
	s_and_b64 vcc, exec, s[6:7]
	s_cbranch_vccz .LBB7_1112
; %bb.1111:
	global_load_ubyte v0, v[4:5], off
	s_mov_b32 s6, 0x7f800000
	s_waitcnt vmcnt(0)
	v_lshlrev_b32_e32 v0, 24, v0
	v_and_b32_e32 v1, 0x7f000000, v0
	v_ffbh_u32_e32 v2, v1
	v_min_u32_e32 v2, 32, v2
	v_sub_u32_e64 v2, v2, 4 clamp
	v_lshlrev_b32_e32 v6, v2, v1
	v_lshlrev_b32_e32 v2, 23, v2
	v_lshrrev_b32_e32 v6, 4, v6
	v_add_u32_e32 v3, 0x1000000, v1
	v_sub_u32_e32 v2, v6, v2
	v_ashrrev_i32_e32 v3, 8, v3
	v_add_u32_e32 v2, 0x3c000000, v2
	v_and_or_b32 v2, v3, s6, v2
	v_cmp_ne_u32_e32 vcc, 0, v1
	v_cndmask_b32_e32 v1, 0, v2, vcc
	s_brev_b32 s6, 1
	v_and_or_b32 v0, v0, s6, v1
	v_cvt_f64_f32_e32 v[0:1], v0
.LBB7_1112:
	s_mov_b64 s[6:7], 0
.LBB7_1113:
	s_andn2_b64 vcc, exec, s[6:7]
	s_cbranch_vccnz .LBB7_1115
; %bb.1114:
	global_load_ubyte v0, v[4:5], off
	s_movk_i32 s6, 0x7f00
	s_brev_b32 s7, 16
	s_waitcnt vmcnt(0)
	v_lshlrev_b16_e32 v1, 8, v0
	v_lshlrev_b32_e32 v0, 25, v0
	v_lshrrev_b32_e32 v2, 4, v0
	v_and_or_b32 v3, v1, s6, 0.5
	v_or_b32_e32 v2, 0x70000000, v2
	v_add_f32_e32 v3, -0.5, v3
	v_mul_f32_e32 v2, 0x7800000, v2
	v_cmp_gt_u32_e32 vcc, s7, v0
	v_bfe_i32 v1, v1, 0, 16
	v_cndmask_b32_e32 v0, v2, v3, vcc
	s_brev_b32 s6, 1
	v_and_or_b32 v0, v1, s6, v0
	v_cvt_f64_f32_e32 v[0:1], v0
.LBB7_1115:
	s_mov_b64 s[8:9], -1
	s_mov_b64 s[6:7], 0
	s_cbranch_execnz .LBB7_1124
.LBB7_1116:
	s_cmp_gt_i32 s33, 14
	s_cbranch_scc0 .LBB7_1119
; %bb.1117:
	s_cmp_eq_u32 s33, 15
	s_cbranch_scc0 .LBB7_1120
; %bb.1118:
	global_load_ushort v0, v[4:5], off
	s_mov_b64 s[4:5], 0
	s_mov_b64 s[8:9], -1
	s_waitcnt vmcnt(0)
	v_lshlrev_b32_e32 v0, 16, v0
	v_cvt_f64_f32_e32 v[0:1], v0
	s_branch .LBB7_1121
.LBB7_1119:
	s_mov_b64 s[10:11], -1
                                        ; implicit-def: $vgpr0_vgpr1
	s_branch .LBB7_1122
.LBB7_1120:
	s_mov_b64 s[4:5], -1
                                        ; implicit-def: $vgpr0_vgpr1
.LBB7_1121:
	s_mov_b64 s[10:11], 0
.LBB7_1122:
	s_and_b64 vcc, exec, s[10:11]
	s_cbranch_vccz .LBB7_1124
; %bb.1123:
	s_cmp_lg_u32 s33, 11
	s_mov_b64 s[6:7], -1
	s_cselect_b64 s[4:5], -1, 0
.LBB7_1124:
	v_mov_b32_e32 v2, 0
	v_mov_b32_e32 v3, 0
.LBB7_1125:
	s_and_b64 vcc, exec, s[4:5]
	s_mov_b64 s[48:49], s[46:47]
	s_cbranch_vccnz .LBB7_1188
; %bb.1126:
	s_andn2_b64 vcc, exec, s[6:7]
	s_cbranch_vccnz .LBB7_1128
.LBB7_1127:
	global_load_ubyte v1, v[4:5], off
	v_mov_b32_e32 v6, 0x3ff00000
	v_mov_b32_e32 v2, 0
	;; [unrolled: 1-line block ×4, first 2 shown]
	s_mov_b64 s[8:9], -1
	s_waitcnt vmcnt(0)
	v_cmp_ne_u16_e32 vcc, 0, v1
	v_cndmask_b32_e32 v1, 0, v6, vcc
.LBB7_1128:
	s_branch .LBB7_1054
.LBB7_1129:
	s_cmp_lt_i32 s33, 5
	s_cbranch_scc1 .LBB7_1134
; %bb.1130:
	s_cmp_lt_i32 s33, 8
	s_cbranch_scc1 .LBB7_1136
; %bb.1131:
	;; [unrolled: 3-line block ×3, first 2 shown]
	s_cmp_gt_i32 s33, 9
	s_cbranch_scc0 .LBB7_1138
; %bb.1133:
	global_load_dwordx4 v[0:3], v[4:5], off
	s_mov_b64 s[4:5], 0
	s_branch .LBB7_1139
.LBB7_1134:
                                        ; implicit-def: $vgpr2_vgpr3
	s_branch .LBB7_1157
.LBB7_1135:
	s_branch .LBB7_1176
.LBB7_1136:
                                        ; implicit-def: $vgpr2_vgpr3
	s_branch .LBB7_1145
.LBB7_1137:
	s_mov_b64 s[4:5], -1
                                        ; implicit-def: $vgpr2_vgpr3
	s_branch .LBB7_1142
.LBB7_1138:
	s_mov_b64 s[4:5], -1
                                        ; implicit-def: $vgpr2_vgpr3
.LBB7_1139:
	s_andn2_b64 vcc, exec, s[4:5]
	s_cbranch_vccnz .LBB7_1141
; %bb.1140:
	global_load_dwordx2 v[1:2], v[4:5], off
	s_waitcnt vmcnt(0)
	v_cvt_f64_f32_e32 v[0:1], v1
	v_cvt_f64_f32_e32 v[2:3], v2
.LBB7_1141:
	s_mov_b64 s[4:5], 0
.LBB7_1142:
	s_andn2_b64 vcc, exec, s[4:5]
	s_cbranch_vccnz .LBB7_1144
; %bb.1143:
	global_load_dword v0, v[4:5], off
	s_waitcnt vmcnt(0)
	v_cvt_f32_f16_e32 v1, v0
	v_cvt_f32_f16_sdwa v2, v0 dst_sel:DWORD dst_unused:UNUSED_PAD src0_sel:WORD_1
	v_cvt_f64_f32_e32 v[0:1], v1
	v_cvt_f64_f32_e32 v[2:3], v2
.LBB7_1144:
	s_cbranch_execnz .LBB7_1156
.LBB7_1145:
	s_cmp_lt_i32 s33, 6
	s_cbranch_scc1 .LBB7_1148
; %bb.1146:
	s_cmp_gt_i32 s33, 6
	s_cbranch_scc0 .LBB7_1149
; %bb.1147:
	global_load_dwordx2 v[0:1], v[4:5], off
	s_mov_b64 s[4:5], 0
	s_branch .LBB7_1150
.LBB7_1148:
	s_mov_b64 s[4:5], -1
                                        ; implicit-def: $vgpr0_vgpr1
	s_branch .LBB7_1153
.LBB7_1149:
	s_mov_b64 s[4:5], -1
                                        ; implicit-def: $vgpr0_vgpr1
.LBB7_1150:
	s_andn2_b64 vcc, exec, s[4:5]
	s_cbranch_vccnz .LBB7_1152
; %bb.1151:
	global_load_dword v0, v[4:5], off
	s_waitcnt vmcnt(0)
	v_cvt_f64_f32_e32 v[0:1], v0
.LBB7_1152:
	s_mov_b64 s[4:5], 0
.LBB7_1153:
	s_andn2_b64 vcc, exec, s[4:5]
	s_cbranch_vccnz .LBB7_1155
; %bb.1154:
	global_load_ushort v0, v[4:5], off
	s_waitcnt vmcnt(0)
	v_cvt_f32_f16_e32 v0, v0
	v_cvt_f64_f32_e32 v[0:1], v0
.LBB7_1155:
	s_waitcnt vmcnt(0)
	v_mov_b32_e32 v2, 0
	v_mov_b32_e32 v3, 0
.LBB7_1156:
	s_cbranch_execnz .LBB7_1135
.LBB7_1157:
	s_cmp_lt_i32 s33, 2
	s_cbranch_scc1 .LBB7_1161
; %bb.1158:
	s_cmp_lt_i32 s33, 3
	s_cbranch_scc1 .LBB7_1162
; %bb.1159:
	s_cmp_gt_i32 s33, 3
	s_cbranch_scc0 .LBB7_1163
; %bb.1160:
	global_load_dwordx2 v[0:1], v[4:5], off
	s_mov_b64 s[4:5], 0
	s_waitcnt vmcnt(0)
	v_cvt_f64_i32_e32 v[1:2], v1
	v_cvt_f64_u32_e32 v[6:7], v0
	v_ldexp_f64 v[1:2], v[1:2], 32
	v_add_f64 v[0:1], v[1:2], v[6:7]
	s_branch .LBB7_1164
.LBB7_1161:
                                        ; implicit-def: $vgpr0_vgpr1
	s_branch .LBB7_1170
.LBB7_1162:
	s_mov_b64 s[4:5], -1
                                        ; implicit-def: $vgpr0_vgpr1
	s_branch .LBB7_1167
.LBB7_1163:
	s_mov_b64 s[4:5], -1
                                        ; implicit-def: $vgpr0_vgpr1
.LBB7_1164:
	s_andn2_b64 vcc, exec, s[4:5]
	s_cbranch_vccnz .LBB7_1166
; %bb.1165:
	global_load_dword v0, v[4:5], off
	s_waitcnt vmcnt(0)
	v_cvt_f64_i32_e32 v[0:1], v0
.LBB7_1166:
	s_mov_b64 s[4:5], 0
.LBB7_1167:
	s_andn2_b64 vcc, exec, s[4:5]
	s_cbranch_vccnz .LBB7_1169
; %bb.1168:
	global_load_sshort v0, v[4:5], off
	s_waitcnt vmcnt(0)
	v_cvt_f64_i32_e32 v[0:1], v0
.LBB7_1169:
	s_cbranch_execnz .LBB7_1175
.LBB7_1170:
	s_cmp_gt_i32 s33, 0
	s_cbranch_scc0 .LBB7_1172
; %bb.1171:
	global_load_sbyte v0, v[4:5], off
	s_mov_b64 s[4:5], 0
	s_waitcnt vmcnt(0)
	v_cvt_f64_i32_e32 v[0:1], v0
	s_branch .LBB7_1173
.LBB7_1172:
	s_mov_b64 s[4:5], -1
                                        ; implicit-def: $vgpr0_vgpr1
.LBB7_1173:
	s_andn2_b64 vcc, exec, s[4:5]
	s_cbranch_vccnz .LBB7_1175
; %bb.1174:
	global_load_ubyte v0, v[4:5], off
	s_waitcnt vmcnt(0)
	v_cvt_f64_u32_e32 v[0:1], v0
.LBB7_1175:
	s_waitcnt vmcnt(0)
	v_mov_b32_e32 v2, 0
	v_mov_b32_e32 v3, 0
.LBB7_1176:
	s_getpc_b64 s[4:5]
	s_add_u32 s4, s4, _ZZZZN2at6native16asin_kernel_cudaERNS_18TensorIteratorBaseEENKUlvE_clEvENKUlvE_clEvENKUlN3c107complexIdEEE_clES7_@rel32@lo+4
	s_addc_u32 s5, s5, _ZZZZN2at6native16asin_kernel_cudaERNS_18TensorIteratorBaseEENKUlvE_clEvENKUlvE_clEvENKUlN3c107complexIdEEE_clES7_@rel32@hi+12
	s_swappc_b64 s[30:31], s[4:5]
	s_lshl_b32 s35, s35, 7
	v_add_u32_e32 v39, s35, v39
	v_mov_b32_e32 v50, v0
	v_mov_b32_e32 v51, v1
	v_ashrrev_i32_e32 v0, 31, v39
	v_mov_b32_e32 v1, s39
	v_add_co_u32_e32 v4, vcc, s38, v39
	v_mov_b32_e32 v52, v2
	v_mov_b32_e32 v53, v3
	s_cmp_lt_i32 s33, 11
	v_addc_co_u32_e32 v5, vcc, v1, v0, vcc
	s_cbranch_scc1 .LBB7_1183
; %bb.1177:
	s_cmp_gt_i32 s33, 25
	s_mov_b64 s[6:7], 0
	s_cbranch_scc0 .LBB7_1185
; %bb.1178:
	s_cmp_gt_i32 s33, 28
	s_cbranch_scc0 .LBB7_1186
; %bb.1179:
	s_cmp_gt_i32 s33, 43
	;; [unrolled: 3-line block ×3, first 2 shown]
	s_cbranch_scc0 .LBB7_1189
; %bb.1181:
	s_cmp_eq_u32 s33, 46
	s_mov_b64 s[10:11], 0
	s_cbranch_scc0 .LBB7_1192
; %bb.1182:
	global_load_dword v0, v[4:5], off
	s_mov_b64 s[4:5], 0
	s_mov_b64 s[8:9], -1
	s_waitcnt vmcnt(0)
	v_and_b32_e32 v2, 0xffff0000, v0
	v_lshlrev_b32_e32 v0, 16, v0
	v_cvt_f64_f32_e32 v[0:1], v0
	v_cvt_f64_f32_e32 v[2:3], v2
	s_branch .LBB7_1193
.LBB7_1183:
	s_mov_b64 s[8:9], 0
                                        ; implicit-def: $vgpr2_vgpr3
	s_cbranch_execnz .LBB7_1261
.LBB7_1184:
	s_andn2_b64 vcc, exec, s[8:9]
	s_cbranch_vccnz .LBB7_2012
	s_branch .LBB7_1310
.LBB7_1185:
	s_mov_b64 s[8:9], 0
	s_mov_b64 s[4:5], 0
                                        ; implicit-def: $vgpr2_vgpr3
	s_cbranch_execnz .LBB7_1226
	s_branch .LBB7_1257
.LBB7_1186:
	s_mov_b64 s[10:11], -1
	s_mov_b64 s[8:9], 0
	s_mov_b64 s[4:5], 0
                                        ; implicit-def: $vgpr2_vgpr3
	s_branch .LBB7_1205
.LBB7_1187:
	s_mov_b64 s[10:11], -1
	s_mov_b64 s[8:9], 0
	s_mov_b64 s[4:5], 0
                                        ; implicit-def: $vgpr2_vgpr3
	s_branch .LBB7_1199
.LBB7_1188:
	s_trap 2
	s_or_b64 s[48:49], s[46:47], exec
	s_cbranch_execz .LBB7_1127
	s_branch .LBB7_1128
.LBB7_1189:
	s_mov_b64 s[10:11], -1
	s_mov_b64 s[8:9], 0
	s_mov_b64 s[4:5], 0
                                        ; implicit-def: $vgpr2_vgpr3
	s_branch .LBB7_1193
.LBB7_1190:
	s_andn2_saveexec_b64 s[12:13], s[12:13]
	s_cbranch_execz .LBB7_970
.LBB7_1191:
	s_mov_b32 s16, 0x42800000
	v_add_f32_e64 v5, |v4|, s16
	v_and_b32_e32 v5, 0xff, v5
	v_cmp_ne_u32_e32 vcc, 0, v5
	s_andn2_b64 s[10:11], s[10:11], exec
	s_and_b64 s[16:17], vcc, exec
	s_or_b64 s[10:11], s[10:11], s[16:17]
	s_or_b64 exec, exec, s[12:13]
	v_mov_b32_e32 v6, 0
	s_and_saveexec_b64 s[12:13], s[10:11]
	s_cbranch_execnz .LBB7_971
	s_branch .LBB7_972
.LBB7_1192:
	s_mov_b64 s[4:5], -1
                                        ; implicit-def: $vgpr2_vgpr3
	s_mov_b64 s[8:9], 0
.LBB7_1193:
	s_and_b64 vcc, exec, s[10:11]
	s_cbranch_vccz .LBB7_1198
; %bb.1194:
	s_cmp_eq_u32 s33, 44
	s_cbranch_scc0 .LBB7_1196
; %bb.1195:
	global_load_ubyte v2, v[4:5], off
	s_movk_i32 s8, 0xff
	v_bfrev_b32_e32 v3, 4
	v_mov_b32_e32 v6, 0x7ff80000
	v_bfrev_b32_e32 v7, 28
	s_mov_b64 s[4:5], 0
	s_waitcnt vmcnt(0)
	v_lshlrev_b32_e32 v0, 23, v2
	v_cvt_f64_f32_e32 v[0:1], v0
	v_cmp_ne_u32_e32 vcc, s8, v2
	s_mov_b64 s[8:9], -1
	v_cndmask_b32_e32 v0, v3, v0, vcc
	v_cndmask_b32_e32 v1, v6, v1, vcc
	v_cmp_ne_u32_e32 vcc, 0, v2
	v_cndmask_b32_e32 v1, v7, v1, vcc
	v_cndmask_b32_e32 v0, 0, v0, vcc
	s_branch .LBB7_1197
.LBB7_1196:
	s_mov_b64 s[4:5], -1
                                        ; implicit-def: $vgpr0_vgpr1
.LBB7_1197:
	v_mov_b32_e32 v2, 0
	v_mov_b32_e32 v3, 0
.LBB7_1198:
	s_mov_b64 s[10:11], 0
.LBB7_1199:
	s_and_b64 vcc, exec, s[10:11]
	s_cbranch_vccz .LBB7_1204
; %bb.1200:
	s_cmp_eq_u32 s33, 29
	s_cbranch_scc0 .LBB7_1202
; %bb.1201:
	global_load_dwordx2 v[0:1], v[4:5], off
	s_mov_b64 s[4:5], 0
	s_mov_b64 s[8:9], -1
	s_waitcnt vmcnt(0)
	v_cvt_f64_u32_e32 v[1:2], v1
	v_cvt_f64_u32_e32 v[6:7], v0
	v_ldexp_f64 v[1:2], v[1:2], 32
	v_add_f64 v[0:1], v[1:2], v[6:7]
	s_branch .LBB7_1203
.LBB7_1202:
	s_mov_b64 s[4:5], -1
                                        ; implicit-def: $vgpr0_vgpr1
.LBB7_1203:
	v_mov_b32_e32 v2, 0
	v_mov_b32_e32 v3, 0
.LBB7_1204:
	s_mov_b64 s[10:11], 0
.LBB7_1205:
	s_and_b64 vcc, exec, s[10:11]
	s_cbranch_vccz .LBB7_1225
; %bb.1206:
	s_cmp_lt_i32 s33, 27
	s_cbranch_scc1 .LBB7_1209
; %bb.1207:
	s_cmp_gt_i32 s33, 27
	s_cbranch_scc0 .LBB7_1210
; %bb.1208:
	global_load_dword v0, v[4:5], off
	s_mov_b64 s[8:9], 0
	s_waitcnt vmcnt(0)
	v_cvt_f64_u32_e32 v[0:1], v0
	s_branch .LBB7_1211
.LBB7_1209:
	s_mov_b64 s[8:9], -1
                                        ; implicit-def: $vgpr0_vgpr1
	s_branch .LBB7_1214
.LBB7_1210:
	s_mov_b64 s[8:9], -1
                                        ; implicit-def: $vgpr0_vgpr1
.LBB7_1211:
	s_andn2_b64 vcc, exec, s[8:9]
	s_cbranch_vccnz .LBB7_1213
; %bb.1212:
	global_load_ushort v0, v[4:5], off
	s_waitcnt vmcnt(0)
	v_cvt_f64_u32_e32 v[0:1], v0
.LBB7_1213:
	s_mov_b64 s[8:9], 0
.LBB7_1214:
	s_andn2_b64 vcc, exec, s[8:9]
	s_cbranch_vccnz .LBB7_1224
; %bb.1215:
	global_load_ubyte v2, v[4:5], off
	s_movk_i32 s8, 0x7f
	s_waitcnt vmcnt(0)
	v_cmp_lt_i16_e32 vcc, s8, v2
	s_mov_b64 s[8:9], 0
	s_and_saveexec_b64 s[10:11], vcc
	s_xor_b64 s[10:11], exec, s[10:11]
	s_cbranch_execz .LBB7_1219
; %bb.1216:
	s_movk_i32 s8, 0x80
	v_cmp_eq_u16_e32 vcc, s8, v2
	s_mov_b64 s[8:9], -1
	s_and_saveexec_b64 s[12:13], vcc
; %bb.1217:
	s_xor_b64 s[8:9], exec, -1
; %bb.1218:
	s_or_b64 exec, exec, s[12:13]
	s_and_b64 s[8:9], s[8:9], exec
.LBB7_1219:
	s_or_saveexec_b64 s[10:11], s[10:11]
	v_bfrev_b32_e32 v0, 4
	v_mov_b32_e32 v1, 0x7ff80000
	s_xor_b64 exec, exec, s[10:11]
; %bb.1220:
	v_cmp_ne_u16_e32 vcc, 0, v2
	v_mov_b32_e32 v0, 0
	s_andn2_b64 s[8:9], s[8:9], exec
	s_and_b64 s[12:13], vcc, exec
	v_mov_b32_e32 v1, 0
	s_or_b64 s[8:9], s[8:9], s[12:13]
; %bb.1221:
	s_or_b64 exec, exec, s[10:11]
	s_and_saveexec_b64 s[10:11], s[8:9]
	s_cbranch_execz .LBB7_1223
; %bb.1222:
	v_and_b32_e32 v1, 0xffff, v2
	v_lshlrev_b32_e32 v0, 24, v2
	v_and_b32_e32 v2, 7, v1
	v_ffbh_u32_e32 v6, v2
	v_min_u32_e32 v6, 32, v6
	v_subrev_u32_e32 v7, 28, v6
	v_bfe_u32 v3, v1, 3, 4
	v_lshlrev_b32_e32 v1, v7, v1
	v_sub_u32_e32 v6, 29, v6
	v_and_b32_e32 v1, 7, v1
	v_cmp_eq_u32_e32 vcc, 0, v3
	v_cndmask_b32_e32 v3, v3, v6, vcc
	v_cndmask_b32_e32 v1, v2, v1, vcc
	v_mov_b32_e32 v2, 0x3b800000
	v_lshlrev_b32_e32 v1, 20, v1
	v_and_b32_e32 v0, 0x80000000, v0
	v_lshl_add_u32 v2, v3, 23, v2
	v_or3_b32 v0, v0, v2, v1
	v_cvt_f64_f32_e32 v[0:1], v0
.LBB7_1223:
	s_or_b64 exec, exec, s[10:11]
.LBB7_1224:
	v_mov_b32_e32 v2, 0
	v_mov_b32_e32 v3, 0
	s_mov_b64 s[8:9], -1
.LBB7_1225:
	s_branch .LBB7_1257
.LBB7_1226:
	s_cmp_gt_i32 s33, 22
	s_cbranch_scc0 .LBB7_1238
; %bb.1227:
	s_cmp_lt_i32 s33, 24
	s_cbranch_scc1 .LBB7_1239
; %bb.1228:
	s_cmp_gt_i32 s33, 24
	s_cbranch_scc0 .LBB7_1240
; %bb.1229:
	global_load_ubyte v2, v[4:5], off
	s_movk_i32 s6, 0x7f
	s_waitcnt vmcnt(0)
	v_cmp_lt_i16_e32 vcc, s6, v2
	s_mov_b64 s[6:7], 0
	s_and_saveexec_b64 s[8:9], vcc
	s_xor_b64 s[8:9], exec, s[8:9]
	s_cbranch_execz .LBB7_1233
; %bb.1230:
	s_movk_i32 s6, 0x80
	v_cmp_eq_u16_e32 vcc, s6, v2
	s_mov_b64 s[6:7], -1
	s_and_saveexec_b64 s[10:11], vcc
; %bb.1231:
	s_xor_b64 s[6:7], exec, -1
; %bb.1232:
	s_or_b64 exec, exec, s[10:11]
	s_and_b64 s[6:7], s[6:7], exec
.LBB7_1233:
	s_or_saveexec_b64 s[8:9], s[8:9]
	v_bfrev_b32_e32 v0, 4
	v_mov_b32_e32 v1, 0x7ff80000
	s_xor_b64 exec, exec, s[8:9]
; %bb.1234:
	v_cmp_ne_u16_e32 vcc, 0, v2
	v_mov_b32_e32 v0, 0
	s_andn2_b64 s[6:7], s[6:7], exec
	s_and_b64 s[10:11], vcc, exec
	v_mov_b32_e32 v1, 0
	s_or_b64 s[6:7], s[6:7], s[10:11]
; %bb.1235:
	s_or_b64 exec, exec, s[8:9]
	s_and_saveexec_b64 s[8:9], s[6:7]
	s_cbranch_execz .LBB7_1237
; %bb.1236:
	v_and_b32_e32 v1, 0xffff, v2
	v_lshlrev_b32_e32 v0, 24, v2
	v_and_b32_e32 v2, 3, v1
	v_ffbh_u32_e32 v6, v2
	v_min_u32_e32 v6, 32, v6
	v_subrev_u32_e32 v7, 29, v6
	v_bfe_u32 v3, v1, 2, 5
	v_lshlrev_b32_e32 v1, v7, v1
	v_sub_u32_e32 v6, 30, v6
	v_and_b32_e32 v1, 3, v1
	v_cmp_eq_u32_e32 vcc, 0, v3
	v_cndmask_b32_e32 v3, v3, v6, vcc
	v_cndmask_b32_e32 v1, v2, v1, vcc
	v_mov_b32_e32 v2, 0x37800000
	v_lshlrev_b32_e32 v1, 21, v1
	v_and_b32_e32 v0, 0x80000000, v0
	v_lshl_add_u32 v2, v3, 23, v2
	v_or3_b32 v0, v0, v2, v1
	v_cvt_f64_f32_e32 v[0:1], v0
.LBB7_1237:
	s_or_b64 exec, exec, s[8:9]
	s_mov_b64 s[6:7], 0
	s_branch .LBB7_1241
.LBB7_1238:
	s_mov_b64 s[6:7], -1
                                        ; implicit-def: $vgpr0_vgpr1
	s_branch .LBB7_1247
.LBB7_1239:
	s_mov_b64 s[6:7], -1
                                        ; implicit-def: $vgpr0_vgpr1
	s_branch .LBB7_1244
.LBB7_1240:
	s_mov_b64 s[6:7], -1
                                        ; implicit-def: $vgpr0_vgpr1
.LBB7_1241:
	s_and_b64 vcc, exec, s[6:7]
	s_cbranch_vccz .LBB7_1243
; %bb.1242:
	global_load_ubyte v0, v[4:5], off
	s_mov_b32 s6, 0x7f800000
	s_waitcnt vmcnt(0)
	v_lshlrev_b32_e32 v0, 24, v0
	v_and_b32_e32 v1, 0x7f000000, v0
	v_ffbh_u32_e32 v2, v1
	v_min_u32_e32 v2, 32, v2
	v_sub_u32_e64 v2, v2, 4 clamp
	v_lshlrev_b32_e32 v6, v2, v1
	v_lshlrev_b32_e32 v2, 23, v2
	v_lshrrev_b32_e32 v6, 4, v6
	v_add_u32_e32 v3, 0x1000000, v1
	v_sub_u32_e32 v2, v6, v2
	v_ashrrev_i32_e32 v3, 8, v3
	v_add_u32_e32 v2, 0x3c000000, v2
	v_and_or_b32 v2, v3, s6, v2
	v_cmp_ne_u32_e32 vcc, 0, v1
	v_cndmask_b32_e32 v1, 0, v2, vcc
	s_brev_b32 s6, 1
	v_and_or_b32 v0, v0, s6, v1
	v_cvt_f64_f32_e32 v[0:1], v0
.LBB7_1243:
	s_mov_b64 s[6:7], 0
.LBB7_1244:
	s_andn2_b64 vcc, exec, s[6:7]
	s_cbranch_vccnz .LBB7_1246
; %bb.1245:
	global_load_ubyte v0, v[4:5], off
	s_movk_i32 s6, 0x7f00
	s_brev_b32 s7, 16
	s_waitcnt vmcnt(0)
	v_lshlrev_b16_e32 v1, 8, v0
	v_lshlrev_b32_e32 v0, 25, v0
	v_lshrrev_b32_e32 v2, 4, v0
	v_and_or_b32 v3, v1, s6, 0.5
	v_or_b32_e32 v2, 0x70000000, v2
	v_add_f32_e32 v3, -0.5, v3
	v_mul_f32_e32 v2, 0x7800000, v2
	v_cmp_gt_u32_e32 vcc, s7, v0
	v_bfe_i32 v1, v1, 0, 16
	v_cndmask_b32_e32 v0, v2, v3, vcc
	s_brev_b32 s6, 1
	v_and_or_b32 v0, v1, s6, v0
	v_cvt_f64_f32_e32 v[0:1], v0
.LBB7_1246:
	s_mov_b64 s[6:7], 0
	s_mov_b64 s[8:9], -1
.LBB7_1247:
	s_andn2_b64 vcc, exec, s[6:7]
	s_mov_b64 s[6:7], 0
	s_cbranch_vccnz .LBB7_1256
; %bb.1248:
	s_cmp_gt_i32 s33, 14
	s_cbranch_scc0 .LBB7_1251
; %bb.1249:
	s_cmp_eq_u32 s33, 15
	s_cbranch_scc0 .LBB7_1252
; %bb.1250:
	global_load_ushort v0, v[4:5], off
	s_mov_b64 s[4:5], 0
	s_mov_b64 s[8:9], -1
	s_waitcnt vmcnt(0)
	v_lshlrev_b32_e32 v0, 16, v0
	v_cvt_f64_f32_e32 v[0:1], v0
	s_branch .LBB7_1253
.LBB7_1251:
	s_mov_b64 s[10:11], -1
                                        ; implicit-def: $vgpr0_vgpr1
	s_branch .LBB7_1254
.LBB7_1252:
	s_mov_b64 s[4:5], -1
                                        ; implicit-def: $vgpr0_vgpr1
.LBB7_1253:
	s_mov_b64 s[10:11], 0
.LBB7_1254:
	s_and_b64 vcc, exec, s[10:11]
	s_cbranch_vccz .LBB7_1256
; %bb.1255:
	s_cmp_lg_u32 s33, 11
	s_mov_b64 s[6:7], -1
	s_cselect_b64 s[4:5], -1, 0
.LBB7_1256:
	v_mov_b32_e32 v2, 0
	v_mov_b32_e32 v3, 0
.LBB7_1257:
	s_and_b64 vcc, exec, s[4:5]
	s_cbranch_vccnz .LBB7_1334
; %bb.1258:
	s_andn2_b64 vcc, exec, s[6:7]
	s_cbranch_vccnz .LBB7_1260
.LBB7_1259:
	global_load_ubyte v1, v[4:5], off
	v_mov_b32_e32 v6, 0x3ff00000
	v_mov_b32_e32 v2, 0
	;; [unrolled: 1-line block ×4, first 2 shown]
	s_mov_b64 s[8:9], -1
	s_waitcnt vmcnt(0)
	v_cmp_ne_u16_e32 vcc, 0, v1
	v_cndmask_b32_e32 v1, 0, v6, vcc
.LBB7_1260:
	s_branch .LBB7_1184
.LBB7_1261:
	s_cmp_lt_i32 s33, 5
	s_cbranch_scc1 .LBB7_1266
; %bb.1262:
	s_cmp_lt_i32 s33, 8
	s_cbranch_scc1 .LBB7_1268
; %bb.1263:
	;; [unrolled: 3-line block ×3, first 2 shown]
	s_cmp_gt_i32 s33, 9
	s_cbranch_scc0 .LBB7_1270
; %bb.1265:
	global_load_dwordx4 v[0:3], v[4:5], off
	s_mov_b64 s[4:5], 0
	s_branch .LBB7_1271
.LBB7_1266:
                                        ; implicit-def: $vgpr2_vgpr3
	s_branch .LBB7_1290
.LBB7_1267:
	s_branch .LBB7_1310
.LBB7_1268:
	s_mov_b64 s[4:5], -1
                                        ; implicit-def: $vgpr2_vgpr3
	s_branch .LBB7_1277
.LBB7_1269:
	s_mov_b64 s[4:5], -1
                                        ; implicit-def: $vgpr2_vgpr3
	s_branch .LBB7_1274
.LBB7_1270:
	s_mov_b64 s[4:5], -1
                                        ; implicit-def: $vgpr2_vgpr3
.LBB7_1271:
	s_andn2_b64 vcc, exec, s[4:5]
	s_cbranch_vccnz .LBB7_1273
; %bb.1272:
	global_load_dwordx2 v[1:2], v[4:5], off
	s_waitcnt vmcnt(0)
	v_cvt_f64_f32_e32 v[0:1], v1
	v_cvt_f64_f32_e32 v[2:3], v2
.LBB7_1273:
	s_mov_b64 s[4:5], 0
.LBB7_1274:
	s_andn2_b64 vcc, exec, s[4:5]
	s_cbranch_vccnz .LBB7_1276
; %bb.1275:
	global_load_dword v0, v[4:5], off
	s_waitcnt vmcnt(0)
	v_cvt_f32_f16_e32 v1, v0
	v_cvt_f32_f16_sdwa v2, v0 dst_sel:DWORD dst_unused:UNUSED_PAD src0_sel:WORD_1
	v_cvt_f64_f32_e32 v[0:1], v1
	v_cvt_f64_f32_e32 v[2:3], v2
.LBB7_1276:
	s_mov_b64 s[4:5], 0
.LBB7_1277:
	s_andn2_b64 vcc, exec, s[4:5]
	s_cbranch_vccnz .LBB7_1289
; %bb.1278:
	s_cmp_lt_i32 s33, 6
	s_cbranch_scc1 .LBB7_1281
; %bb.1279:
	s_cmp_gt_i32 s33, 6
	s_cbranch_scc0 .LBB7_1282
; %bb.1280:
	global_load_dwordx2 v[0:1], v[4:5], off
	s_mov_b64 s[4:5], 0
	s_branch .LBB7_1283
.LBB7_1281:
	s_mov_b64 s[4:5], -1
                                        ; implicit-def: $vgpr0_vgpr1
	s_branch .LBB7_1286
.LBB7_1282:
	s_mov_b64 s[4:5], -1
                                        ; implicit-def: $vgpr0_vgpr1
.LBB7_1283:
	s_andn2_b64 vcc, exec, s[4:5]
	s_cbranch_vccnz .LBB7_1285
; %bb.1284:
	global_load_dword v0, v[4:5], off
	s_waitcnt vmcnt(0)
	v_cvt_f64_f32_e32 v[0:1], v0
.LBB7_1285:
	s_mov_b64 s[4:5], 0
.LBB7_1286:
	s_andn2_b64 vcc, exec, s[4:5]
	s_cbranch_vccnz .LBB7_1288
; %bb.1287:
	global_load_ushort v0, v[4:5], off
	s_waitcnt vmcnt(0)
	v_cvt_f32_f16_e32 v0, v0
	v_cvt_f64_f32_e32 v[0:1], v0
.LBB7_1288:
	s_waitcnt vmcnt(0)
	v_mov_b32_e32 v2, 0
	v_mov_b32_e32 v3, 0
.LBB7_1289:
	s_cbranch_execnz .LBB7_1267
.LBB7_1290:
	s_cmp_lt_i32 s33, 2
	s_cbranch_scc1 .LBB7_1294
; %bb.1291:
	s_cmp_lt_i32 s33, 3
	s_cbranch_scc1 .LBB7_1295
; %bb.1292:
	s_cmp_gt_i32 s33, 3
	s_cbranch_scc0 .LBB7_1296
; %bb.1293:
	global_load_dwordx2 v[0:1], v[4:5], off
	s_mov_b64 s[4:5], 0
	s_waitcnt vmcnt(0)
	v_cvt_f64_i32_e32 v[1:2], v1
	v_cvt_f64_u32_e32 v[6:7], v0
	v_ldexp_f64 v[1:2], v[1:2], 32
	v_add_f64 v[0:1], v[1:2], v[6:7]
	s_branch .LBB7_1297
.LBB7_1294:
	s_mov_b64 s[4:5], -1
                                        ; implicit-def: $vgpr0_vgpr1
	s_branch .LBB7_1303
.LBB7_1295:
	s_mov_b64 s[4:5], -1
                                        ; implicit-def: $vgpr0_vgpr1
	s_branch .LBB7_1300
.LBB7_1296:
	s_mov_b64 s[4:5], -1
                                        ; implicit-def: $vgpr0_vgpr1
.LBB7_1297:
	s_andn2_b64 vcc, exec, s[4:5]
	s_cbranch_vccnz .LBB7_1299
; %bb.1298:
	global_load_dword v0, v[4:5], off
	s_waitcnt vmcnt(0)
	v_cvt_f64_i32_e32 v[0:1], v0
.LBB7_1299:
	s_mov_b64 s[4:5], 0
.LBB7_1300:
	s_andn2_b64 vcc, exec, s[4:5]
	s_cbranch_vccnz .LBB7_1302
; %bb.1301:
	global_load_sshort v0, v[4:5], off
	s_waitcnt vmcnt(0)
	v_cvt_f64_i32_e32 v[0:1], v0
.LBB7_1302:
	s_mov_b64 s[4:5], 0
.LBB7_1303:
	s_andn2_b64 vcc, exec, s[4:5]
	s_cbranch_vccnz .LBB7_1309
; %bb.1304:
	s_cmp_gt_i32 s33, 0
	s_cbranch_scc0 .LBB7_1306
; %bb.1305:
	global_load_sbyte v0, v[4:5], off
	s_mov_b64 s[4:5], 0
	s_waitcnt vmcnt(0)
	v_cvt_f64_i32_e32 v[0:1], v0
	s_branch .LBB7_1307
.LBB7_1306:
	s_mov_b64 s[4:5], -1
                                        ; implicit-def: $vgpr0_vgpr1
.LBB7_1307:
	s_andn2_b64 vcc, exec, s[4:5]
	s_cbranch_vccnz .LBB7_1309
; %bb.1308:
	global_load_ubyte v0, v[4:5], off
	s_waitcnt vmcnt(0)
	v_cvt_f64_u32_e32 v[0:1], v0
.LBB7_1309:
	s_waitcnt vmcnt(0)
	v_mov_b32_e32 v2, 0
	v_mov_b32_e32 v3, 0
.LBB7_1310:
	s_getpc_b64 s[4:5]
	s_add_u32 s4, s4, _ZZZZN2at6native16asin_kernel_cudaERNS_18TensorIteratorBaseEENKUlvE_clEvENKUlvE_clEvENKUlN3c107complexIdEEE_clES7_@rel32@lo+4
	s_addc_u32 s5, s5, _ZZZZN2at6native16asin_kernel_cudaERNS_18TensorIteratorBaseEENKUlvE_clEvENKUlvE_clEvENKUlN3c107complexIdEEE_clES7_@rel32@hi+12
	s_swappc_b64 s[30:31], s[4:5]
	v_add_u32_e32 v54, s35, v39
	v_mov_b32_e32 v43, v0
	v_mov_b32_e32 v44, v1
	v_ashrrev_i32_e32 v0, 31, v54
	v_mov_b32_e32 v1, s39
	v_add_co_u32_e32 v4, vcc, s38, v54
	v_mov_b32_e32 v45, v2
	v_mov_b32_e32 v46, v3
	s_cmp_lt_i32 s33, 11
	v_addc_co_u32_e32 v5, vcc, v1, v0, vcc
	s_cbranch_scc1 .LBB7_1317
; %bb.1311:
	s_cmp_gt_i32 s33, 25
	s_mov_b64 s[6:7], 0
	s_cbranch_scc0 .LBB7_1319
; %bb.1312:
	s_cmp_gt_i32 s33, 28
	s_cbranch_scc0 .LBB7_1330
; %bb.1313:
	s_cmp_gt_i32 s33, 43
	s_cbranch_scc0 .LBB7_1332
; %bb.1314:
	s_cmp_gt_i32 s33, 45
	s_cbranch_scc0 .LBB7_1335
; %bb.1315:
	s_cmp_eq_u32 s33, 46
	s_mov_b64 s[10:11], 0
	s_cbranch_scc0 .LBB7_1389
; %bb.1316:
	global_load_dword v0, v[4:5], off
	s_mov_b64 s[4:5], 0
	s_mov_b64 s[8:9], -1
	s_waitcnt vmcnt(0)
	v_and_b32_e32 v2, 0xffff0000, v0
	v_lshlrev_b32_e32 v0, 16, v0
	v_cvt_f64_f32_e32 v[0:1], v0
	v_cvt_f64_f32_e32 v[2:3], v2
	s_branch .LBB7_1390
.LBB7_1317:
	s_mov_b64 s[8:9], 0
                                        ; implicit-def: $vgpr2_vgpr3
	s_cbranch_execnz .LBB7_1324
.LBB7_1318:
	s_andn2_b64 vcc, exec, s[8:9]
	s_cbranch_vccnz .LBB7_2012
	s_branch .LBB7_1378
.LBB7_1319:
	s_mov_b64 s[8:9], 0
	s_mov_b64 s[4:5], 0
                                        ; implicit-def: $vgpr2_vgpr3
	s_cbranch_execnz .LBB7_1424
.LBB7_1320:
	s_and_b64 vcc, exec, s[4:5]
	s_cbranch_vccnz .LBB7_1455
.LBB7_1321:
	s_andn2_b64 vcc, exec, s[6:7]
	s_cbranch_vccnz .LBB7_1323
.LBB7_1322:
	global_load_ubyte v1, v[4:5], off
	v_mov_b32_e32 v6, 0x3ff00000
	v_mov_b32_e32 v2, 0
	;; [unrolled: 1-line block ×4, first 2 shown]
	s_mov_b64 s[8:9], -1
	s_waitcnt vmcnt(0)
	v_cmp_ne_u16_e32 vcc, 0, v1
	v_cndmask_b32_e32 v1, 0, v6, vcc
.LBB7_1323:
	s_branch .LBB7_1318
.LBB7_1324:
	s_cmp_lt_i32 s33, 5
	s_cbranch_scc1 .LBB7_1329
; %bb.1325:
	s_cmp_lt_i32 s33, 8
	s_cbranch_scc1 .LBB7_1331
; %bb.1326:
	;; [unrolled: 3-line block ×3, first 2 shown]
	s_cmp_gt_i32 s33, 9
	s_cbranch_scc0 .LBB7_1336
; %bb.1328:
	global_load_dwordx4 v[0:3], v[4:5], off
	s_mov_b64 s[4:5], 0
	s_branch .LBB7_1337
.LBB7_1329:
	s_mov_b64 s[4:5], -1
                                        ; implicit-def: $vgpr2_vgpr3
	s_branch .LBB7_1356
.LBB7_1330:
	s_mov_b64 s[10:11], -1
	s_mov_b64 s[8:9], 0
	s_mov_b64 s[4:5], 0
                                        ; implicit-def: $vgpr2_vgpr3
	s_branch .LBB7_1403
.LBB7_1331:
	s_mov_b64 s[4:5], -1
                                        ; implicit-def: $vgpr2_vgpr3
	s_branch .LBB7_1343
.LBB7_1332:
	s_mov_b64 s[10:11], -1
	s_mov_b64 s[8:9], 0
	s_mov_b64 s[4:5], 0
                                        ; implicit-def: $vgpr2_vgpr3
	s_branch .LBB7_1397
.LBB7_1333:
	s_mov_b64 s[4:5], -1
                                        ; implicit-def: $vgpr2_vgpr3
	s_branch .LBB7_1340
.LBB7_1334:
	s_trap 2
	s_or_b64 s[48:49], s[48:49], exec
	s_cbranch_execz .LBB7_1259
	s_branch .LBB7_1260
.LBB7_1335:
	s_mov_b64 s[10:11], -1
	s_mov_b64 s[8:9], 0
	s_mov_b64 s[4:5], 0
                                        ; implicit-def: $vgpr2_vgpr3
	s_branch .LBB7_1390
.LBB7_1336:
	s_mov_b64 s[4:5], -1
                                        ; implicit-def: $vgpr2_vgpr3
.LBB7_1337:
	s_andn2_b64 vcc, exec, s[4:5]
	s_cbranch_vccnz .LBB7_1339
; %bb.1338:
	global_load_dwordx2 v[1:2], v[4:5], off
	s_waitcnt vmcnt(0)
	v_cvt_f64_f32_e32 v[0:1], v1
	v_cvt_f64_f32_e32 v[2:3], v2
.LBB7_1339:
	s_mov_b64 s[4:5], 0
.LBB7_1340:
	s_andn2_b64 vcc, exec, s[4:5]
	s_cbranch_vccnz .LBB7_1342
; %bb.1341:
	global_load_dword v0, v[4:5], off
	s_waitcnt vmcnt(0)
	v_cvt_f32_f16_e32 v1, v0
	v_cvt_f32_f16_sdwa v2, v0 dst_sel:DWORD dst_unused:UNUSED_PAD src0_sel:WORD_1
	v_cvt_f64_f32_e32 v[0:1], v1
	v_cvt_f64_f32_e32 v[2:3], v2
.LBB7_1342:
	s_mov_b64 s[4:5], 0
.LBB7_1343:
	s_andn2_b64 vcc, exec, s[4:5]
	s_cbranch_vccnz .LBB7_1355
; %bb.1344:
	s_cmp_lt_i32 s33, 6
	s_cbranch_scc1 .LBB7_1347
; %bb.1345:
	s_cmp_gt_i32 s33, 6
	s_cbranch_scc0 .LBB7_1348
; %bb.1346:
	global_load_dwordx2 v[0:1], v[4:5], off
	s_mov_b64 s[4:5], 0
	s_branch .LBB7_1349
.LBB7_1347:
	s_mov_b64 s[4:5], -1
                                        ; implicit-def: $vgpr0_vgpr1
	s_branch .LBB7_1352
.LBB7_1348:
	s_mov_b64 s[4:5], -1
                                        ; implicit-def: $vgpr0_vgpr1
.LBB7_1349:
	s_andn2_b64 vcc, exec, s[4:5]
	s_cbranch_vccnz .LBB7_1351
; %bb.1350:
	global_load_dword v0, v[4:5], off
	s_waitcnt vmcnt(0)
	v_cvt_f64_f32_e32 v[0:1], v0
.LBB7_1351:
	s_mov_b64 s[4:5], 0
.LBB7_1352:
	s_andn2_b64 vcc, exec, s[4:5]
	s_cbranch_vccnz .LBB7_1354
; %bb.1353:
	global_load_ushort v0, v[4:5], off
	s_waitcnt vmcnt(0)
	v_cvt_f32_f16_e32 v0, v0
	v_cvt_f64_f32_e32 v[0:1], v0
.LBB7_1354:
	s_waitcnt vmcnt(0)
	v_mov_b32_e32 v2, 0
	v_mov_b32_e32 v3, 0
.LBB7_1355:
	s_mov_b64 s[4:5], 0
.LBB7_1356:
	s_andn2_b64 vcc, exec, s[4:5]
	s_cbranch_vccnz .LBB7_1377
; %bb.1357:
	s_cmp_lt_i32 s33, 2
	s_cbranch_scc1 .LBB7_1361
; %bb.1358:
	s_cmp_lt_i32 s33, 3
	s_cbranch_scc1 .LBB7_1362
; %bb.1359:
	s_cmp_gt_i32 s33, 3
	s_cbranch_scc0 .LBB7_1363
; %bb.1360:
	global_load_dwordx2 v[0:1], v[4:5], off
	s_mov_b64 s[4:5], 0
	s_waitcnt vmcnt(0)
	v_cvt_f64_i32_e32 v[1:2], v1
	v_cvt_f64_u32_e32 v[6:7], v0
	v_ldexp_f64 v[1:2], v[1:2], 32
	v_add_f64 v[0:1], v[1:2], v[6:7]
	s_branch .LBB7_1364
.LBB7_1361:
	s_mov_b64 s[4:5], -1
                                        ; implicit-def: $vgpr0_vgpr1
	s_branch .LBB7_1370
.LBB7_1362:
	s_mov_b64 s[4:5], -1
                                        ; implicit-def: $vgpr0_vgpr1
	s_branch .LBB7_1367
.LBB7_1363:
	s_mov_b64 s[4:5], -1
                                        ; implicit-def: $vgpr0_vgpr1
.LBB7_1364:
	s_andn2_b64 vcc, exec, s[4:5]
	s_cbranch_vccnz .LBB7_1366
; %bb.1365:
	global_load_dword v0, v[4:5], off
	s_waitcnt vmcnt(0)
	v_cvt_f64_i32_e32 v[0:1], v0
.LBB7_1366:
	s_mov_b64 s[4:5], 0
.LBB7_1367:
	s_andn2_b64 vcc, exec, s[4:5]
	s_cbranch_vccnz .LBB7_1369
; %bb.1368:
	global_load_sshort v0, v[4:5], off
	s_waitcnt vmcnt(0)
	v_cvt_f64_i32_e32 v[0:1], v0
.LBB7_1369:
	s_mov_b64 s[4:5], 0
.LBB7_1370:
	s_andn2_b64 vcc, exec, s[4:5]
	s_cbranch_vccnz .LBB7_1376
; %bb.1371:
	s_cmp_gt_i32 s33, 0
	s_cbranch_scc0 .LBB7_1373
; %bb.1372:
	global_load_sbyte v0, v[4:5], off
	s_mov_b64 s[4:5], 0
	s_waitcnt vmcnt(0)
	v_cvt_f64_i32_e32 v[0:1], v0
	s_branch .LBB7_1374
.LBB7_1373:
	s_mov_b64 s[4:5], -1
                                        ; implicit-def: $vgpr0_vgpr1
.LBB7_1374:
	s_andn2_b64 vcc, exec, s[4:5]
	s_cbranch_vccnz .LBB7_1376
; %bb.1375:
	global_load_ubyte v0, v[4:5], off
	s_waitcnt vmcnt(0)
	v_cvt_f64_u32_e32 v[0:1], v0
.LBB7_1376:
	s_waitcnt vmcnt(0)
	v_mov_b32_e32 v2, 0
	v_mov_b32_e32 v3, 0
.LBB7_1377:
.LBB7_1378:
	s_getpc_b64 s[4:5]
	s_add_u32 s4, s4, _ZZZZN2at6native16asin_kernel_cudaERNS_18TensorIteratorBaseEENKUlvE_clEvENKUlvE_clEvENKUlN3c107complexIdEEE_clES7_@rel32@lo+4
	s_addc_u32 s5, s5, _ZZZZN2at6native16asin_kernel_cudaERNS_18TensorIteratorBaseEENKUlvE_clEvENKUlvE_clEvENKUlN3c107complexIdEEE_clES7_@rel32@hi+12
	s_swappc_b64 s[30:31], s[4:5]
	v_mov_b32_e32 v39, v0
	v_add_u32_e32 v0, s35, v54
	v_mov_b32_e32 v40, v1
	v_mov_b32_e32 v41, v2
	v_ashrrev_i32_e32 v1, 31, v0
	v_mov_b32_e32 v2, s39
	v_add_co_u32_e32 v4, vcc, s38, v0
	v_mov_b32_e32 v42, v3
	s_cmp_lt_i32 s33, 11
	v_addc_co_u32_e32 v5, vcc, v2, v1, vcc
	s_cbranch_scc1 .LBB7_1385
; %bb.1379:
	s_cmp_gt_i32 s33, 25
	s_mov_b64 s[6:7], 0
	s_cbranch_scc0 .LBB7_1386
; %bb.1380:
	s_cmp_gt_i32 s33, 28
	s_cbranch_scc0 .LBB7_1387
; %bb.1381:
	s_cmp_gt_i32 s33, 43
	;; [unrolled: 3-line block ×3, first 2 shown]
	s_cbranch_scc0 .LBB7_1393
; %bb.1383:
	s_cmp_eq_u32 s33, 46
	s_mov_b64 s[10:11], 0
	s_cbranch_scc0 .LBB7_1456
; %bb.1384:
	global_load_dword v0, v[4:5], off
	s_mov_b64 s[4:5], 0
	s_mov_b64 s[8:9], -1
	s_waitcnt vmcnt(0)
	v_and_b32_e32 v2, 0xffff0000, v0
	v_lshlrev_b32_e32 v0, 16, v0
	v_cvt_f64_f32_e32 v[0:1], v0
	v_cvt_f64_f32_e32 v[2:3], v2
	s_branch .LBB7_1457
.LBB7_1385:
	s_mov_b64 s[4:5], -1
	s_mov_b64 s[8:9], 0
                                        ; implicit-def: $vgpr2_vgpr3
	s_branch .LBB7_1507
.LBB7_1386:
	s_mov_b64 s[10:11], -1
	s_mov_b64 s[8:9], 0
	s_mov_b64 s[4:5], 0
                                        ; implicit-def: $vgpr2_vgpr3
	s_branch .LBB7_1490
.LBB7_1387:
	s_mov_b64 s[10:11], -1
	s_mov_b64 s[8:9], 0
	s_mov_b64 s[4:5], 0
                                        ; implicit-def: $vgpr2_vgpr3
	s_branch .LBB7_1469
.LBB7_1388:
	s_mov_b64 s[10:11], -1
	s_mov_b64 s[8:9], 0
	s_mov_b64 s[4:5], 0
                                        ; implicit-def: $vgpr2_vgpr3
	s_branch .LBB7_1463
.LBB7_1389:
	s_mov_b64 s[4:5], -1
                                        ; implicit-def: $vgpr2_vgpr3
	s_mov_b64 s[8:9], 0
.LBB7_1390:
	s_and_b64 vcc, exec, s[10:11]
	s_cbranch_vccz .LBB7_1396
; %bb.1391:
	s_cmp_eq_u32 s33, 44
	s_cbranch_scc0 .LBB7_1394
; %bb.1392:
	global_load_ubyte v2, v[4:5], off
	s_movk_i32 s8, 0xff
	v_bfrev_b32_e32 v3, 4
	v_mov_b32_e32 v6, 0x7ff80000
	v_bfrev_b32_e32 v7, 28
	s_mov_b64 s[4:5], 0
	s_waitcnt vmcnt(0)
	v_lshlrev_b32_e32 v0, 23, v2
	v_cvt_f64_f32_e32 v[0:1], v0
	v_cmp_ne_u32_e32 vcc, s8, v2
	s_mov_b64 s[8:9], -1
	v_cndmask_b32_e32 v0, v3, v0, vcc
	v_cndmask_b32_e32 v1, v6, v1, vcc
	v_cmp_ne_u32_e32 vcc, 0, v2
	v_cndmask_b32_e32 v1, v7, v1, vcc
	v_cndmask_b32_e32 v0, 0, v0, vcc
	s_branch .LBB7_1395
.LBB7_1393:
	s_mov_b64 s[10:11], -1
	s_mov_b64 s[8:9], 0
	s_mov_b64 s[4:5], 0
                                        ; implicit-def: $vgpr2_vgpr3
	s_branch .LBB7_1457
.LBB7_1394:
	s_mov_b64 s[4:5], -1
                                        ; implicit-def: $vgpr0_vgpr1
.LBB7_1395:
	v_mov_b32_e32 v2, 0
	v_mov_b32_e32 v3, 0
.LBB7_1396:
	s_mov_b64 s[10:11], 0
.LBB7_1397:
	s_and_b64 vcc, exec, s[10:11]
	s_cbranch_vccz .LBB7_1402
; %bb.1398:
	s_cmp_eq_u32 s33, 29
	s_cbranch_scc0 .LBB7_1400
; %bb.1399:
	global_load_dwordx2 v[0:1], v[4:5], off
	s_mov_b64 s[4:5], 0
	s_mov_b64 s[8:9], -1
	s_waitcnt vmcnt(0)
	v_cvt_f64_u32_e32 v[1:2], v1
	v_cvt_f64_u32_e32 v[6:7], v0
	v_ldexp_f64 v[1:2], v[1:2], 32
	v_add_f64 v[0:1], v[1:2], v[6:7]
	s_branch .LBB7_1401
.LBB7_1400:
	s_mov_b64 s[4:5], -1
                                        ; implicit-def: $vgpr0_vgpr1
.LBB7_1401:
	v_mov_b32_e32 v2, 0
	v_mov_b32_e32 v3, 0
.LBB7_1402:
	s_mov_b64 s[10:11], 0
.LBB7_1403:
	s_and_b64 vcc, exec, s[10:11]
	s_cbranch_vccz .LBB7_1423
; %bb.1404:
	s_cmp_lt_i32 s33, 27
	s_cbranch_scc1 .LBB7_1407
; %bb.1405:
	s_cmp_gt_i32 s33, 27
	s_cbranch_scc0 .LBB7_1408
; %bb.1406:
	global_load_dword v0, v[4:5], off
	s_mov_b64 s[8:9], 0
	s_waitcnt vmcnt(0)
	v_cvt_f64_u32_e32 v[0:1], v0
	s_branch .LBB7_1409
.LBB7_1407:
	s_mov_b64 s[8:9], -1
                                        ; implicit-def: $vgpr0_vgpr1
	s_branch .LBB7_1412
.LBB7_1408:
	s_mov_b64 s[8:9], -1
                                        ; implicit-def: $vgpr0_vgpr1
.LBB7_1409:
	s_andn2_b64 vcc, exec, s[8:9]
	s_cbranch_vccnz .LBB7_1411
; %bb.1410:
	global_load_ushort v0, v[4:5], off
	s_waitcnt vmcnt(0)
	v_cvt_f64_u32_e32 v[0:1], v0
.LBB7_1411:
	s_mov_b64 s[8:9], 0
.LBB7_1412:
	s_andn2_b64 vcc, exec, s[8:9]
	s_cbranch_vccnz .LBB7_1422
; %bb.1413:
	global_load_ubyte v2, v[4:5], off
	s_movk_i32 s8, 0x7f
	s_waitcnt vmcnt(0)
	v_cmp_lt_i16_e32 vcc, s8, v2
	s_mov_b64 s[8:9], 0
	s_and_saveexec_b64 s[10:11], vcc
	s_xor_b64 s[10:11], exec, s[10:11]
	s_cbranch_execz .LBB7_1417
; %bb.1414:
	s_movk_i32 s8, 0x80
	v_cmp_eq_u16_e32 vcc, s8, v2
	s_mov_b64 s[8:9], -1
	s_and_saveexec_b64 s[12:13], vcc
; %bb.1415:
	s_xor_b64 s[8:9], exec, -1
; %bb.1416:
	s_or_b64 exec, exec, s[12:13]
	s_and_b64 s[8:9], s[8:9], exec
.LBB7_1417:
	s_or_saveexec_b64 s[10:11], s[10:11]
	v_bfrev_b32_e32 v0, 4
	v_mov_b32_e32 v1, 0x7ff80000
	s_xor_b64 exec, exec, s[10:11]
; %bb.1418:
	v_cmp_ne_u16_e32 vcc, 0, v2
	v_mov_b32_e32 v0, 0
	s_andn2_b64 s[8:9], s[8:9], exec
	s_and_b64 s[12:13], vcc, exec
	v_mov_b32_e32 v1, 0
	s_or_b64 s[8:9], s[8:9], s[12:13]
; %bb.1419:
	s_or_b64 exec, exec, s[10:11]
	s_and_saveexec_b64 s[10:11], s[8:9]
	s_cbranch_execz .LBB7_1421
; %bb.1420:
	v_and_b32_e32 v1, 0xffff, v2
	v_lshlrev_b32_e32 v0, 24, v2
	v_and_b32_e32 v2, 7, v1
	v_ffbh_u32_e32 v6, v2
	v_min_u32_e32 v6, 32, v6
	v_subrev_u32_e32 v7, 28, v6
	v_bfe_u32 v3, v1, 3, 4
	v_lshlrev_b32_e32 v1, v7, v1
	v_sub_u32_e32 v6, 29, v6
	v_and_b32_e32 v1, 7, v1
	v_cmp_eq_u32_e32 vcc, 0, v3
	v_cndmask_b32_e32 v3, v3, v6, vcc
	v_cndmask_b32_e32 v1, v2, v1, vcc
	v_mov_b32_e32 v2, 0x3b800000
	v_lshlrev_b32_e32 v1, 20, v1
	v_and_b32_e32 v0, 0x80000000, v0
	v_lshl_add_u32 v2, v3, 23, v2
	v_or3_b32 v0, v0, v2, v1
	v_cvt_f64_f32_e32 v[0:1], v0
.LBB7_1421:
	s_or_b64 exec, exec, s[10:11]
.LBB7_1422:
	v_mov_b32_e32 v2, 0
	v_mov_b32_e32 v3, 0
	s_mov_b64 s[8:9], -1
.LBB7_1423:
	s_branch .LBB7_1320
.LBB7_1424:
	s_cmp_gt_i32 s33, 22
	s_cbranch_scc0 .LBB7_1436
; %bb.1425:
	s_cmp_lt_i32 s33, 24
	s_cbranch_scc1 .LBB7_1437
; %bb.1426:
	s_cmp_gt_i32 s33, 24
	s_cbranch_scc0 .LBB7_1438
; %bb.1427:
	global_load_ubyte v2, v[4:5], off
	s_movk_i32 s6, 0x7f
	s_waitcnt vmcnt(0)
	v_cmp_lt_i16_e32 vcc, s6, v2
	s_mov_b64 s[6:7], 0
	s_and_saveexec_b64 s[8:9], vcc
	s_xor_b64 s[8:9], exec, s[8:9]
	s_cbranch_execz .LBB7_1431
; %bb.1428:
	s_movk_i32 s6, 0x80
	v_cmp_eq_u16_e32 vcc, s6, v2
	s_mov_b64 s[6:7], -1
	s_and_saveexec_b64 s[10:11], vcc
; %bb.1429:
	s_xor_b64 s[6:7], exec, -1
; %bb.1430:
	s_or_b64 exec, exec, s[10:11]
	s_and_b64 s[6:7], s[6:7], exec
.LBB7_1431:
	s_or_saveexec_b64 s[8:9], s[8:9]
	v_bfrev_b32_e32 v0, 4
	v_mov_b32_e32 v1, 0x7ff80000
	s_xor_b64 exec, exec, s[8:9]
; %bb.1432:
	v_cmp_ne_u16_e32 vcc, 0, v2
	v_mov_b32_e32 v0, 0
	s_andn2_b64 s[6:7], s[6:7], exec
	s_and_b64 s[10:11], vcc, exec
	v_mov_b32_e32 v1, 0
	s_or_b64 s[6:7], s[6:7], s[10:11]
; %bb.1433:
	s_or_b64 exec, exec, s[8:9]
	s_and_saveexec_b64 s[8:9], s[6:7]
	s_cbranch_execz .LBB7_1435
; %bb.1434:
	v_and_b32_e32 v1, 0xffff, v2
	v_lshlrev_b32_e32 v0, 24, v2
	v_and_b32_e32 v2, 3, v1
	v_ffbh_u32_e32 v6, v2
	v_min_u32_e32 v6, 32, v6
	v_subrev_u32_e32 v7, 29, v6
	v_bfe_u32 v3, v1, 2, 5
	v_lshlrev_b32_e32 v1, v7, v1
	v_sub_u32_e32 v6, 30, v6
	v_and_b32_e32 v1, 3, v1
	v_cmp_eq_u32_e32 vcc, 0, v3
	v_cndmask_b32_e32 v3, v3, v6, vcc
	v_cndmask_b32_e32 v1, v2, v1, vcc
	v_mov_b32_e32 v2, 0x37800000
	v_lshlrev_b32_e32 v1, 21, v1
	v_and_b32_e32 v0, 0x80000000, v0
	v_lshl_add_u32 v2, v3, 23, v2
	v_or3_b32 v0, v0, v2, v1
	v_cvt_f64_f32_e32 v[0:1], v0
.LBB7_1435:
	s_or_b64 exec, exec, s[8:9]
	s_mov_b64 s[6:7], 0
	s_branch .LBB7_1439
.LBB7_1436:
	s_mov_b64 s[6:7], -1
                                        ; implicit-def: $vgpr0_vgpr1
	s_branch .LBB7_1445
.LBB7_1437:
	s_mov_b64 s[6:7], -1
                                        ; implicit-def: $vgpr0_vgpr1
	s_branch .LBB7_1442
.LBB7_1438:
	s_mov_b64 s[6:7], -1
                                        ; implicit-def: $vgpr0_vgpr1
.LBB7_1439:
	s_and_b64 vcc, exec, s[6:7]
	s_cbranch_vccz .LBB7_1441
; %bb.1440:
	global_load_ubyte v0, v[4:5], off
	s_mov_b32 s6, 0x7f800000
	s_waitcnt vmcnt(0)
	v_lshlrev_b32_e32 v0, 24, v0
	v_and_b32_e32 v1, 0x7f000000, v0
	v_ffbh_u32_e32 v2, v1
	v_min_u32_e32 v2, 32, v2
	v_sub_u32_e64 v2, v2, 4 clamp
	v_lshlrev_b32_e32 v6, v2, v1
	v_lshlrev_b32_e32 v2, 23, v2
	v_lshrrev_b32_e32 v6, 4, v6
	v_add_u32_e32 v3, 0x1000000, v1
	v_sub_u32_e32 v2, v6, v2
	v_ashrrev_i32_e32 v3, 8, v3
	v_add_u32_e32 v2, 0x3c000000, v2
	v_and_or_b32 v2, v3, s6, v2
	v_cmp_ne_u32_e32 vcc, 0, v1
	v_cndmask_b32_e32 v1, 0, v2, vcc
	s_brev_b32 s6, 1
	v_and_or_b32 v0, v0, s6, v1
	v_cvt_f64_f32_e32 v[0:1], v0
.LBB7_1441:
	s_mov_b64 s[6:7], 0
.LBB7_1442:
	s_andn2_b64 vcc, exec, s[6:7]
	s_cbranch_vccnz .LBB7_1444
; %bb.1443:
	global_load_ubyte v0, v[4:5], off
	s_movk_i32 s6, 0x7f00
	s_brev_b32 s7, 16
	s_waitcnt vmcnt(0)
	v_lshlrev_b16_e32 v1, 8, v0
	v_lshlrev_b32_e32 v0, 25, v0
	v_lshrrev_b32_e32 v2, 4, v0
	v_and_or_b32 v3, v1, s6, 0.5
	v_or_b32_e32 v2, 0x70000000, v2
	v_add_f32_e32 v3, -0.5, v3
	v_mul_f32_e32 v2, 0x7800000, v2
	v_cmp_gt_u32_e32 vcc, s7, v0
	v_bfe_i32 v1, v1, 0, 16
	v_cndmask_b32_e32 v0, v2, v3, vcc
	s_brev_b32 s6, 1
	v_and_or_b32 v0, v1, s6, v0
	v_cvt_f64_f32_e32 v[0:1], v0
.LBB7_1444:
	s_mov_b64 s[6:7], 0
	s_mov_b64 s[8:9], -1
.LBB7_1445:
	s_andn2_b64 vcc, exec, s[6:7]
	s_mov_b64 s[6:7], 0
	s_cbranch_vccnz .LBB7_1454
; %bb.1446:
	s_cmp_gt_i32 s33, 14
	s_cbranch_scc0 .LBB7_1449
; %bb.1447:
	s_cmp_eq_u32 s33, 15
	s_cbranch_scc0 .LBB7_1450
; %bb.1448:
	global_load_ushort v0, v[4:5], off
	s_mov_b64 s[4:5], 0
	s_mov_b64 s[8:9], -1
	s_waitcnt vmcnt(0)
	v_lshlrev_b32_e32 v0, 16, v0
	v_cvt_f64_f32_e32 v[0:1], v0
	s_branch .LBB7_1451
.LBB7_1449:
	s_mov_b64 s[10:11], -1
                                        ; implicit-def: $vgpr0_vgpr1
	s_branch .LBB7_1452
.LBB7_1450:
	s_mov_b64 s[4:5], -1
                                        ; implicit-def: $vgpr0_vgpr1
.LBB7_1451:
	s_mov_b64 s[10:11], 0
.LBB7_1452:
	s_and_b64 vcc, exec, s[10:11]
	s_cbranch_vccz .LBB7_1454
; %bb.1453:
	s_cmp_lg_u32 s33, 11
	s_mov_b64 s[6:7], -1
	s_cselect_b64 s[4:5], -1, 0
.LBB7_1454:
	v_mov_b32_e32 v2, 0
	v_mov_b32_e32 v3, 0
	s_and_b64 vcc, exec, s[4:5]
	s_cbranch_vccz .LBB7_1321
.LBB7_1455:
	s_trap 2
	s_or_b64 s[48:49], s[48:49], exec
	s_cbranch_execz .LBB7_1322
	s_branch .LBB7_1323
.LBB7_1456:
	s_mov_b64 s[4:5], -1
                                        ; implicit-def: $vgpr2_vgpr3
	s_mov_b64 s[8:9], 0
.LBB7_1457:
	s_and_b64 vcc, exec, s[10:11]
	s_cbranch_vccz .LBB7_1462
; %bb.1458:
	s_cmp_eq_u32 s33, 44
	s_cbranch_scc0 .LBB7_1460
; %bb.1459:
	global_load_ubyte v2, v[4:5], off
	s_movk_i32 s8, 0xff
	v_bfrev_b32_e32 v3, 4
	v_mov_b32_e32 v6, 0x7ff80000
	v_bfrev_b32_e32 v7, 28
	s_mov_b64 s[4:5], 0
	s_waitcnt vmcnt(0)
	v_lshlrev_b32_e32 v0, 23, v2
	v_cvt_f64_f32_e32 v[0:1], v0
	v_cmp_ne_u32_e32 vcc, s8, v2
	s_mov_b64 s[8:9], -1
	v_cndmask_b32_e32 v0, v3, v0, vcc
	v_cndmask_b32_e32 v1, v6, v1, vcc
	v_cmp_ne_u32_e32 vcc, 0, v2
	v_cndmask_b32_e32 v1, v7, v1, vcc
	v_cndmask_b32_e32 v0, 0, v0, vcc
	s_branch .LBB7_1461
.LBB7_1460:
	s_mov_b64 s[4:5], -1
                                        ; implicit-def: $vgpr0_vgpr1
.LBB7_1461:
	v_mov_b32_e32 v2, 0
	v_mov_b32_e32 v3, 0
.LBB7_1462:
	s_mov_b64 s[10:11], 0
.LBB7_1463:
	s_and_b64 vcc, exec, s[10:11]
	s_cbranch_vccz .LBB7_1468
; %bb.1464:
	s_cmp_eq_u32 s33, 29
	s_cbranch_scc0 .LBB7_1466
; %bb.1465:
	global_load_dwordx2 v[0:1], v[4:5], off
	s_mov_b64 s[4:5], 0
	s_mov_b64 s[8:9], -1
	s_waitcnt vmcnt(0)
	v_cvt_f64_u32_e32 v[1:2], v1
	v_cvt_f64_u32_e32 v[6:7], v0
	v_ldexp_f64 v[1:2], v[1:2], 32
	v_add_f64 v[0:1], v[1:2], v[6:7]
	s_branch .LBB7_1467
.LBB7_1466:
	s_mov_b64 s[4:5], -1
                                        ; implicit-def: $vgpr0_vgpr1
.LBB7_1467:
	v_mov_b32_e32 v2, 0
	v_mov_b32_e32 v3, 0
.LBB7_1468:
	s_mov_b64 s[10:11], 0
.LBB7_1469:
	s_and_b64 vcc, exec, s[10:11]
	s_cbranch_vccz .LBB7_1489
; %bb.1470:
	s_cmp_lt_i32 s33, 27
	s_cbranch_scc1 .LBB7_1473
; %bb.1471:
	s_cmp_gt_i32 s33, 27
	s_cbranch_scc0 .LBB7_1474
; %bb.1472:
	global_load_dword v0, v[4:5], off
	s_mov_b64 s[8:9], 0
	s_waitcnt vmcnt(0)
	v_cvt_f64_u32_e32 v[0:1], v0
	s_branch .LBB7_1475
.LBB7_1473:
	s_mov_b64 s[8:9], -1
                                        ; implicit-def: $vgpr0_vgpr1
	s_branch .LBB7_1478
.LBB7_1474:
	s_mov_b64 s[8:9], -1
                                        ; implicit-def: $vgpr0_vgpr1
.LBB7_1475:
	s_andn2_b64 vcc, exec, s[8:9]
	s_cbranch_vccnz .LBB7_1477
; %bb.1476:
	global_load_ushort v0, v[4:5], off
	s_waitcnt vmcnt(0)
	v_cvt_f64_u32_e32 v[0:1], v0
.LBB7_1477:
	s_mov_b64 s[8:9], 0
.LBB7_1478:
	s_andn2_b64 vcc, exec, s[8:9]
	s_cbranch_vccnz .LBB7_1488
; %bb.1479:
	global_load_ubyte v2, v[4:5], off
	s_movk_i32 s8, 0x7f
	s_waitcnt vmcnt(0)
	v_cmp_lt_i16_e32 vcc, s8, v2
	s_mov_b64 s[8:9], 0
	s_and_saveexec_b64 s[10:11], vcc
	s_xor_b64 s[10:11], exec, s[10:11]
	s_cbranch_execz .LBB7_1483
; %bb.1480:
	s_movk_i32 s8, 0x80
	v_cmp_eq_u16_e32 vcc, s8, v2
	s_mov_b64 s[8:9], -1
	s_and_saveexec_b64 s[12:13], vcc
; %bb.1481:
	s_xor_b64 s[8:9], exec, -1
; %bb.1482:
	s_or_b64 exec, exec, s[12:13]
	s_and_b64 s[8:9], s[8:9], exec
.LBB7_1483:
	s_or_saveexec_b64 s[10:11], s[10:11]
	v_bfrev_b32_e32 v0, 4
	v_mov_b32_e32 v1, 0x7ff80000
	s_xor_b64 exec, exec, s[10:11]
; %bb.1484:
	v_cmp_ne_u16_e32 vcc, 0, v2
	v_mov_b32_e32 v0, 0
	s_andn2_b64 s[8:9], s[8:9], exec
	s_and_b64 s[12:13], vcc, exec
	v_mov_b32_e32 v1, 0
	s_or_b64 s[8:9], s[8:9], s[12:13]
; %bb.1485:
	s_or_b64 exec, exec, s[10:11]
	s_and_saveexec_b64 s[10:11], s[8:9]
	s_cbranch_execz .LBB7_1487
; %bb.1486:
	v_and_b32_e32 v1, 0xffff, v2
	v_lshlrev_b32_e32 v0, 24, v2
	v_and_b32_e32 v2, 7, v1
	v_ffbh_u32_e32 v6, v2
	v_min_u32_e32 v6, 32, v6
	v_subrev_u32_e32 v7, 28, v6
	v_bfe_u32 v3, v1, 3, 4
	v_lshlrev_b32_e32 v1, v7, v1
	v_sub_u32_e32 v6, 29, v6
	v_and_b32_e32 v1, 7, v1
	v_cmp_eq_u32_e32 vcc, 0, v3
	v_cndmask_b32_e32 v3, v3, v6, vcc
	v_cndmask_b32_e32 v1, v2, v1, vcc
	v_mov_b32_e32 v2, 0x3b800000
	v_lshlrev_b32_e32 v1, 20, v1
	v_and_b32_e32 v0, 0x80000000, v0
	v_lshl_add_u32 v2, v3, 23, v2
	v_or3_b32 v0, v0, v2, v1
	v_cvt_f64_f32_e32 v[0:1], v0
.LBB7_1487:
	s_or_b64 exec, exec, s[10:11]
.LBB7_1488:
	v_mov_b32_e32 v2, 0
	v_mov_b32_e32 v3, 0
	s_mov_b64 s[8:9], -1
.LBB7_1489:
	s_mov_b64 s[10:11], 0
.LBB7_1490:
	s_and_b64 vcc, exec, s[10:11]
	s_cbranch_vccz .LBB7_1503
; %bb.1491:
	s_cmp_gt_i32 s33, 22
	s_cbranch_scc0 .LBB7_1514
; %bb.1492:
	s_cmp_lt_i32 s33, 24
	s_cbranch_scc1 .LBB7_1516
; %bb.1493:
	s_cmp_gt_i32 s33, 24
	s_cbranch_scc0 .LBB7_1518
; %bb.1494:
	global_load_ubyte v2, v[4:5], off
	s_movk_i32 s6, 0x7f
	s_waitcnt vmcnt(0)
	v_cmp_lt_i16_e32 vcc, s6, v2
	s_mov_b64 s[6:7], 0
	s_and_saveexec_b64 s[8:9], vcc
	s_xor_b64 s[8:9], exec, s[8:9]
	s_cbranch_execz .LBB7_1498
; %bb.1495:
	s_movk_i32 s6, 0x80
	v_cmp_eq_u16_e32 vcc, s6, v2
	s_mov_b64 s[6:7], -1
	s_and_saveexec_b64 s[10:11], vcc
; %bb.1496:
	s_xor_b64 s[6:7], exec, -1
; %bb.1497:
	s_or_b64 exec, exec, s[10:11]
	s_and_b64 s[6:7], s[6:7], exec
.LBB7_1498:
	s_or_saveexec_b64 s[8:9], s[8:9]
	v_bfrev_b32_e32 v0, 4
	v_mov_b32_e32 v1, 0x7ff80000
	s_xor_b64 exec, exec, s[8:9]
; %bb.1499:
	v_cmp_ne_u16_e32 vcc, 0, v2
	v_mov_b32_e32 v0, 0
	s_andn2_b64 s[6:7], s[6:7], exec
	s_and_b64 s[10:11], vcc, exec
	v_mov_b32_e32 v1, 0
	s_or_b64 s[6:7], s[6:7], s[10:11]
; %bb.1500:
	s_or_b64 exec, exec, s[8:9]
	s_and_saveexec_b64 s[8:9], s[6:7]
	s_cbranch_execz .LBB7_1502
; %bb.1501:
	v_and_b32_e32 v1, 0xffff, v2
	v_lshlrev_b32_e32 v0, 24, v2
	v_and_b32_e32 v2, 3, v1
	v_ffbh_u32_e32 v6, v2
	v_min_u32_e32 v6, 32, v6
	v_subrev_u32_e32 v7, 29, v6
	v_bfe_u32 v3, v1, 2, 5
	v_lshlrev_b32_e32 v1, v7, v1
	v_sub_u32_e32 v6, 30, v6
	v_and_b32_e32 v1, 3, v1
	v_cmp_eq_u32_e32 vcc, 0, v3
	v_cndmask_b32_e32 v3, v3, v6, vcc
	v_cndmask_b32_e32 v1, v2, v1, vcc
	v_mov_b32_e32 v2, 0x37800000
	v_lshlrev_b32_e32 v1, 21, v1
	v_and_b32_e32 v0, 0x80000000, v0
	v_lshl_add_u32 v2, v3, 23, v2
	v_or3_b32 v0, v0, v2, v1
	v_cvt_f64_f32_e32 v[0:1], v0
.LBB7_1502:
	s_or_b64 exec, exec, s[8:9]
	s_mov_b64 s[6:7], 0
	s_branch .LBB7_1519
.LBB7_1503:
	s_and_b64 vcc, exec, s[4:5]
	s_cbranch_vccnz .LBB7_1547
.LBB7_1504:
	s_andn2_b64 vcc, exec, s[6:7]
	s_cbranch_vccnz .LBB7_1506
.LBB7_1505:
	global_load_ubyte v1, v[4:5], off
	v_mov_b32_e32 v6, 0x3ff00000
	v_mov_b32_e32 v2, 0
	;; [unrolled: 1-line block ×4, first 2 shown]
	s_mov_b64 s[8:9], -1
	s_waitcnt vmcnt(0)
	v_cmp_ne_u16_e32 vcc, 0, v1
	v_cndmask_b32_e32 v1, 0, v6, vcc
.LBB7_1506:
	s_mov_b64 s[4:5], 0
.LBB7_1507:
	s_and_b64 vcc, exec, s[4:5]
	s_cbranch_vccz .LBB7_1578
; %bb.1508:
	s_cmp_lt_i32 s33, 5
	s_cbranch_scc1 .LBB7_1513
; %bb.1509:
	s_cmp_lt_i32 s33, 8
	s_cbranch_scc1 .LBB7_1515
	;; [unrolled: 3-line block ×3, first 2 shown]
; %bb.1511:
	s_cmp_gt_i32 s33, 9
	s_cbranch_scc0 .LBB7_1530
; %bb.1512:
	global_load_dwordx4 v[0:3], v[4:5], off
	s_mov_b64 s[4:5], 0
	s_branch .LBB7_1531
.LBB7_1513:
	s_mov_b64 s[4:5], -1
                                        ; implicit-def: $vgpr2_vgpr3
	s_branch .LBB7_1556
.LBB7_1514:
	s_mov_b64 s[6:7], -1
                                        ; implicit-def: $vgpr0_vgpr1
	s_branch .LBB7_1525
.LBB7_1515:
	s_mov_b64 s[4:5], -1
                                        ; implicit-def: $vgpr2_vgpr3
	s_branch .LBB7_1537
.LBB7_1516:
	s_mov_b64 s[6:7], -1
                                        ; implicit-def: $vgpr0_vgpr1
	s_branch .LBB7_1522
.LBB7_1517:
	s_mov_b64 s[4:5], -1
                                        ; implicit-def: $vgpr2_vgpr3
	s_branch .LBB7_1534
.LBB7_1518:
	s_mov_b64 s[6:7], -1
                                        ; implicit-def: $vgpr0_vgpr1
.LBB7_1519:
	s_and_b64 vcc, exec, s[6:7]
	s_cbranch_vccz .LBB7_1521
; %bb.1520:
	global_load_ubyte v0, v[4:5], off
	s_mov_b32 s6, 0x7f800000
	s_waitcnt vmcnt(0)
	v_lshlrev_b32_e32 v0, 24, v0
	v_and_b32_e32 v1, 0x7f000000, v0
	v_ffbh_u32_e32 v2, v1
	v_min_u32_e32 v2, 32, v2
	v_sub_u32_e64 v2, v2, 4 clamp
	v_lshlrev_b32_e32 v6, v2, v1
	v_lshlrev_b32_e32 v2, 23, v2
	v_lshrrev_b32_e32 v6, 4, v6
	v_add_u32_e32 v3, 0x1000000, v1
	v_sub_u32_e32 v2, v6, v2
	v_ashrrev_i32_e32 v3, 8, v3
	v_add_u32_e32 v2, 0x3c000000, v2
	v_and_or_b32 v2, v3, s6, v2
	v_cmp_ne_u32_e32 vcc, 0, v1
	v_cndmask_b32_e32 v1, 0, v2, vcc
	s_brev_b32 s6, 1
	v_and_or_b32 v0, v0, s6, v1
	v_cvt_f64_f32_e32 v[0:1], v0
.LBB7_1521:
	s_mov_b64 s[6:7], 0
.LBB7_1522:
	s_andn2_b64 vcc, exec, s[6:7]
	s_cbranch_vccnz .LBB7_1524
; %bb.1523:
	global_load_ubyte v0, v[4:5], off
	s_movk_i32 s6, 0x7f00
	s_brev_b32 s7, 16
	s_waitcnt vmcnt(0)
	v_lshlrev_b16_e32 v1, 8, v0
	v_lshlrev_b32_e32 v0, 25, v0
	v_lshrrev_b32_e32 v2, 4, v0
	v_and_or_b32 v3, v1, s6, 0.5
	v_or_b32_e32 v2, 0x70000000, v2
	v_add_f32_e32 v3, -0.5, v3
	v_mul_f32_e32 v2, 0x7800000, v2
	v_cmp_gt_u32_e32 vcc, s7, v0
	v_bfe_i32 v1, v1, 0, 16
	v_cndmask_b32_e32 v0, v2, v3, vcc
	s_brev_b32 s6, 1
	v_and_or_b32 v0, v1, s6, v0
	v_cvt_f64_f32_e32 v[0:1], v0
.LBB7_1524:
	s_mov_b64 s[6:7], 0
	s_mov_b64 s[8:9], -1
.LBB7_1525:
	s_andn2_b64 vcc, exec, s[6:7]
	s_mov_b64 s[6:7], 0
	s_cbranch_vccnz .LBB7_1546
; %bb.1526:
	s_cmp_gt_i32 s33, 14
	s_cbranch_scc0 .LBB7_1529
; %bb.1527:
	s_cmp_eq_u32 s33, 15
	s_cbranch_scc0 .LBB7_1542
; %bb.1528:
	global_load_ushort v0, v[4:5], off
	s_mov_b64 s[4:5], 0
	s_mov_b64 s[8:9], -1
	s_waitcnt vmcnt(0)
	v_lshlrev_b32_e32 v0, 16, v0
	v_cvt_f64_f32_e32 v[0:1], v0
	s_branch .LBB7_1543
.LBB7_1529:
	s_mov_b64 s[10:11], -1
                                        ; implicit-def: $vgpr0_vgpr1
	s_branch .LBB7_1544
.LBB7_1530:
	s_mov_b64 s[4:5], -1
                                        ; implicit-def: $vgpr2_vgpr3
.LBB7_1531:
	s_andn2_b64 vcc, exec, s[4:5]
	s_cbranch_vccnz .LBB7_1533
; %bb.1532:
	global_load_dwordx2 v[1:2], v[4:5], off
	s_waitcnt vmcnt(0)
	v_cvt_f64_f32_e32 v[0:1], v1
	v_cvt_f64_f32_e32 v[2:3], v2
.LBB7_1533:
	s_mov_b64 s[4:5], 0
.LBB7_1534:
	s_andn2_b64 vcc, exec, s[4:5]
	s_cbranch_vccnz .LBB7_1536
; %bb.1535:
	global_load_dword v0, v[4:5], off
	s_waitcnt vmcnt(0)
	v_cvt_f32_f16_e32 v1, v0
	v_cvt_f32_f16_sdwa v2, v0 dst_sel:DWORD dst_unused:UNUSED_PAD src0_sel:WORD_1
	v_cvt_f64_f32_e32 v[0:1], v1
	v_cvt_f64_f32_e32 v[2:3], v2
.LBB7_1536:
	s_mov_b64 s[4:5], 0
.LBB7_1537:
	s_andn2_b64 vcc, exec, s[4:5]
	s_cbranch_vccnz .LBB7_1555
; %bb.1538:
	s_cmp_lt_i32 s33, 6
	s_cbranch_scc1 .LBB7_1541
; %bb.1539:
	s_cmp_gt_i32 s33, 6
	s_cbranch_scc0 .LBB7_1548
; %bb.1540:
	global_load_dwordx2 v[0:1], v[4:5], off
	s_mov_b64 s[4:5], 0
	s_branch .LBB7_1549
.LBB7_1541:
	s_mov_b64 s[4:5], -1
                                        ; implicit-def: $vgpr0_vgpr1
	s_branch .LBB7_1552
.LBB7_1542:
	s_mov_b64 s[4:5], -1
                                        ; implicit-def: $vgpr0_vgpr1
.LBB7_1543:
	s_mov_b64 s[10:11], 0
.LBB7_1544:
	s_and_b64 vcc, exec, s[10:11]
	s_cbranch_vccz .LBB7_1546
; %bb.1545:
	s_cmp_lg_u32 s33, 11
	s_mov_b64 s[6:7], -1
	s_cselect_b64 s[4:5], -1, 0
.LBB7_1546:
	v_mov_b32_e32 v2, 0
	v_mov_b32_e32 v3, 0
	s_and_b64 vcc, exec, s[4:5]
	s_cbranch_vccz .LBB7_1504
.LBB7_1547:
	s_trap 2
	s_or_b64 s[48:49], s[48:49], exec
	s_cbranch_execz .LBB7_1505
	s_branch .LBB7_1506
.LBB7_1548:
	s_mov_b64 s[4:5], -1
                                        ; implicit-def: $vgpr0_vgpr1
.LBB7_1549:
	s_andn2_b64 vcc, exec, s[4:5]
	s_cbranch_vccnz .LBB7_1551
; %bb.1550:
	global_load_dword v0, v[4:5], off
	s_waitcnt vmcnt(0)
	v_cvt_f64_f32_e32 v[0:1], v0
.LBB7_1551:
	s_mov_b64 s[4:5], 0
.LBB7_1552:
	s_andn2_b64 vcc, exec, s[4:5]
	s_cbranch_vccnz .LBB7_1554
; %bb.1553:
	global_load_ushort v0, v[4:5], off
	s_waitcnt vmcnt(0)
	v_cvt_f32_f16_e32 v0, v0
	v_cvt_f64_f32_e32 v[0:1], v0
.LBB7_1554:
	s_waitcnt vmcnt(0)
	v_mov_b32_e32 v2, 0
	v_mov_b32_e32 v3, 0
.LBB7_1555:
	s_mov_b64 s[4:5], 0
.LBB7_1556:
	s_andn2_b64 vcc, exec, s[4:5]
	s_cbranch_vccnz .LBB7_1577
; %bb.1557:
	s_cmp_lt_i32 s33, 2
	s_cbranch_scc1 .LBB7_1561
; %bb.1558:
	s_cmp_lt_i32 s33, 3
	s_cbranch_scc1 .LBB7_1562
; %bb.1559:
	s_cmp_gt_i32 s33, 3
	s_cbranch_scc0 .LBB7_1563
; %bb.1560:
	global_load_dwordx2 v[0:1], v[4:5], off
	s_mov_b64 s[4:5], 0
	s_waitcnt vmcnt(0)
	v_cvt_f64_i32_e32 v[1:2], v1
	v_cvt_f64_u32_e32 v[6:7], v0
	v_ldexp_f64 v[1:2], v[1:2], 32
	v_add_f64 v[0:1], v[1:2], v[6:7]
	s_branch .LBB7_1564
.LBB7_1561:
	s_mov_b64 s[4:5], -1
                                        ; implicit-def: $vgpr0_vgpr1
	s_branch .LBB7_1570
.LBB7_1562:
	s_mov_b64 s[4:5], -1
                                        ; implicit-def: $vgpr0_vgpr1
	s_branch .LBB7_1567
.LBB7_1563:
	s_mov_b64 s[4:5], -1
                                        ; implicit-def: $vgpr0_vgpr1
.LBB7_1564:
	s_andn2_b64 vcc, exec, s[4:5]
	s_cbranch_vccnz .LBB7_1566
; %bb.1565:
	global_load_dword v0, v[4:5], off
	s_waitcnt vmcnt(0)
	v_cvt_f64_i32_e32 v[0:1], v0
.LBB7_1566:
	s_mov_b64 s[4:5], 0
.LBB7_1567:
	s_andn2_b64 vcc, exec, s[4:5]
	s_cbranch_vccnz .LBB7_1569
; %bb.1568:
	global_load_sshort v0, v[4:5], off
	s_waitcnt vmcnt(0)
	v_cvt_f64_i32_e32 v[0:1], v0
.LBB7_1569:
	s_mov_b64 s[4:5], 0
.LBB7_1570:
	s_andn2_b64 vcc, exec, s[4:5]
	s_cbranch_vccnz .LBB7_1576
; %bb.1571:
	s_cmp_gt_i32 s33, 0
	s_cbranch_scc0 .LBB7_1573
; %bb.1572:
	global_load_sbyte v0, v[4:5], off
	s_mov_b64 s[4:5], 0
	s_waitcnt vmcnt(0)
	v_cvt_f64_i32_e32 v[0:1], v0
	s_branch .LBB7_1574
.LBB7_1573:
	s_mov_b64 s[4:5], -1
                                        ; implicit-def: $vgpr0_vgpr1
.LBB7_1574:
	s_andn2_b64 vcc, exec, s[4:5]
	s_cbranch_vccnz .LBB7_1576
; %bb.1575:
	global_load_ubyte v0, v[4:5], off
	s_waitcnt vmcnt(0)
	v_cvt_f64_u32_e32 v[0:1], v0
.LBB7_1576:
	s_waitcnt vmcnt(0)
	v_mov_b32_e32 v2, 0
	v_mov_b32_e32 v3, 0
.LBB7_1577:
	s_mov_b64 s[8:9], -1
.LBB7_1578:
	s_andn2_b64 vcc, exec, s[8:9]
	s_cbranch_vccnz .LBB7_2012
; %bb.1579:
	s_getpc_b64 s[4:5]
	s_add_u32 s4, s4, _ZZZZN2at6native16asin_kernel_cudaERNS_18TensorIteratorBaseEENKUlvE_clEvENKUlvE_clEvENKUlN3c107complexIdEEE_clES7_@rel32@lo+4
	s_addc_u32 s5, s5, _ZZZZN2at6native16asin_kernel_cudaERNS_18TensorIteratorBaseEENKUlvE_clEvENKUlvE_clEvENKUlN3c107complexIdEEE_clES7_@rel32@hi+12
	s_swappc_b64 s[30:31], s[4:5]
	v_mul_lo_u32 v6, s34, v47
	v_mov_b32_e32 v5, s37
	s_and_b32 s14, s27, 0xff
	s_cmp_lt_i32 s14, 11
	v_ashrrev_i32_e32 v7, 31, v6
	v_add_co_u32_e32 v4, vcc, s36, v6
	v_addc_co_u32_e32 v5, vcc, v5, v7, vcc
	s_cbranch_scc1 .LBB7_1657
; %bb.1580:
	s_and_b32 s15, 0xffff, s14
	s_mov_b64 s[10:11], -1
	s_mov_b64 s[6:7], 0
	s_cmp_gt_i32 s15, 25
	s_mov_b64 s[8:9], 0
	s_mov_b64 s[4:5], 0
	s_cbranch_scc0 .LBB7_1613
; %bb.1581:
	s_cmp_gt_i32 s15, 28
	s_cbranch_scc0 .LBB7_1596
; %bb.1582:
	s_cmp_gt_i32 s15, 43
	;; [unrolled: 3-line block ×3, first 2 shown]
	s_cbranch_scc0 .LBB7_1586
; %bb.1584:
	s_mov_b64 s[4:5], -1
	s_mov_b64 s[10:11], 0
	s_cmp_eq_u32 s15, 46
	s_cbranch_scc0 .LBB7_1586
; %bb.1585:
	v_cvt_f32_f64_e32 v8, v[52:53]
	v_cvt_f32_f64_e32 v7, v[50:51]
	s_movk_i32 s4, 0x7fff
	v_mov_b32_e32 v11, 0x7fc00000
	v_bfe_u32 v10, v8, 16, 1
	v_add3_u32 v10, v8, v10, s4
	v_bfe_u32 v9, v7, 16, 1
	v_and_b32_e32 v10, 0xffff0000, v10
	v_cmp_o_f32_e32 vcc, v8, v8
	v_add3_u32 v9, v7, v9, s4
	v_cndmask_b32_e32 v8, v11, v10, vcc
	v_cmp_o_f32_e32 vcc, v7, v7
	v_mov_b32_e32 v7, 0x7fc0
	v_cndmask_b32_sdwa v7, v7, v9, vcc dst_sel:DWORD dst_unused:UNUSED_PAD src0_sel:DWORD src1_sel:WORD_1
	v_or_b32_e32 v7, v8, v7
	global_store_dword v[4:5], v7, off
	s_mov_b64 s[4:5], 0
	s_mov_b64 s[8:9], -1
.LBB7_1586:
	s_and_b64 vcc, exec, s[10:11]
	s_cbranch_vccz .LBB7_1591
; %bb.1587:
	s_cmp_eq_u32 s15, 44
	s_mov_b64 s[4:5], -1
	s_cbranch_scc0 .LBB7_1591
; %bb.1588:
	v_cvt_f32_f64_e32 v7, v[50:51]
	s_movk_i32 s4, 0xff
	v_mov_b32_e32 v9, 0xff
	v_bfe_u32 v8, v7, 23, 8
	v_cmp_ne_u32_e32 vcc, s4, v8
	s_and_saveexec_b64 s[8:9], vcc
; %bb.1589:
	s_mov_b32 s4, 0x3fffff
	v_lshrrev_b32_e32 v9, 23, v7
	v_and_b32_e32 v10, 0x400000, v7
	v_and_or_b32 v7, v7, s4, v8
	v_cmp_ne_u32_e32 vcc, 0, v10
	v_cmp_ne_u32_e64 s[4:5], 0, v7
	s_and_b64 s[4:5], vcc, s[4:5]
	v_cndmask_b32_e64 v7, 0, 1, s[4:5]
	v_add_u32_e32 v9, v9, v7
; %bb.1590:
	s_or_b64 exec, exec, s[8:9]
	s_mov_b64 s[4:5], 0
	s_mov_b64 s[8:9], -1
	global_store_byte v[4:5], v9, off
.LBB7_1591:
	s_mov_b64 s[10:11], 0
.LBB7_1592:
	s_and_b64 vcc, exec, s[10:11]
	s_cbranch_vccz .LBB7_1595
; %bb.1593:
	s_cmp_eq_u32 s15, 29
	s_mov_b64 s[4:5], -1
	s_cbranch_scc0 .LBB7_1595
; %bb.1594:
	v_trunc_f64_e32 v[7:8], v[50:51]
	s_movk_i32 s4, 0xffe0
	s_mov_b64 s[8:9], -1
	v_ldexp_f64 v[9:10], v[7:8], s4
	s_mov_b32 s4, 0
	s_mov_b32 s5, 0xc1f00000
	v_floor_f64_e32 v[9:10], v[9:10]
	v_fma_f64 v[7:8], v[9:10], s[4:5], v[7:8]
	v_cvt_u32_f64_e32 v9, v[9:10]
	s_mov_b64 s[4:5], 0
	v_cvt_u32_f64_e32 v8, v[7:8]
	global_store_dwordx2 v[4:5], v[8:9], off
.LBB7_1595:
	s_mov_b64 s[10:11], 0
.LBB7_1596:
	s_and_b64 vcc, exec, s[10:11]
	s_cbranch_vccz .LBB7_1612
; %bb.1597:
	s_cmp_lt_i32 s15, 27
	s_mov_b64 s[8:9], -1
	s_cbranch_scc1 .LBB7_1603
; %bb.1598:
	v_cvt_u32_f64_e32 v7, v[50:51]
	s_cmp_gt_i32 s15, 27
	s_cbranch_scc0 .LBB7_1600
; %bb.1599:
	s_mov_b64 s[8:9], 0
	global_store_dword v[4:5], v7, off
.LBB7_1600:
	s_andn2_b64 vcc, exec, s[8:9]
	s_cbranch_vccnz .LBB7_1602
; %bb.1601:
	global_store_short v[4:5], v7, off
.LBB7_1602:
	s_mov_b64 s[8:9], 0
.LBB7_1603:
	s_andn2_b64 vcc, exec, s[8:9]
	s_cbranch_vccnz .LBB7_1611
; %bb.1604:
	v_cvt_f32_f64_e32 v7, v[50:51]
	s_mov_b32 s8, 0x43800000
	v_mov_b32_e32 v9, 0x80
	v_and_b32_e32 v8, 0x7fffffff, v7
	v_cmp_gt_u32_e32 vcc, s8, v8
	s_and_saveexec_b64 s[8:9], vcc
	s_cbranch_execz .LBB7_1610
; %bb.1605:
	s_mov_b32 s10, 0x3bffffff
	v_cmp_lt_u32_e32 vcc, s10, v8
	s_mov_b64 s[10:11], 0
                                        ; implicit-def: $vgpr8
	s_and_saveexec_b64 s[12:13], vcc
	s_xor_b64 s[12:13], exec, s[12:13]
	s_cbranch_execz .LBB7_2058
; %bb.1606:
	v_bfe_u32 v8, v7, 20, 1
	s_mov_b32 s16, 0x487ffff
	v_add3_u32 v8, v7, v8, s16
	s_mov_b64 s[10:11], exec
	v_lshrrev_b32_e32 v8, 20, v8
	s_andn2_saveexec_b64 s[12:13], s[12:13]
	s_cbranch_execnz .LBB7_2059
.LBB7_1607:
	s_or_b64 exec, exec, s[12:13]
	v_mov_b32_e32 v9, 0
	s_and_saveexec_b64 s[12:13], s[10:11]
.LBB7_1608:
	v_lshrrev_b32_e32 v7, 24, v7
	s_movk_i32 s10, 0x80
	v_and_or_b32 v9, v7, s10, v8
.LBB7_1609:
	s_or_b64 exec, exec, s[12:13]
.LBB7_1610:
	s_or_b64 exec, exec, s[8:9]
	global_store_byte v[4:5], v9, off
.LBB7_1611:
	s_mov_b64 s[8:9], -1
.LBB7_1612:
	s_mov_b64 s[10:11], 0
.LBB7_1613:
	s_and_b64 vcc, exec, s[10:11]
	s_cbranch_vccz .LBB7_1653
; %bb.1614:
	s_cmp_gt_i32 s15, 22
	s_mov_b64 s[6:7], -1
	s_cbranch_scc0 .LBB7_1646
; %bb.1615:
	s_cmp_lt_i32 s15, 24
	s_cbranch_scc1 .LBB7_1635
; %bb.1616:
	s_cmp_gt_i32 s15, 24
	s_cbranch_scc0 .LBB7_1624
; %bb.1617:
	v_cvt_f32_f64_e32 v7, v[50:51]
	s_mov_b32 s6, 0x47800000
	v_mov_b32_e32 v9, 0x80
	v_and_b32_e32 v8, 0x7fffffff, v7
	v_cmp_gt_u32_e32 vcc, s6, v8
	s_and_saveexec_b64 s[6:7], vcc
	s_cbranch_execz .LBB7_1623
; %bb.1618:
	s_mov_b32 s8, 0x37ffffff
	v_cmp_lt_u32_e32 vcc, s8, v8
	s_mov_b64 s[8:9], 0
                                        ; implicit-def: $vgpr8
	s_and_saveexec_b64 s[10:11], vcc
	s_xor_b64 s[10:11], exec, s[10:11]
	s_cbranch_execz .LBB7_2061
; %bb.1619:
	v_bfe_u32 v8, v7, 21, 1
	s_mov_b32 s12, 0x88fffff
	v_add3_u32 v8, v7, v8, s12
	s_mov_b64 s[8:9], exec
	v_lshrrev_b32_e32 v8, 21, v8
	s_andn2_saveexec_b64 s[10:11], s[10:11]
	s_cbranch_execnz .LBB7_2062
.LBB7_1620:
	s_or_b64 exec, exec, s[10:11]
	v_mov_b32_e32 v9, 0
	s_and_saveexec_b64 s[10:11], s[8:9]
.LBB7_1621:
	v_lshrrev_b32_e32 v7, 24, v7
	s_movk_i32 s8, 0x80
	v_and_or_b32 v9, v7, s8, v8
.LBB7_1622:
	s_or_b64 exec, exec, s[10:11]
.LBB7_1623:
	s_or_b64 exec, exec, s[6:7]
	s_mov_b64 s[6:7], 0
	global_store_byte v[4:5], v9, off
.LBB7_1624:
	s_and_b64 vcc, exec, s[6:7]
	s_cbranch_vccz .LBB7_1634
; %bb.1625:
	v_cvt_f32_f64_e32 v7, v[50:51]
	s_mov_b32 s6, 0x43f00000
                                        ; implicit-def: $vgpr8
	v_and_b32_e32 v9, 0x7fffffff, v7
	v_cmp_gt_u32_e32 vcc, s6, v9
	s_and_saveexec_b64 s[6:7], vcc
	s_xor_b64 s[6:7], exec, s[6:7]
	s_cbranch_execz .LBB7_1631
; %bb.1626:
	s_mov_b32 s8, 0x3c7fffff
	v_cmp_lt_u32_e32 vcc, s8, v9
                                        ; implicit-def: $vgpr8
	s_and_saveexec_b64 s[8:9], vcc
	s_xor_b64 s[8:9], exec, s[8:9]
; %bb.1627:
	v_bfe_u32 v8, v7, 20, 1
	s_mov_b32 s10, 0x407ffff
	v_add3_u32 v8, v7, v8, s10
	v_lshrrev_b32_e32 v9, 20, v8
	v_and_b32_e32 v8, 0xff00000, v8
	s_mov_b32 s10, 0x7f00000
	v_mov_b32_e32 v10, 0x7e
	v_cmp_ne_u32_e32 vcc, s10, v8
	v_cndmask_b32_e32 v8, v10, v9, vcc
; %bb.1628:
	s_andn2_saveexec_b64 s[8:9], s[8:9]
; %bb.1629:
	s_mov_b32 s10, 0x46800000
	v_add_f32_e64 v8, |v7|, s10
; %bb.1630:
	s_or_b64 exec, exec, s[8:9]
                                        ; implicit-def: $vgpr9
.LBB7_1631:
	s_andn2_saveexec_b64 s[6:7], s[6:7]
; %bb.1632:
	s_mov_b32 s8, 0x7f800000
	v_mov_b32_e32 v8, 0x7e
	v_mov_b32_e32 v10, 0x7f
	v_cmp_lt_u32_e32 vcc, s8, v9
	v_cndmask_b32_e32 v8, v8, v10, vcc
; %bb.1633:
	s_or_b64 exec, exec, s[6:7]
	v_lshrrev_b32_e32 v7, 24, v7
	s_movk_i32 s6, 0x80
	v_and_or_b32 v7, v7, s6, v8
	global_store_byte v[4:5], v7, off
.LBB7_1634:
	s_mov_b64 s[6:7], 0
.LBB7_1635:
	s_andn2_b64 vcc, exec, s[6:7]
	s_cbranch_vccnz .LBB7_1645
; %bb.1636:
	v_cvt_f32_f64_e32 v7, v[50:51]
	s_mov_b32 s6, 0x47800000
                                        ; implicit-def: $vgpr8
	v_and_b32_e32 v9, 0x7fffffff, v7
	v_cmp_gt_u32_e32 vcc, s6, v9
	s_and_saveexec_b64 s[6:7], vcc
	s_xor_b64 s[6:7], exec, s[6:7]
	s_cbranch_execz .LBB7_1642
; %bb.1637:
	s_mov_b32 s8, 0x387fffff
	v_cmp_lt_u32_e32 vcc, s8, v9
                                        ; implicit-def: $vgpr8
	s_and_saveexec_b64 s[8:9], vcc
	s_xor_b64 s[8:9], exec, s[8:9]
; %bb.1638:
	v_bfe_u32 v8, v7, 21, 1
	s_mov_b32 s10, 0x80fffff
	v_add3_u32 v8, v7, v8, s10
	v_lshrrev_b32_e32 v8, 21, v8
; %bb.1639:
	s_andn2_saveexec_b64 s[8:9], s[8:9]
; %bb.1640:
	s_mov_b32 s10, 0x43000000
	v_add_f32_e64 v8, |v7|, s10
; %bb.1641:
	s_or_b64 exec, exec, s[8:9]
                                        ; implicit-def: $vgpr9
.LBB7_1642:
	s_andn2_saveexec_b64 s[6:7], s[6:7]
; %bb.1643:
	s_mov_b32 s8, 0x7f800000
	v_mov_b32_e32 v8, 0x7c
	v_mov_b32_e32 v10, 0x7f
	v_cmp_lt_u32_e32 vcc, s8, v9
	v_cndmask_b32_e32 v8, v8, v10, vcc
; %bb.1644:
	s_or_b64 exec, exec, s[6:7]
	v_lshrrev_b32_e32 v7, 24, v7
	s_movk_i32 s6, 0x80
	v_and_or_b32 v7, v7, s6, v8
	global_store_byte v[4:5], v7, off
.LBB7_1645:
	s_mov_b64 s[6:7], 0
	s_mov_b64 s[8:9], -1
.LBB7_1646:
	s_andn2_b64 vcc, exec, s[6:7]
	s_mov_b64 s[6:7], 0
	s_cbranch_vccnz .LBB7_1653
; %bb.1647:
	s_cmp_gt_i32 s15, 14
	s_mov_b64 s[10:11], -1
	s_cbranch_scc0 .LBB7_1651
; %bb.1648:
	s_cmp_eq_u32 s15, 15
	s_mov_b64 s[4:5], -1
	s_cbranch_scc0 .LBB7_1650
; %bb.1649:
	v_cvt_f32_f64_e32 v7, v[50:51]
	s_movk_i32 s4, 0x7fff
	v_mov_b32_e32 v8, 0x7fc0
	s_mov_b64 s[8:9], -1
	v_bfe_u32 v9, v7, 16, 1
	v_cmp_o_f32_e32 vcc, v7, v7
	v_add3_u32 v7, v7, v9, s4
	v_cndmask_b32_sdwa v7, v8, v7, vcc dst_sel:DWORD dst_unused:UNUSED_PAD src0_sel:DWORD src1_sel:WORD_1
	global_store_short v[4:5], v7, off
	s_mov_b64 s[4:5], 0
.LBB7_1650:
	s_mov_b64 s[10:11], 0
.LBB7_1651:
	s_and_b64 vcc, exec, s[10:11]
	s_cbranch_vccz .LBB7_1653
; %bb.1652:
	s_cmp_lg_u32 s15, 11
	s_mov_b64 s[6:7], -1
	s_cselect_b64 s[4:5], -1, 0
.LBB7_1653:
	s_and_b64 vcc, exec, s[4:5]
	s_cbranch_vccnz .LBB7_2060
; %bb.1654:
	s_andn2_b64 vcc, exec, s[6:7]
	s_cbranch_vccnz .LBB7_1656
.LBB7_1655:
	v_cmp_neq_f64_e32 vcc, 0, v[50:51]
	v_cmp_neq_f64_e64 s[4:5], 0, v[52:53]
	s_mov_b64 s[8:9], -1
	s_or_b64 s[4:5], vcc, s[4:5]
	v_cndmask_b32_e64 v7, 0, 1, s[4:5]
	global_store_byte v[4:5], v7, off
.LBB7_1656:
	s_mov_b64 s[4:5], 0
	s_branch .LBB7_1658
.LBB7_1657:
	s_mov_b64 s[4:5], -1
	s_mov_b64 s[8:9], 0
.LBB7_1658:
	s_and_b64 vcc, exec, s[4:5]
	s_cbranch_vccz .LBB7_1697
; %bb.1659:
	s_and_b32 s6, 0xffff, s14
	s_cmp_lt_i32 s6, 5
	s_mov_b64 s[4:5], -1
	s_cbranch_scc1 .LBB7_1680
; %bb.1660:
	s_cmp_lt_i32 s6, 8
	s_cbranch_scc1 .LBB7_1670
; %bb.1661:
	s_cmp_lt_i32 s6, 9
	s_cbranch_scc1 .LBB7_1667
; %bb.1662:
	s_cmp_gt_i32 s6, 9
	s_cbranch_scc0 .LBB7_1664
; %bb.1663:
	global_store_dwordx4 v[4:5], v[50:53], off
	s_mov_b64 s[4:5], 0
.LBB7_1664:
	s_andn2_b64 vcc, exec, s[4:5]
	s_cbranch_vccnz .LBB7_1666
; %bb.1665:
	v_cvt_f32_f64_e32 v7, v[50:51]
	v_cvt_f32_f64_e32 v8, v[52:53]
	global_store_dwordx2 v[4:5], v[7:8], off
.LBB7_1666:
	s_mov_b64 s[4:5], 0
.LBB7_1667:
	s_andn2_b64 vcc, exec, s[4:5]
	s_cbranch_vccnz .LBB7_1669
; %bb.1668:
	s_movk_i32 s4, 0x1ff
	v_and_or_b32 v7, v51, s4, v50
	v_cmp_ne_u32_e32 vcc, 0, v7
	v_cndmask_b32_e64 v7, 0, 1, vcc
	v_lshrrev_b32_e32 v8, 8, v51
	s_movk_i32 s5, 0xffe
	v_bfe_u32 v9, v51, 20, 11
	v_and_or_b32 v7, v8, s5, v7
	v_sub_u32_e32 v10, 0x3f1, v9
	v_or_b32_e32 v8, 0x1000, v7
	v_med3_i32 v10, v10, 0, 13
	v_lshrrev_b32_e32 v11, v10, v8
	v_lshlrev_b32_e32 v10, v10, v11
	v_cmp_ne_u32_e32 vcc, v10, v8
	v_cndmask_b32_e64 v8, 0, 1, vcc
	v_add_u32_e32 v9, 0xfffffc10, v9
	v_or_b32_e32 v8, v11, v8
	v_lshl_or_b32 v10, v9, 12, v7
	v_cmp_gt_i32_e32 vcc, 1, v9
	v_cndmask_b32_e32 v8, v10, v8, vcc
	v_and_b32_e32 v10, 7, v8
	v_cmp_lt_i32_e32 vcc, 5, v10
	v_cndmask_b32_e64 v11, 0, 1, vcc
	v_cmp_eq_u32_e32 vcc, 3, v10
	v_cndmask_b32_e64 v10, 0, 1, vcc
	v_or_b32_e32 v10, v10, v11
	v_lshrrev_b32_e32 v8, 2, v8
	v_add_u32_e32 v8, v8, v10
	v_mov_b32_e32 v10, 0x7c00
	v_cmp_gt_i32_e32 vcc, 31, v9
	v_cndmask_b32_e32 v8, v10, v8, vcc
	v_mov_b32_e32 v11, 0x7e00
	v_cmp_ne_u32_e32 vcc, 0, v7
	s_movk_i32 s7, 0x40f
	v_cndmask_b32_e32 v7, v10, v11, vcc
	v_cmp_eq_u32_e32 vcc, s7, v9
	v_cndmask_b32_e32 v7, v8, v7, vcc
	v_lshrrev_b32_e32 v8, 16, v51
	s_mov_b32 s8, 0x8000
	v_and_or_b32 v7, v8, s8, v7
	v_and_or_b32 v8, v53, s4, v52
	v_cmp_ne_u32_e32 vcc, 0, v8
	v_cndmask_b32_e64 v8, 0, 1, vcc
	v_lshrrev_b32_e32 v9, 8, v53
	v_bfe_u32 v12, v53, 20, 11
	v_and_or_b32 v8, v9, s5, v8
	v_sub_u32_e32 v13, 0x3f1, v12
	v_or_b32_e32 v9, 0x1000, v8
	v_med3_i32 v13, v13, 0, 13
	v_lshrrev_b32_e32 v14, v13, v9
	v_lshlrev_b32_e32 v13, v13, v14
	v_cmp_ne_u32_e32 vcc, v13, v9
	v_cndmask_b32_e64 v9, 0, 1, vcc
	v_add_u32_e32 v12, 0xfffffc10, v12
	v_or_b32_e32 v9, v14, v9
	v_lshl_or_b32 v13, v12, 12, v8
	v_cmp_gt_i32_e32 vcc, 1, v12
	v_cndmask_b32_e32 v9, v13, v9, vcc
	v_and_b32_e32 v13, 7, v9
	v_cmp_lt_i32_e32 vcc, 5, v13
	v_cndmask_b32_e64 v14, 0, 1, vcc
	v_cmp_eq_u32_e32 vcc, 3, v13
	v_cndmask_b32_e64 v13, 0, 1, vcc
	v_or_b32_e32 v13, v13, v14
	v_lshrrev_b32_e32 v9, 2, v9
	v_add_u32_e32 v9, v9, v13
	v_cmp_gt_i32_e32 vcc, 31, v12
	v_cndmask_b32_e32 v9, v10, v9, vcc
	v_cmp_ne_u32_e32 vcc, 0, v8
	v_cndmask_b32_e32 v8, v10, v11, vcc
	v_cmp_eq_u32_e32 vcc, s7, v12
	v_cndmask_b32_e32 v8, v9, v8, vcc
	v_lshrrev_b32_e32 v9, 16, v53
	v_and_or_b32 v8, v9, s8, v8
	v_and_b32_e32 v7, 0xffff, v7
	v_lshl_or_b32 v7, v8, 16, v7
	global_store_dword v[4:5], v7, off
.LBB7_1669:
	s_mov_b64 s[4:5], 0
.LBB7_1670:
	s_andn2_b64 vcc, exec, s[4:5]
	s_cbranch_vccnz .LBB7_1679
; %bb.1671:
	s_cmp_lt_i32 s6, 6
	s_mov_b64 s[4:5], -1
	s_cbranch_scc1 .LBB7_1677
; %bb.1672:
	s_cmp_gt_i32 s6, 6
	s_cbranch_scc0 .LBB7_1674
; %bb.1673:
	global_store_dwordx2 v[4:5], v[50:51], off
	s_mov_b64 s[4:5], 0
.LBB7_1674:
	s_andn2_b64 vcc, exec, s[4:5]
	s_cbranch_vccnz .LBB7_1676
; %bb.1675:
	v_cvt_f32_f64_e32 v7, v[50:51]
	global_store_dword v[4:5], v7, off
.LBB7_1676:
	s_mov_b64 s[4:5], 0
.LBB7_1677:
	s_andn2_b64 vcc, exec, s[4:5]
	s_cbranch_vccnz .LBB7_1679
; %bb.1678:
	s_movk_i32 s4, 0x1ff
	v_and_or_b32 v7, v51, s4, v50
	v_cmp_ne_u32_e32 vcc, 0, v7
	v_cndmask_b32_e64 v7, 0, 1, vcc
	v_lshrrev_b32_e32 v8, 8, v51
	s_movk_i32 s4, 0xffe
	v_bfe_u32 v9, v51, 20, 11
	v_and_or_b32 v7, v8, s4, v7
	v_sub_u32_e32 v10, 0x3f1, v9
	v_or_b32_e32 v8, 0x1000, v7
	v_med3_i32 v10, v10, 0, 13
	v_lshrrev_b32_e32 v11, v10, v8
	v_lshlrev_b32_e32 v10, v10, v11
	v_cmp_ne_u32_e32 vcc, v10, v8
	v_cndmask_b32_e64 v8, 0, 1, vcc
	v_add_u32_e32 v9, 0xfffffc10, v9
	v_or_b32_e32 v8, v11, v8
	v_lshl_or_b32 v10, v9, 12, v7
	v_cmp_gt_i32_e32 vcc, 1, v9
	v_cndmask_b32_e32 v8, v10, v8, vcc
	v_and_b32_e32 v10, 7, v8
	v_cmp_lt_i32_e32 vcc, 5, v10
	v_cndmask_b32_e64 v11, 0, 1, vcc
	v_cmp_eq_u32_e32 vcc, 3, v10
	v_cndmask_b32_e64 v10, 0, 1, vcc
	v_or_b32_e32 v10, v10, v11
	v_lshrrev_b32_e32 v8, 2, v8
	v_add_u32_e32 v8, v8, v10
	v_mov_b32_e32 v10, 0x7c00
	v_cmp_gt_i32_e32 vcc, 31, v9
	v_cndmask_b32_e32 v8, v10, v8, vcc
	v_mov_b32_e32 v11, 0x7e00
	v_cmp_ne_u32_e32 vcc, 0, v7
	s_movk_i32 s4, 0x40f
	v_cndmask_b32_e32 v7, v10, v11, vcc
	v_cmp_eq_u32_e32 vcc, s4, v9
	v_cndmask_b32_e32 v7, v8, v7, vcc
	v_lshrrev_b32_e32 v8, 16, v51
	s_mov_b32 s4, 0x8000
	v_and_or_b32 v7, v8, s4, v7
	global_store_short v[4:5], v7, off
.LBB7_1679:
	s_mov_b64 s[4:5], 0
.LBB7_1680:
	s_andn2_b64 vcc, exec, s[4:5]
	s_cbranch_vccnz .LBB7_1696
; %bb.1681:
	s_cmp_lt_i32 s6, 2
	s_mov_b64 s[4:5], -1
	s_cbranch_scc1 .LBB7_1691
; %bb.1682:
	s_cmp_lt_i32 s6, 3
	s_cbranch_scc1 .LBB7_1688
; %bb.1683:
	s_cmp_gt_i32 s6, 3
	s_cbranch_scc0 .LBB7_1685
; %bb.1684:
	v_trunc_f64_e32 v[7:8], v[50:51]
	s_movk_i32 s4, 0xffe0
	v_ldexp_f64 v[9:10], v[7:8], s4
	s_mov_b32 s4, 0
	s_mov_b32 s5, 0xc1f00000
	v_floor_f64_e32 v[9:10], v[9:10]
	v_fma_f64 v[7:8], v[9:10], s[4:5], v[7:8]
	v_cvt_i32_f64_e32 v9, v[9:10]
	s_mov_b64 s[4:5], 0
	v_cvt_u32_f64_e32 v8, v[7:8]
	global_store_dwordx2 v[4:5], v[8:9], off
.LBB7_1685:
	s_andn2_b64 vcc, exec, s[4:5]
	s_cbranch_vccnz .LBB7_1687
; %bb.1686:
	v_cvt_i32_f64_e32 v7, v[50:51]
	global_store_dword v[4:5], v7, off
.LBB7_1687:
	s_mov_b64 s[4:5], 0
.LBB7_1688:
	s_andn2_b64 vcc, exec, s[4:5]
	s_cbranch_vccnz .LBB7_1690
; %bb.1689:
	v_cvt_i32_f64_e32 v7, v[50:51]
	global_store_short v[4:5], v7, off
.LBB7_1690:
	s_mov_b64 s[4:5], 0
.LBB7_1691:
	s_andn2_b64 vcc, exec, s[4:5]
	s_cbranch_vccnz .LBB7_1696
; %bb.1692:
	s_cmp_gt_i32 s6, 0
	s_mov_b64 s[4:5], -1
	s_cbranch_scc0 .LBB7_1694
; %bb.1693:
	v_cvt_i32_f64_e32 v7, v[50:51]
	s_mov_b64 s[4:5], 0
	global_store_byte v[4:5], v7, off
.LBB7_1694:
	s_andn2_b64 vcc, exec, s[4:5]
	s_cbranch_vccnz .LBB7_1696
; %bb.1695:
	v_trunc_f64_e32 v[7:8], v[50:51]
	s_movk_i32 s4, 0xffe0
	v_ldexp_f64 v[9:10], v[7:8], s4
	s_mov_b32 s4, 0
	s_mov_b32 s5, 0xc1f00000
	v_floor_f64_e32 v[9:10], v[9:10]
	v_fma_f64 v[7:8], v[9:10], s[4:5], v[7:8]
	v_cvt_u32_f64_e32 v7, v[7:8]
	global_store_byte v[4:5], v7, off
.LBB7_1696:
	s_mov_b64 s[8:9], -1
.LBB7_1697:
	s_andn2_b64 vcc, exec, s[8:9]
	s_cbranch_vccnz .LBB7_2012
; %bb.1698:
	s_lshl_b32 s15, s34, 7
	v_add_u32_e32 v6, s15, v6
	v_ashrrev_i32_e32 v5, 31, v6
	v_mov_b32_e32 v7, s37
	v_add_co_u32_e32 v4, vcc, s36, v6
	s_cmp_lt_i32 s14, 11
	v_addc_co_u32_e32 v5, vcc, v7, v5, vcc
	s_cbranch_scc1 .LBB7_1776
; %bb.1699:
	s_and_b32 s16, 0xffff, s14
	s_mov_b64 s[10:11], -1
	s_mov_b64 s[6:7], 0
	s_cmp_gt_i32 s16, 25
	s_mov_b64 s[8:9], 0
	s_mov_b64 s[4:5], 0
	s_cbranch_scc0 .LBB7_1732
; %bb.1700:
	s_cmp_gt_i32 s16, 28
	s_cbranch_scc0 .LBB7_1715
; %bb.1701:
	s_cmp_gt_i32 s16, 43
	;; [unrolled: 3-line block ×3, first 2 shown]
	s_cbranch_scc0 .LBB7_1705
; %bb.1703:
	s_mov_b64 s[4:5], -1
	s_mov_b64 s[10:11], 0
	s_cmp_eq_u32 s16, 46
	s_cbranch_scc0 .LBB7_1705
; %bb.1704:
	v_cvt_f32_f64_e32 v8, v[45:46]
	v_cvt_f32_f64_e32 v7, v[43:44]
	s_movk_i32 s4, 0x7fff
	v_mov_b32_e32 v11, 0x7fc00000
	v_bfe_u32 v10, v8, 16, 1
	v_add3_u32 v10, v8, v10, s4
	v_bfe_u32 v9, v7, 16, 1
	v_and_b32_e32 v10, 0xffff0000, v10
	v_cmp_o_f32_e32 vcc, v8, v8
	v_add3_u32 v9, v7, v9, s4
	v_cndmask_b32_e32 v8, v11, v10, vcc
	v_cmp_o_f32_e32 vcc, v7, v7
	v_mov_b32_e32 v7, 0x7fc0
	v_cndmask_b32_sdwa v7, v7, v9, vcc dst_sel:DWORD dst_unused:UNUSED_PAD src0_sel:DWORD src1_sel:WORD_1
	v_or_b32_e32 v7, v8, v7
	global_store_dword v[4:5], v7, off
	s_mov_b64 s[4:5], 0
	s_mov_b64 s[8:9], -1
.LBB7_1705:
	s_and_b64 vcc, exec, s[10:11]
	s_cbranch_vccz .LBB7_1710
; %bb.1706:
	s_cmp_eq_u32 s16, 44
	s_mov_b64 s[4:5], -1
	s_cbranch_scc0 .LBB7_1710
; %bb.1707:
	v_cvt_f32_f64_e32 v7, v[43:44]
	s_movk_i32 s4, 0xff
	v_mov_b32_e32 v9, 0xff
	v_bfe_u32 v8, v7, 23, 8
	v_cmp_ne_u32_e32 vcc, s4, v8
	s_and_saveexec_b64 s[8:9], vcc
; %bb.1708:
	s_mov_b32 s4, 0x3fffff
	v_lshrrev_b32_e32 v9, 23, v7
	v_and_b32_e32 v10, 0x400000, v7
	v_and_or_b32 v7, v7, s4, v8
	v_cmp_ne_u32_e32 vcc, 0, v10
	v_cmp_ne_u32_e64 s[4:5], 0, v7
	s_and_b64 s[4:5], vcc, s[4:5]
	v_cndmask_b32_e64 v7, 0, 1, s[4:5]
	v_add_u32_e32 v9, v9, v7
; %bb.1709:
	s_or_b64 exec, exec, s[8:9]
	s_mov_b64 s[4:5], 0
	s_mov_b64 s[8:9], -1
	global_store_byte v[4:5], v9, off
.LBB7_1710:
	s_mov_b64 s[10:11], 0
.LBB7_1711:
	s_and_b64 vcc, exec, s[10:11]
	s_cbranch_vccz .LBB7_1714
; %bb.1712:
	s_cmp_eq_u32 s16, 29
	s_mov_b64 s[4:5], -1
	s_cbranch_scc0 .LBB7_1714
; %bb.1713:
	v_trunc_f64_e32 v[7:8], v[43:44]
	s_movk_i32 s4, 0xffe0
	s_mov_b64 s[8:9], -1
	v_ldexp_f64 v[9:10], v[7:8], s4
	s_mov_b32 s4, 0
	s_mov_b32 s5, 0xc1f00000
	v_floor_f64_e32 v[9:10], v[9:10]
	v_fma_f64 v[7:8], v[9:10], s[4:5], v[7:8]
	v_cvt_u32_f64_e32 v9, v[9:10]
	s_mov_b64 s[4:5], 0
	v_cvt_u32_f64_e32 v8, v[7:8]
	global_store_dwordx2 v[4:5], v[8:9], off
.LBB7_1714:
	s_mov_b64 s[10:11], 0
.LBB7_1715:
	s_and_b64 vcc, exec, s[10:11]
	s_cbranch_vccz .LBB7_1731
; %bb.1716:
	s_cmp_lt_i32 s16, 27
	s_mov_b64 s[8:9], -1
	s_cbranch_scc1 .LBB7_1722
; %bb.1717:
	v_cvt_u32_f64_e32 v7, v[43:44]
	s_cmp_gt_i32 s16, 27
	s_cbranch_scc0 .LBB7_1719
; %bb.1718:
	s_mov_b64 s[8:9], 0
	global_store_dword v[4:5], v7, off
.LBB7_1719:
	s_andn2_b64 vcc, exec, s[8:9]
	s_cbranch_vccnz .LBB7_1721
; %bb.1720:
	global_store_short v[4:5], v7, off
.LBB7_1721:
	s_mov_b64 s[8:9], 0
.LBB7_1722:
	s_andn2_b64 vcc, exec, s[8:9]
	s_cbranch_vccnz .LBB7_1730
; %bb.1723:
	v_cvt_f32_f64_e32 v7, v[43:44]
	s_mov_b32 s8, 0x43800000
	v_mov_b32_e32 v9, 0x80
	v_and_b32_e32 v8, 0x7fffffff, v7
	v_cmp_gt_u32_e32 vcc, s8, v8
	s_and_saveexec_b64 s[8:9], vcc
	s_cbranch_execz .LBB7_1729
; %bb.1724:
	s_mov_b32 s10, 0x3bffffff
	v_cmp_lt_u32_e32 vcc, s10, v8
	s_mov_b64 s[10:11], 0
                                        ; implicit-def: $vgpr8
	s_and_saveexec_b64 s[12:13], vcc
	s_xor_b64 s[12:13], exec, s[12:13]
	s_cbranch_execz .LBB7_2063
; %bb.1725:
	v_bfe_u32 v8, v7, 20, 1
	s_mov_b32 s17, 0x487ffff
	v_add3_u32 v8, v7, v8, s17
	s_mov_b64 s[10:11], exec
	v_lshrrev_b32_e32 v8, 20, v8
	s_andn2_saveexec_b64 s[12:13], s[12:13]
	s_cbranch_execnz .LBB7_2064
.LBB7_1726:
	s_or_b64 exec, exec, s[12:13]
	v_mov_b32_e32 v9, 0
	s_and_saveexec_b64 s[12:13], s[10:11]
.LBB7_1727:
	v_lshrrev_b32_e32 v7, 24, v7
	s_movk_i32 s10, 0x80
	v_and_or_b32 v9, v7, s10, v8
.LBB7_1728:
	s_or_b64 exec, exec, s[12:13]
.LBB7_1729:
	s_or_b64 exec, exec, s[8:9]
	global_store_byte v[4:5], v9, off
.LBB7_1730:
	s_mov_b64 s[8:9], -1
.LBB7_1731:
	s_mov_b64 s[10:11], 0
.LBB7_1732:
	s_and_b64 vcc, exec, s[10:11]
	s_cbranch_vccz .LBB7_1772
; %bb.1733:
	s_cmp_gt_i32 s16, 22
	s_mov_b64 s[6:7], -1
	s_cbranch_scc0 .LBB7_1765
; %bb.1734:
	s_cmp_lt_i32 s16, 24
	s_cbranch_scc1 .LBB7_1754
; %bb.1735:
	s_cmp_gt_i32 s16, 24
	s_cbranch_scc0 .LBB7_1743
; %bb.1736:
	v_cvt_f32_f64_e32 v7, v[43:44]
	s_mov_b32 s6, 0x47800000
	v_mov_b32_e32 v9, 0x80
	v_and_b32_e32 v8, 0x7fffffff, v7
	v_cmp_gt_u32_e32 vcc, s6, v8
	s_and_saveexec_b64 s[6:7], vcc
	s_cbranch_execz .LBB7_1742
; %bb.1737:
	s_mov_b32 s8, 0x37ffffff
	v_cmp_lt_u32_e32 vcc, s8, v8
	s_mov_b64 s[8:9], 0
                                        ; implicit-def: $vgpr8
	s_and_saveexec_b64 s[10:11], vcc
	s_xor_b64 s[10:11], exec, s[10:11]
	s_cbranch_execz .LBB7_2066
; %bb.1738:
	v_bfe_u32 v8, v7, 21, 1
	s_mov_b32 s12, 0x88fffff
	v_add3_u32 v8, v7, v8, s12
	s_mov_b64 s[8:9], exec
	v_lshrrev_b32_e32 v8, 21, v8
	s_andn2_saveexec_b64 s[10:11], s[10:11]
	s_cbranch_execnz .LBB7_2067
.LBB7_1739:
	s_or_b64 exec, exec, s[10:11]
	v_mov_b32_e32 v9, 0
	s_and_saveexec_b64 s[10:11], s[8:9]
.LBB7_1740:
	v_lshrrev_b32_e32 v7, 24, v7
	s_movk_i32 s8, 0x80
	v_and_or_b32 v9, v7, s8, v8
.LBB7_1741:
	s_or_b64 exec, exec, s[10:11]
.LBB7_1742:
	s_or_b64 exec, exec, s[6:7]
	s_mov_b64 s[6:7], 0
	global_store_byte v[4:5], v9, off
.LBB7_1743:
	s_and_b64 vcc, exec, s[6:7]
	s_cbranch_vccz .LBB7_1753
; %bb.1744:
	v_cvt_f32_f64_e32 v7, v[43:44]
	s_mov_b32 s6, 0x43f00000
                                        ; implicit-def: $vgpr8
	v_and_b32_e32 v9, 0x7fffffff, v7
	v_cmp_gt_u32_e32 vcc, s6, v9
	s_and_saveexec_b64 s[6:7], vcc
	s_xor_b64 s[6:7], exec, s[6:7]
	s_cbranch_execz .LBB7_1750
; %bb.1745:
	s_mov_b32 s8, 0x3c7fffff
	v_cmp_lt_u32_e32 vcc, s8, v9
                                        ; implicit-def: $vgpr8
	s_and_saveexec_b64 s[8:9], vcc
	s_xor_b64 s[8:9], exec, s[8:9]
; %bb.1746:
	v_bfe_u32 v8, v7, 20, 1
	s_mov_b32 s10, 0x407ffff
	v_add3_u32 v8, v7, v8, s10
	v_lshrrev_b32_e32 v9, 20, v8
	v_and_b32_e32 v8, 0xff00000, v8
	s_mov_b32 s10, 0x7f00000
	v_mov_b32_e32 v10, 0x7e
	v_cmp_ne_u32_e32 vcc, s10, v8
	v_cndmask_b32_e32 v8, v10, v9, vcc
; %bb.1747:
	s_andn2_saveexec_b64 s[8:9], s[8:9]
; %bb.1748:
	s_mov_b32 s10, 0x46800000
	v_add_f32_e64 v8, |v7|, s10
; %bb.1749:
	s_or_b64 exec, exec, s[8:9]
                                        ; implicit-def: $vgpr9
.LBB7_1750:
	s_andn2_saveexec_b64 s[6:7], s[6:7]
; %bb.1751:
	s_mov_b32 s8, 0x7f800000
	v_mov_b32_e32 v8, 0x7e
	v_mov_b32_e32 v10, 0x7f
	v_cmp_lt_u32_e32 vcc, s8, v9
	v_cndmask_b32_e32 v8, v8, v10, vcc
; %bb.1752:
	s_or_b64 exec, exec, s[6:7]
	v_lshrrev_b32_e32 v7, 24, v7
	s_movk_i32 s6, 0x80
	v_and_or_b32 v7, v7, s6, v8
	global_store_byte v[4:5], v7, off
.LBB7_1753:
	s_mov_b64 s[6:7], 0
.LBB7_1754:
	s_andn2_b64 vcc, exec, s[6:7]
	s_cbranch_vccnz .LBB7_1764
; %bb.1755:
	v_cvt_f32_f64_e32 v7, v[43:44]
	s_mov_b32 s6, 0x47800000
                                        ; implicit-def: $vgpr8
	v_and_b32_e32 v9, 0x7fffffff, v7
	v_cmp_gt_u32_e32 vcc, s6, v9
	s_and_saveexec_b64 s[6:7], vcc
	s_xor_b64 s[6:7], exec, s[6:7]
	s_cbranch_execz .LBB7_1761
; %bb.1756:
	s_mov_b32 s8, 0x387fffff
	v_cmp_lt_u32_e32 vcc, s8, v9
                                        ; implicit-def: $vgpr8
	s_and_saveexec_b64 s[8:9], vcc
	s_xor_b64 s[8:9], exec, s[8:9]
; %bb.1757:
	v_bfe_u32 v8, v7, 21, 1
	s_mov_b32 s10, 0x80fffff
	v_add3_u32 v8, v7, v8, s10
	v_lshrrev_b32_e32 v8, 21, v8
; %bb.1758:
	s_andn2_saveexec_b64 s[8:9], s[8:9]
; %bb.1759:
	s_mov_b32 s10, 0x43000000
	v_add_f32_e64 v8, |v7|, s10
; %bb.1760:
	s_or_b64 exec, exec, s[8:9]
                                        ; implicit-def: $vgpr9
.LBB7_1761:
	s_andn2_saveexec_b64 s[6:7], s[6:7]
; %bb.1762:
	s_mov_b32 s8, 0x7f800000
	v_mov_b32_e32 v8, 0x7c
	v_mov_b32_e32 v10, 0x7f
	v_cmp_lt_u32_e32 vcc, s8, v9
	v_cndmask_b32_e32 v8, v8, v10, vcc
; %bb.1763:
	s_or_b64 exec, exec, s[6:7]
	v_lshrrev_b32_e32 v7, 24, v7
	s_movk_i32 s6, 0x80
	v_and_or_b32 v7, v7, s6, v8
	global_store_byte v[4:5], v7, off
.LBB7_1764:
	s_mov_b64 s[6:7], 0
	s_mov_b64 s[8:9], -1
.LBB7_1765:
	s_andn2_b64 vcc, exec, s[6:7]
	s_mov_b64 s[6:7], 0
	s_cbranch_vccnz .LBB7_1772
; %bb.1766:
	s_cmp_gt_i32 s16, 14
	s_mov_b64 s[10:11], -1
	s_cbranch_scc0 .LBB7_1770
; %bb.1767:
	s_cmp_eq_u32 s16, 15
	s_mov_b64 s[4:5], -1
	s_cbranch_scc0 .LBB7_1769
; %bb.1768:
	v_cvt_f32_f64_e32 v7, v[43:44]
	s_movk_i32 s4, 0x7fff
	v_mov_b32_e32 v8, 0x7fc0
	s_mov_b64 s[8:9], -1
	v_bfe_u32 v9, v7, 16, 1
	v_cmp_o_f32_e32 vcc, v7, v7
	v_add3_u32 v7, v7, v9, s4
	v_cndmask_b32_sdwa v7, v8, v7, vcc dst_sel:DWORD dst_unused:UNUSED_PAD src0_sel:DWORD src1_sel:WORD_1
	global_store_short v[4:5], v7, off
	s_mov_b64 s[4:5], 0
.LBB7_1769:
	s_mov_b64 s[10:11], 0
.LBB7_1770:
	s_and_b64 vcc, exec, s[10:11]
	s_cbranch_vccz .LBB7_1772
; %bb.1771:
	s_cmp_lg_u32 s16, 11
	s_mov_b64 s[6:7], -1
	s_cselect_b64 s[4:5], -1, 0
.LBB7_1772:
	s_and_b64 vcc, exec, s[4:5]
	s_cbranch_vccnz .LBB7_2065
; %bb.1773:
	s_andn2_b64 vcc, exec, s[6:7]
	s_cbranch_vccnz .LBB7_1775
.LBB7_1774:
	v_cmp_neq_f64_e32 vcc, 0, v[43:44]
	v_cmp_neq_f64_e64 s[4:5], 0, v[45:46]
	s_mov_b64 s[8:9], -1
	s_or_b64 s[4:5], vcc, s[4:5]
	v_cndmask_b32_e64 v7, 0, 1, s[4:5]
	global_store_byte v[4:5], v7, off
.LBB7_1775:
	s_mov_b64 s[4:5], 0
	s_branch .LBB7_1777
.LBB7_1776:
	s_mov_b64 s[4:5], -1
	s_mov_b64 s[8:9], 0
.LBB7_1777:
	s_and_b64 vcc, exec, s[4:5]
	s_cbranch_vccz .LBB7_1816
; %bb.1778:
	s_and_b32 s6, 0xffff, s14
	s_cmp_lt_i32 s6, 5
	s_mov_b64 s[4:5], -1
	s_cbranch_scc1 .LBB7_1799
; %bb.1779:
	s_cmp_lt_i32 s6, 8
	s_cbranch_scc1 .LBB7_1789
; %bb.1780:
	s_cmp_lt_i32 s6, 9
	s_cbranch_scc1 .LBB7_1786
; %bb.1781:
	s_cmp_gt_i32 s6, 9
	s_cbranch_scc0 .LBB7_1783
; %bb.1782:
	global_store_dwordx4 v[4:5], v[43:46], off
	s_mov_b64 s[4:5], 0
.LBB7_1783:
	s_andn2_b64 vcc, exec, s[4:5]
	s_cbranch_vccnz .LBB7_1785
; %bb.1784:
	v_cvt_f32_f64_e32 v7, v[43:44]
	v_cvt_f32_f64_e32 v8, v[45:46]
	global_store_dwordx2 v[4:5], v[7:8], off
.LBB7_1785:
	s_mov_b64 s[4:5], 0
.LBB7_1786:
	s_andn2_b64 vcc, exec, s[4:5]
	s_cbranch_vccnz .LBB7_1788
; %bb.1787:
	s_movk_i32 s4, 0x1ff
	v_and_or_b32 v7, v44, s4, v43
	v_cmp_ne_u32_e32 vcc, 0, v7
	v_cndmask_b32_e64 v7, 0, 1, vcc
	v_lshrrev_b32_e32 v8, 8, v44
	s_movk_i32 s5, 0xffe
	v_bfe_u32 v9, v44, 20, 11
	v_and_or_b32 v7, v8, s5, v7
	v_sub_u32_e32 v10, 0x3f1, v9
	v_or_b32_e32 v8, 0x1000, v7
	v_med3_i32 v10, v10, 0, 13
	v_lshrrev_b32_e32 v11, v10, v8
	v_lshlrev_b32_e32 v10, v10, v11
	v_cmp_ne_u32_e32 vcc, v10, v8
	v_cndmask_b32_e64 v8, 0, 1, vcc
	v_add_u32_e32 v9, 0xfffffc10, v9
	v_or_b32_e32 v8, v11, v8
	v_lshl_or_b32 v10, v9, 12, v7
	v_cmp_gt_i32_e32 vcc, 1, v9
	v_cndmask_b32_e32 v8, v10, v8, vcc
	v_and_b32_e32 v10, 7, v8
	v_cmp_lt_i32_e32 vcc, 5, v10
	v_cndmask_b32_e64 v11, 0, 1, vcc
	v_cmp_eq_u32_e32 vcc, 3, v10
	v_cndmask_b32_e64 v10, 0, 1, vcc
	v_or_b32_e32 v10, v10, v11
	v_lshrrev_b32_e32 v8, 2, v8
	v_add_u32_e32 v8, v8, v10
	v_mov_b32_e32 v10, 0x7c00
	v_cmp_gt_i32_e32 vcc, 31, v9
	v_cndmask_b32_e32 v8, v10, v8, vcc
	v_mov_b32_e32 v11, 0x7e00
	v_cmp_ne_u32_e32 vcc, 0, v7
	s_movk_i32 s7, 0x40f
	v_cndmask_b32_e32 v7, v10, v11, vcc
	v_cmp_eq_u32_e32 vcc, s7, v9
	v_cndmask_b32_e32 v7, v8, v7, vcc
	v_lshrrev_b32_e32 v8, 16, v44
	s_mov_b32 s8, 0x8000
	v_and_or_b32 v7, v8, s8, v7
	v_and_or_b32 v8, v46, s4, v45
	v_cmp_ne_u32_e32 vcc, 0, v8
	v_cndmask_b32_e64 v8, 0, 1, vcc
	v_lshrrev_b32_e32 v9, 8, v46
	v_bfe_u32 v12, v46, 20, 11
	v_and_or_b32 v8, v9, s5, v8
	v_sub_u32_e32 v13, 0x3f1, v12
	v_or_b32_e32 v9, 0x1000, v8
	v_med3_i32 v13, v13, 0, 13
	v_lshrrev_b32_e32 v14, v13, v9
	v_lshlrev_b32_e32 v13, v13, v14
	v_cmp_ne_u32_e32 vcc, v13, v9
	v_cndmask_b32_e64 v9, 0, 1, vcc
	v_add_u32_e32 v12, 0xfffffc10, v12
	v_or_b32_e32 v9, v14, v9
	v_lshl_or_b32 v13, v12, 12, v8
	v_cmp_gt_i32_e32 vcc, 1, v12
	v_cndmask_b32_e32 v9, v13, v9, vcc
	v_and_b32_e32 v13, 7, v9
	v_cmp_lt_i32_e32 vcc, 5, v13
	v_cndmask_b32_e64 v14, 0, 1, vcc
	v_cmp_eq_u32_e32 vcc, 3, v13
	v_cndmask_b32_e64 v13, 0, 1, vcc
	v_or_b32_e32 v13, v13, v14
	v_lshrrev_b32_e32 v9, 2, v9
	v_add_u32_e32 v9, v9, v13
	v_cmp_gt_i32_e32 vcc, 31, v12
	v_cndmask_b32_e32 v9, v10, v9, vcc
	v_cmp_ne_u32_e32 vcc, 0, v8
	v_cndmask_b32_e32 v8, v10, v11, vcc
	v_cmp_eq_u32_e32 vcc, s7, v12
	v_cndmask_b32_e32 v8, v9, v8, vcc
	v_lshrrev_b32_e32 v9, 16, v46
	v_and_or_b32 v8, v9, s8, v8
	v_and_b32_e32 v7, 0xffff, v7
	v_lshl_or_b32 v7, v8, 16, v7
	global_store_dword v[4:5], v7, off
.LBB7_1788:
	s_mov_b64 s[4:5], 0
.LBB7_1789:
	s_andn2_b64 vcc, exec, s[4:5]
	s_cbranch_vccnz .LBB7_1798
; %bb.1790:
	s_cmp_lt_i32 s6, 6
	s_mov_b64 s[4:5], -1
	s_cbranch_scc1 .LBB7_1796
; %bb.1791:
	s_cmp_gt_i32 s6, 6
	s_cbranch_scc0 .LBB7_1793
; %bb.1792:
	global_store_dwordx2 v[4:5], v[43:44], off
	s_mov_b64 s[4:5], 0
.LBB7_1793:
	s_andn2_b64 vcc, exec, s[4:5]
	s_cbranch_vccnz .LBB7_1795
; %bb.1794:
	v_cvt_f32_f64_e32 v7, v[43:44]
	global_store_dword v[4:5], v7, off
.LBB7_1795:
	s_mov_b64 s[4:5], 0
.LBB7_1796:
	s_andn2_b64 vcc, exec, s[4:5]
	s_cbranch_vccnz .LBB7_1798
; %bb.1797:
	s_movk_i32 s4, 0x1ff
	v_and_or_b32 v7, v44, s4, v43
	v_cmp_ne_u32_e32 vcc, 0, v7
	v_cndmask_b32_e64 v7, 0, 1, vcc
	v_lshrrev_b32_e32 v8, 8, v44
	s_movk_i32 s4, 0xffe
	v_bfe_u32 v9, v44, 20, 11
	v_and_or_b32 v7, v8, s4, v7
	v_sub_u32_e32 v10, 0x3f1, v9
	v_or_b32_e32 v8, 0x1000, v7
	v_med3_i32 v10, v10, 0, 13
	v_lshrrev_b32_e32 v11, v10, v8
	v_lshlrev_b32_e32 v10, v10, v11
	v_cmp_ne_u32_e32 vcc, v10, v8
	v_cndmask_b32_e64 v8, 0, 1, vcc
	v_add_u32_e32 v9, 0xfffffc10, v9
	v_or_b32_e32 v8, v11, v8
	v_lshl_or_b32 v10, v9, 12, v7
	v_cmp_gt_i32_e32 vcc, 1, v9
	v_cndmask_b32_e32 v8, v10, v8, vcc
	v_and_b32_e32 v10, 7, v8
	v_cmp_lt_i32_e32 vcc, 5, v10
	v_cndmask_b32_e64 v11, 0, 1, vcc
	v_cmp_eq_u32_e32 vcc, 3, v10
	v_cndmask_b32_e64 v10, 0, 1, vcc
	v_or_b32_e32 v10, v10, v11
	v_lshrrev_b32_e32 v8, 2, v8
	v_add_u32_e32 v8, v8, v10
	v_mov_b32_e32 v10, 0x7c00
	v_cmp_gt_i32_e32 vcc, 31, v9
	v_cndmask_b32_e32 v8, v10, v8, vcc
	v_mov_b32_e32 v11, 0x7e00
	v_cmp_ne_u32_e32 vcc, 0, v7
	s_movk_i32 s4, 0x40f
	v_cndmask_b32_e32 v7, v10, v11, vcc
	v_cmp_eq_u32_e32 vcc, s4, v9
	v_cndmask_b32_e32 v7, v8, v7, vcc
	v_lshrrev_b32_e32 v8, 16, v44
	s_mov_b32 s4, 0x8000
	v_and_or_b32 v7, v8, s4, v7
	global_store_short v[4:5], v7, off
.LBB7_1798:
	s_mov_b64 s[4:5], 0
.LBB7_1799:
	s_andn2_b64 vcc, exec, s[4:5]
	s_cbranch_vccnz .LBB7_1815
; %bb.1800:
	s_cmp_lt_i32 s6, 2
	s_mov_b64 s[4:5], -1
	s_cbranch_scc1 .LBB7_1810
; %bb.1801:
	s_cmp_lt_i32 s6, 3
	s_cbranch_scc1 .LBB7_1807
; %bb.1802:
	s_cmp_gt_i32 s6, 3
	s_cbranch_scc0 .LBB7_1804
; %bb.1803:
	v_trunc_f64_e32 v[7:8], v[43:44]
	s_movk_i32 s4, 0xffe0
	v_ldexp_f64 v[9:10], v[7:8], s4
	s_mov_b32 s4, 0
	s_mov_b32 s5, 0xc1f00000
	v_floor_f64_e32 v[9:10], v[9:10]
	v_fma_f64 v[7:8], v[9:10], s[4:5], v[7:8]
	v_cvt_i32_f64_e32 v9, v[9:10]
	s_mov_b64 s[4:5], 0
	v_cvt_u32_f64_e32 v8, v[7:8]
	global_store_dwordx2 v[4:5], v[8:9], off
.LBB7_1804:
	s_andn2_b64 vcc, exec, s[4:5]
	s_cbranch_vccnz .LBB7_1806
; %bb.1805:
	v_cvt_i32_f64_e32 v7, v[43:44]
	global_store_dword v[4:5], v7, off
.LBB7_1806:
	s_mov_b64 s[4:5], 0
.LBB7_1807:
	s_andn2_b64 vcc, exec, s[4:5]
	s_cbranch_vccnz .LBB7_1809
; %bb.1808:
	v_cvt_i32_f64_e32 v7, v[43:44]
	global_store_short v[4:5], v7, off
.LBB7_1809:
	s_mov_b64 s[4:5], 0
.LBB7_1810:
	s_andn2_b64 vcc, exec, s[4:5]
	s_cbranch_vccnz .LBB7_1815
; %bb.1811:
	s_cmp_gt_i32 s6, 0
	s_mov_b64 s[4:5], -1
	s_cbranch_scc0 .LBB7_1813
; %bb.1812:
	v_cvt_i32_f64_e32 v7, v[43:44]
	s_mov_b64 s[4:5], 0
	global_store_byte v[4:5], v7, off
.LBB7_1813:
	s_andn2_b64 vcc, exec, s[4:5]
	s_cbranch_vccnz .LBB7_1815
; %bb.1814:
	v_trunc_f64_e32 v[7:8], v[43:44]
	s_movk_i32 s4, 0xffe0
	v_ldexp_f64 v[9:10], v[7:8], s4
	s_mov_b32 s4, 0
	s_mov_b32 s5, 0xc1f00000
	v_floor_f64_e32 v[9:10], v[9:10]
	v_fma_f64 v[7:8], v[9:10], s[4:5], v[7:8]
	v_cvt_u32_f64_e32 v7, v[7:8]
	global_store_byte v[4:5], v7, off
.LBB7_1815:
	s_mov_b64 s[8:9], -1
.LBB7_1816:
	s_andn2_b64 vcc, exec, s[8:9]
	s_cbranch_vccnz .LBB7_2012
; %bb.1817:
	v_add_u32_e32 v6, s15, v6
	v_ashrrev_i32_e32 v5, 31, v6
	v_mov_b32_e32 v7, s37
	v_add_co_u32_e32 v4, vcc, s36, v6
	s_cmp_lt_i32 s14, 11
	v_addc_co_u32_e32 v5, vcc, v7, v5, vcc
	s_cbranch_scc1 .LBB7_1895
; %bb.1818:
	s_and_b32 s16, 0xffff, s14
	s_mov_b64 s[10:11], -1
	s_mov_b64 s[6:7], 0
	s_cmp_gt_i32 s16, 25
	s_mov_b64 s[8:9], 0
	s_mov_b64 s[4:5], 0
	s_cbranch_scc0 .LBB7_1851
; %bb.1819:
	s_cmp_gt_i32 s16, 28
	s_cbranch_scc0 .LBB7_1834
; %bb.1820:
	s_cmp_gt_i32 s16, 43
	;; [unrolled: 3-line block ×3, first 2 shown]
	s_cbranch_scc0 .LBB7_1824
; %bb.1822:
	s_mov_b64 s[4:5], -1
	s_mov_b64 s[10:11], 0
	s_cmp_eq_u32 s16, 46
	s_cbranch_scc0 .LBB7_1824
; %bb.1823:
	v_cvt_f32_f64_e32 v8, v[41:42]
	v_cvt_f32_f64_e32 v7, v[39:40]
	s_movk_i32 s4, 0x7fff
	v_mov_b32_e32 v11, 0x7fc00000
	v_bfe_u32 v10, v8, 16, 1
	v_add3_u32 v10, v8, v10, s4
	v_bfe_u32 v9, v7, 16, 1
	v_and_b32_e32 v10, 0xffff0000, v10
	v_cmp_o_f32_e32 vcc, v8, v8
	v_add3_u32 v9, v7, v9, s4
	v_cndmask_b32_e32 v8, v11, v10, vcc
	v_cmp_o_f32_e32 vcc, v7, v7
	v_mov_b32_e32 v7, 0x7fc0
	v_cndmask_b32_sdwa v7, v7, v9, vcc dst_sel:DWORD dst_unused:UNUSED_PAD src0_sel:DWORD src1_sel:WORD_1
	v_or_b32_e32 v7, v8, v7
	global_store_dword v[4:5], v7, off
	s_mov_b64 s[4:5], 0
	s_mov_b64 s[8:9], -1
.LBB7_1824:
	s_and_b64 vcc, exec, s[10:11]
	s_cbranch_vccz .LBB7_1829
; %bb.1825:
	s_cmp_eq_u32 s16, 44
	s_mov_b64 s[4:5], -1
	s_cbranch_scc0 .LBB7_1829
; %bb.1826:
	v_cvt_f32_f64_e32 v7, v[39:40]
	s_movk_i32 s4, 0xff
	v_mov_b32_e32 v9, 0xff
	v_bfe_u32 v8, v7, 23, 8
	v_cmp_ne_u32_e32 vcc, s4, v8
	s_and_saveexec_b64 s[8:9], vcc
; %bb.1827:
	s_mov_b32 s4, 0x3fffff
	v_lshrrev_b32_e32 v9, 23, v7
	v_and_b32_e32 v10, 0x400000, v7
	v_and_or_b32 v7, v7, s4, v8
	v_cmp_ne_u32_e32 vcc, 0, v10
	v_cmp_ne_u32_e64 s[4:5], 0, v7
	s_and_b64 s[4:5], vcc, s[4:5]
	v_cndmask_b32_e64 v7, 0, 1, s[4:5]
	v_add_u32_e32 v9, v9, v7
; %bb.1828:
	s_or_b64 exec, exec, s[8:9]
	s_mov_b64 s[4:5], 0
	s_mov_b64 s[8:9], -1
	global_store_byte v[4:5], v9, off
.LBB7_1829:
	s_mov_b64 s[10:11], 0
.LBB7_1830:
	s_and_b64 vcc, exec, s[10:11]
	s_cbranch_vccz .LBB7_1833
; %bb.1831:
	s_cmp_eq_u32 s16, 29
	s_mov_b64 s[4:5], -1
	s_cbranch_scc0 .LBB7_1833
; %bb.1832:
	v_trunc_f64_e32 v[7:8], v[39:40]
	s_movk_i32 s4, 0xffe0
	s_mov_b64 s[8:9], -1
	v_ldexp_f64 v[9:10], v[7:8], s4
	s_mov_b32 s4, 0
	s_mov_b32 s5, 0xc1f00000
	v_floor_f64_e32 v[9:10], v[9:10]
	v_fma_f64 v[7:8], v[9:10], s[4:5], v[7:8]
	v_cvt_u32_f64_e32 v9, v[9:10]
	s_mov_b64 s[4:5], 0
	v_cvt_u32_f64_e32 v8, v[7:8]
	global_store_dwordx2 v[4:5], v[8:9], off
.LBB7_1833:
	s_mov_b64 s[10:11], 0
.LBB7_1834:
	s_and_b64 vcc, exec, s[10:11]
	s_cbranch_vccz .LBB7_1850
; %bb.1835:
	s_cmp_lt_i32 s16, 27
	s_mov_b64 s[8:9], -1
	s_cbranch_scc1 .LBB7_1841
; %bb.1836:
	v_cvt_u32_f64_e32 v7, v[39:40]
	s_cmp_gt_i32 s16, 27
	s_cbranch_scc0 .LBB7_1838
; %bb.1837:
	s_mov_b64 s[8:9], 0
	global_store_dword v[4:5], v7, off
.LBB7_1838:
	s_andn2_b64 vcc, exec, s[8:9]
	s_cbranch_vccnz .LBB7_1840
; %bb.1839:
	global_store_short v[4:5], v7, off
.LBB7_1840:
	s_mov_b64 s[8:9], 0
.LBB7_1841:
	s_andn2_b64 vcc, exec, s[8:9]
	s_cbranch_vccnz .LBB7_1849
; %bb.1842:
	v_cvt_f32_f64_e32 v7, v[39:40]
	s_mov_b32 s8, 0x43800000
	v_mov_b32_e32 v9, 0x80
	v_and_b32_e32 v8, 0x7fffffff, v7
	v_cmp_gt_u32_e32 vcc, s8, v8
	s_and_saveexec_b64 s[8:9], vcc
	s_cbranch_execz .LBB7_1848
; %bb.1843:
	s_mov_b32 s10, 0x3bffffff
	v_cmp_lt_u32_e32 vcc, s10, v8
	s_mov_b64 s[10:11], 0
                                        ; implicit-def: $vgpr8
	s_and_saveexec_b64 s[12:13], vcc
	s_xor_b64 s[12:13], exec, s[12:13]
	s_cbranch_execz .LBB7_2068
; %bb.1844:
	v_bfe_u32 v8, v7, 20, 1
	s_mov_b32 s17, 0x487ffff
	v_add3_u32 v8, v7, v8, s17
	s_mov_b64 s[10:11], exec
	v_lshrrev_b32_e32 v8, 20, v8
	s_andn2_saveexec_b64 s[12:13], s[12:13]
	s_cbranch_execnz .LBB7_2069
.LBB7_1845:
	s_or_b64 exec, exec, s[12:13]
	v_mov_b32_e32 v9, 0
	s_and_saveexec_b64 s[12:13], s[10:11]
.LBB7_1846:
	v_lshrrev_b32_e32 v7, 24, v7
	s_movk_i32 s10, 0x80
	v_and_or_b32 v9, v7, s10, v8
.LBB7_1847:
	s_or_b64 exec, exec, s[12:13]
.LBB7_1848:
	s_or_b64 exec, exec, s[8:9]
	global_store_byte v[4:5], v9, off
.LBB7_1849:
	s_mov_b64 s[8:9], -1
.LBB7_1850:
	s_mov_b64 s[10:11], 0
.LBB7_1851:
	s_and_b64 vcc, exec, s[10:11]
	s_cbranch_vccz .LBB7_1891
; %bb.1852:
	s_cmp_gt_i32 s16, 22
	s_mov_b64 s[6:7], -1
	s_cbranch_scc0 .LBB7_1884
; %bb.1853:
	s_cmp_lt_i32 s16, 24
	s_cbranch_scc1 .LBB7_1873
; %bb.1854:
	s_cmp_gt_i32 s16, 24
	s_cbranch_scc0 .LBB7_1862
; %bb.1855:
	v_cvt_f32_f64_e32 v7, v[39:40]
	s_mov_b32 s6, 0x47800000
	v_mov_b32_e32 v9, 0x80
	v_and_b32_e32 v8, 0x7fffffff, v7
	v_cmp_gt_u32_e32 vcc, s6, v8
	s_and_saveexec_b64 s[6:7], vcc
	s_cbranch_execz .LBB7_1861
; %bb.1856:
	s_mov_b32 s8, 0x37ffffff
	v_cmp_lt_u32_e32 vcc, s8, v8
	s_mov_b64 s[8:9], 0
                                        ; implicit-def: $vgpr8
	s_and_saveexec_b64 s[10:11], vcc
	s_xor_b64 s[10:11], exec, s[10:11]
	s_cbranch_execz .LBB7_2071
; %bb.1857:
	v_bfe_u32 v8, v7, 21, 1
	s_mov_b32 s12, 0x88fffff
	v_add3_u32 v8, v7, v8, s12
	s_mov_b64 s[8:9], exec
	v_lshrrev_b32_e32 v8, 21, v8
	s_andn2_saveexec_b64 s[10:11], s[10:11]
	s_cbranch_execnz .LBB7_2072
.LBB7_1858:
	s_or_b64 exec, exec, s[10:11]
	v_mov_b32_e32 v9, 0
	s_and_saveexec_b64 s[10:11], s[8:9]
.LBB7_1859:
	v_lshrrev_b32_e32 v7, 24, v7
	s_movk_i32 s8, 0x80
	v_and_or_b32 v9, v7, s8, v8
.LBB7_1860:
	s_or_b64 exec, exec, s[10:11]
.LBB7_1861:
	s_or_b64 exec, exec, s[6:7]
	s_mov_b64 s[6:7], 0
	global_store_byte v[4:5], v9, off
.LBB7_1862:
	s_and_b64 vcc, exec, s[6:7]
	s_cbranch_vccz .LBB7_1872
; %bb.1863:
	v_cvt_f32_f64_e32 v7, v[39:40]
	s_mov_b32 s6, 0x43f00000
                                        ; implicit-def: $vgpr8
	v_and_b32_e32 v9, 0x7fffffff, v7
	v_cmp_gt_u32_e32 vcc, s6, v9
	s_and_saveexec_b64 s[6:7], vcc
	s_xor_b64 s[6:7], exec, s[6:7]
	s_cbranch_execz .LBB7_1869
; %bb.1864:
	s_mov_b32 s8, 0x3c7fffff
	v_cmp_lt_u32_e32 vcc, s8, v9
                                        ; implicit-def: $vgpr8
	s_and_saveexec_b64 s[8:9], vcc
	s_xor_b64 s[8:9], exec, s[8:9]
; %bb.1865:
	v_bfe_u32 v8, v7, 20, 1
	s_mov_b32 s10, 0x407ffff
	v_add3_u32 v8, v7, v8, s10
	v_lshrrev_b32_e32 v9, 20, v8
	v_and_b32_e32 v8, 0xff00000, v8
	s_mov_b32 s10, 0x7f00000
	v_mov_b32_e32 v10, 0x7e
	v_cmp_ne_u32_e32 vcc, s10, v8
	v_cndmask_b32_e32 v8, v10, v9, vcc
; %bb.1866:
	s_andn2_saveexec_b64 s[8:9], s[8:9]
; %bb.1867:
	s_mov_b32 s10, 0x46800000
	v_add_f32_e64 v8, |v7|, s10
; %bb.1868:
	s_or_b64 exec, exec, s[8:9]
                                        ; implicit-def: $vgpr9
.LBB7_1869:
	s_andn2_saveexec_b64 s[6:7], s[6:7]
; %bb.1870:
	s_mov_b32 s8, 0x7f800000
	v_mov_b32_e32 v8, 0x7e
	v_mov_b32_e32 v10, 0x7f
	v_cmp_lt_u32_e32 vcc, s8, v9
	v_cndmask_b32_e32 v8, v8, v10, vcc
; %bb.1871:
	s_or_b64 exec, exec, s[6:7]
	v_lshrrev_b32_e32 v7, 24, v7
	s_movk_i32 s6, 0x80
	v_and_or_b32 v7, v7, s6, v8
	global_store_byte v[4:5], v7, off
.LBB7_1872:
	s_mov_b64 s[6:7], 0
.LBB7_1873:
	s_andn2_b64 vcc, exec, s[6:7]
	s_cbranch_vccnz .LBB7_1883
; %bb.1874:
	v_cvt_f32_f64_e32 v7, v[39:40]
	s_mov_b32 s6, 0x47800000
                                        ; implicit-def: $vgpr8
	v_and_b32_e32 v9, 0x7fffffff, v7
	v_cmp_gt_u32_e32 vcc, s6, v9
	s_and_saveexec_b64 s[6:7], vcc
	s_xor_b64 s[6:7], exec, s[6:7]
	s_cbranch_execz .LBB7_1880
; %bb.1875:
	s_mov_b32 s8, 0x387fffff
	v_cmp_lt_u32_e32 vcc, s8, v9
                                        ; implicit-def: $vgpr8
	s_and_saveexec_b64 s[8:9], vcc
	s_xor_b64 s[8:9], exec, s[8:9]
; %bb.1876:
	v_bfe_u32 v8, v7, 21, 1
	s_mov_b32 s10, 0x80fffff
	v_add3_u32 v8, v7, v8, s10
	v_lshrrev_b32_e32 v8, 21, v8
; %bb.1877:
	s_andn2_saveexec_b64 s[8:9], s[8:9]
; %bb.1878:
	s_mov_b32 s10, 0x43000000
	v_add_f32_e64 v8, |v7|, s10
; %bb.1879:
	s_or_b64 exec, exec, s[8:9]
                                        ; implicit-def: $vgpr9
.LBB7_1880:
	s_andn2_saveexec_b64 s[6:7], s[6:7]
; %bb.1881:
	s_mov_b32 s8, 0x7f800000
	v_mov_b32_e32 v8, 0x7c
	v_mov_b32_e32 v10, 0x7f
	v_cmp_lt_u32_e32 vcc, s8, v9
	v_cndmask_b32_e32 v8, v8, v10, vcc
; %bb.1882:
	s_or_b64 exec, exec, s[6:7]
	v_lshrrev_b32_e32 v7, 24, v7
	s_movk_i32 s6, 0x80
	v_and_or_b32 v7, v7, s6, v8
	global_store_byte v[4:5], v7, off
.LBB7_1883:
	s_mov_b64 s[6:7], 0
	s_mov_b64 s[8:9], -1
.LBB7_1884:
	s_andn2_b64 vcc, exec, s[6:7]
	s_mov_b64 s[6:7], 0
	s_cbranch_vccnz .LBB7_1891
; %bb.1885:
	s_cmp_gt_i32 s16, 14
	s_mov_b64 s[10:11], -1
	s_cbranch_scc0 .LBB7_1889
; %bb.1886:
	s_cmp_eq_u32 s16, 15
	s_mov_b64 s[4:5], -1
	s_cbranch_scc0 .LBB7_1888
; %bb.1887:
	v_cvt_f32_f64_e32 v7, v[39:40]
	s_movk_i32 s4, 0x7fff
	v_mov_b32_e32 v8, 0x7fc0
	s_mov_b64 s[8:9], -1
	v_bfe_u32 v9, v7, 16, 1
	v_cmp_o_f32_e32 vcc, v7, v7
	v_add3_u32 v7, v7, v9, s4
	v_cndmask_b32_sdwa v7, v8, v7, vcc dst_sel:DWORD dst_unused:UNUSED_PAD src0_sel:DWORD src1_sel:WORD_1
	global_store_short v[4:5], v7, off
	s_mov_b64 s[4:5], 0
.LBB7_1888:
	s_mov_b64 s[10:11], 0
.LBB7_1889:
	s_and_b64 vcc, exec, s[10:11]
	s_cbranch_vccz .LBB7_1891
; %bb.1890:
	s_cmp_lg_u32 s16, 11
	s_mov_b64 s[6:7], -1
	s_cselect_b64 s[4:5], -1, 0
.LBB7_1891:
	s_and_b64 vcc, exec, s[4:5]
	s_cbranch_vccnz .LBB7_2070
; %bb.1892:
	s_andn2_b64 vcc, exec, s[6:7]
	s_cbranch_vccnz .LBB7_1894
.LBB7_1893:
	v_cmp_neq_f64_e32 vcc, 0, v[39:40]
	v_cmp_neq_f64_e64 s[4:5], 0, v[41:42]
	s_mov_b64 s[8:9], -1
	s_or_b64 s[4:5], vcc, s[4:5]
	v_cndmask_b32_e64 v7, 0, 1, s[4:5]
	global_store_byte v[4:5], v7, off
.LBB7_1894:
	s_mov_b64 s[4:5], 0
	s_branch .LBB7_1896
.LBB7_1895:
	s_mov_b64 s[4:5], -1
	s_mov_b64 s[8:9], 0
.LBB7_1896:
	s_and_b64 vcc, exec, s[4:5]
	s_cbranch_vccz .LBB7_1935
; %bb.1897:
	s_and_b32 s6, 0xffff, s14
	s_cmp_lt_i32 s6, 5
	s_mov_b64 s[4:5], -1
	s_cbranch_scc1 .LBB7_1918
; %bb.1898:
	s_cmp_lt_i32 s6, 8
	s_cbranch_scc1 .LBB7_1908
; %bb.1899:
	s_cmp_lt_i32 s6, 9
	s_cbranch_scc1 .LBB7_1905
; %bb.1900:
	s_cmp_gt_i32 s6, 9
	s_cbranch_scc0 .LBB7_1902
; %bb.1901:
	global_store_dwordx4 v[4:5], v[39:42], off
	s_mov_b64 s[4:5], 0
.LBB7_1902:
	s_andn2_b64 vcc, exec, s[4:5]
	s_cbranch_vccnz .LBB7_1904
; %bb.1903:
	v_cvt_f32_f64_e32 v7, v[39:40]
	v_cvt_f32_f64_e32 v8, v[41:42]
	global_store_dwordx2 v[4:5], v[7:8], off
.LBB7_1904:
	s_mov_b64 s[4:5], 0
.LBB7_1905:
	s_andn2_b64 vcc, exec, s[4:5]
	s_cbranch_vccnz .LBB7_1907
; %bb.1906:
	s_movk_i32 s4, 0x1ff
	v_and_or_b32 v7, v40, s4, v39
	v_cmp_ne_u32_e32 vcc, 0, v7
	v_cndmask_b32_e64 v7, 0, 1, vcc
	v_lshrrev_b32_e32 v8, 8, v40
	s_movk_i32 s5, 0xffe
	v_bfe_u32 v9, v40, 20, 11
	v_and_or_b32 v7, v8, s5, v7
	v_sub_u32_e32 v10, 0x3f1, v9
	v_or_b32_e32 v8, 0x1000, v7
	v_med3_i32 v10, v10, 0, 13
	v_lshrrev_b32_e32 v11, v10, v8
	v_lshlrev_b32_e32 v10, v10, v11
	v_cmp_ne_u32_e32 vcc, v10, v8
	v_cndmask_b32_e64 v8, 0, 1, vcc
	v_add_u32_e32 v9, 0xfffffc10, v9
	v_or_b32_e32 v8, v11, v8
	v_lshl_or_b32 v10, v9, 12, v7
	v_cmp_gt_i32_e32 vcc, 1, v9
	v_cndmask_b32_e32 v8, v10, v8, vcc
	v_and_b32_e32 v10, 7, v8
	v_cmp_lt_i32_e32 vcc, 5, v10
	v_cndmask_b32_e64 v11, 0, 1, vcc
	v_cmp_eq_u32_e32 vcc, 3, v10
	v_cndmask_b32_e64 v10, 0, 1, vcc
	v_or_b32_e32 v10, v10, v11
	v_lshrrev_b32_e32 v8, 2, v8
	v_add_u32_e32 v8, v8, v10
	v_mov_b32_e32 v10, 0x7c00
	v_cmp_gt_i32_e32 vcc, 31, v9
	v_cndmask_b32_e32 v8, v10, v8, vcc
	v_mov_b32_e32 v11, 0x7e00
	v_cmp_ne_u32_e32 vcc, 0, v7
	s_movk_i32 s7, 0x40f
	v_cndmask_b32_e32 v7, v10, v11, vcc
	v_cmp_eq_u32_e32 vcc, s7, v9
	v_cndmask_b32_e32 v7, v8, v7, vcc
	v_lshrrev_b32_e32 v8, 16, v40
	s_mov_b32 s8, 0x8000
	v_and_or_b32 v7, v8, s8, v7
	v_and_or_b32 v8, v42, s4, v41
	v_cmp_ne_u32_e32 vcc, 0, v8
	v_cndmask_b32_e64 v8, 0, 1, vcc
	v_lshrrev_b32_e32 v9, 8, v42
	v_bfe_u32 v12, v42, 20, 11
	v_and_or_b32 v8, v9, s5, v8
	v_sub_u32_e32 v13, 0x3f1, v12
	v_or_b32_e32 v9, 0x1000, v8
	v_med3_i32 v13, v13, 0, 13
	v_lshrrev_b32_e32 v14, v13, v9
	v_lshlrev_b32_e32 v13, v13, v14
	v_cmp_ne_u32_e32 vcc, v13, v9
	v_cndmask_b32_e64 v9, 0, 1, vcc
	v_add_u32_e32 v12, 0xfffffc10, v12
	v_or_b32_e32 v9, v14, v9
	v_lshl_or_b32 v13, v12, 12, v8
	v_cmp_gt_i32_e32 vcc, 1, v12
	v_cndmask_b32_e32 v9, v13, v9, vcc
	v_and_b32_e32 v13, 7, v9
	v_cmp_lt_i32_e32 vcc, 5, v13
	v_cndmask_b32_e64 v14, 0, 1, vcc
	v_cmp_eq_u32_e32 vcc, 3, v13
	v_cndmask_b32_e64 v13, 0, 1, vcc
	v_or_b32_e32 v13, v13, v14
	v_lshrrev_b32_e32 v9, 2, v9
	v_add_u32_e32 v9, v9, v13
	v_cmp_gt_i32_e32 vcc, 31, v12
	v_cndmask_b32_e32 v9, v10, v9, vcc
	v_cmp_ne_u32_e32 vcc, 0, v8
	v_cndmask_b32_e32 v8, v10, v11, vcc
	v_cmp_eq_u32_e32 vcc, s7, v12
	v_cndmask_b32_e32 v8, v9, v8, vcc
	v_lshrrev_b32_e32 v9, 16, v42
	v_and_or_b32 v8, v9, s8, v8
	v_and_b32_e32 v7, 0xffff, v7
	v_lshl_or_b32 v7, v8, 16, v7
	global_store_dword v[4:5], v7, off
.LBB7_1907:
	s_mov_b64 s[4:5], 0
.LBB7_1908:
	s_andn2_b64 vcc, exec, s[4:5]
	s_cbranch_vccnz .LBB7_1917
; %bb.1909:
	s_cmp_lt_i32 s6, 6
	s_mov_b64 s[4:5], -1
	s_cbranch_scc1 .LBB7_1915
; %bb.1910:
	s_cmp_gt_i32 s6, 6
	s_cbranch_scc0 .LBB7_1912
; %bb.1911:
	global_store_dwordx2 v[4:5], v[39:40], off
	s_mov_b64 s[4:5], 0
.LBB7_1912:
	s_andn2_b64 vcc, exec, s[4:5]
	s_cbranch_vccnz .LBB7_1914
; %bb.1913:
	v_cvt_f32_f64_e32 v7, v[39:40]
	global_store_dword v[4:5], v7, off
.LBB7_1914:
	s_mov_b64 s[4:5], 0
.LBB7_1915:
	s_andn2_b64 vcc, exec, s[4:5]
	s_cbranch_vccnz .LBB7_1917
; %bb.1916:
	s_movk_i32 s4, 0x1ff
	v_and_or_b32 v7, v40, s4, v39
	v_cmp_ne_u32_e32 vcc, 0, v7
	v_cndmask_b32_e64 v7, 0, 1, vcc
	v_lshrrev_b32_e32 v8, 8, v40
	s_movk_i32 s4, 0xffe
	v_bfe_u32 v9, v40, 20, 11
	v_and_or_b32 v7, v8, s4, v7
	v_sub_u32_e32 v10, 0x3f1, v9
	v_or_b32_e32 v8, 0x1000, v7
	v_med3_i32 v10, v10, 0, 13
	v_lshrrev_b32_e32 v11, v10, v8
	v_lshlrev_b32_e32 v10, v10, v11
	v_cmp_ne_u32_e32 vcc, v10, v8
	v_cndmask_b32_e64 v8, 0, 1, vcc
	v_add_u32_e32 v9, 0xfffffc10, v9
	v_or_b32_e32 v8, v11, v8
	v_lshl_or_b32 v10, v9, 12, v7
	v_cmp_gt_i32_e32 vcc, 1, v9
	v_cndmask_b32_e32 v8, v10, v8, vcc
	v_and_b32_e32 v10, 7, v8
	v_cmp_lt_i32_e32 vcc, 5, v10
	v_cndmask_b32_e64 v11, 0, 1, vcc
	v_cmp_eq_u32_e32 vcc, 3, v10
	v_cndmask_b32_e64 v10, 0, 1, vcc
	v_or_b32_e32 v10, v10, v11
	v_lshrrev_b32_e32 v8, 2, v8
	v_add_u32_e32 v8, v8, v10
	v_mov_b32_e32 v10, 0x7c00
	v_cmp_gt_i32_e32 vcc, 31, v9
	v_cndmask_b32_e32 v8, v10, v8, vcc
	v_mov_b32_e32 v11, 0x7e00
	v_cmp_ne_u32_e32 vcc, 0, v7
	s_movk_i32 s4, 0x40f
	v_cndmask_b32_e32 v7, v10, v11, vcc
	v_cmp_eq_u32_e32 vcc, s4, v9
	v_cndmask_b32_e32 v7, v8, v7, vcc
	v_lshrrev_b32_e32 v8, 16, v40
	s_mov_b32 s4, 0x8000
	v_and_or_b32 v7, v8, s4, v7
	global_store_short v[4:5], v7, off
.LBB7_1917:
	s_mov_b64 s[4:5], 0
.LBB7_1918:
	s_andn2_b64 vcc, exec, s[4:5]
	s_cbranch_vccnz .LBB7_1934
; %bb.1919:
	s_cmp_lt_i32 s6, 2
	s_mov_b64 s[4:5], -1
	s_cbranch_scc1 .LBB7_1929
; %bb.1920:
	s_cmp_lt_i32 s6, 3
	s_cbranch_scc1 .LBB7_1926
; %bb.1921:
	s_cmp_gt_i32 s6, 3
	s_cbranch_scc0 .LBB7_1923
; %bb.1922:
	v_trunc_f64_e32 v[7:8], v[39:40]
	s_movk_i32 s4, 0xffe0
	v_ldexp_f64 v[9:10], v[7:8], s4
	s_mov_b32 s4, 0
	s_mov_b32 s5, 0xc1f00000
	v_floor_f64_e32 v[9:10], v[9:10]
	v_fma_f64 v[7:8], v[9:10], s[4:5], v[7:8]
	v_cvt_i32_f64_e32 v9, v[9:10]
	s_mov_b64 s[4:5], 0
	v_cvt_u32_f64_e32 v8, v[7:8]
	global_store_dwordx2 v[4:5], v[8:9], off
.LBB7_1923:
	s_andn2_b64 vcc, exec, s[4:5]
	s_cbranch_vccnz .LBB7_1925
; %bb.1924:
	v_cvt_i32_f64_e32 v7, v[39:40]
	global_store_dword v[4:5], v7, off
.LBB7_1925:
	s_mov_b64 s[4:5], 0
.LBB7_1926:
	s_andn2_b64 vcc, exec, s[4:5]
	s_cbranch_vccnz .LBB7_1928
; %bb.1927:
	v_cvt_i32_f64_e32 v7, v[39:40]
	global_store_short v[4:5], v7, off
.LBB7_1928:
	s_mov_b64 s[4:5], 0
.LBB7_1929:
	s_andn2_b64 vcc, exec, s[4:5]
	s_cbranch_vccnz .LBB7_1934
; %bb.1930:
	s_cmp_gt_i32 s6, 0
	s_mov_b64 s[4:5], -1
	s_cbranch_scc0 .LBB7_1932
; %bb.1931:
	v_cvt_i32_f64_e32 v7, v[39:40]
	s_mov_b64 s[4:5], 0
	global_store_byte v[4:5], v7, off
.LBB7_1932:
	s_andn2_b64 vcc, exec, s[4:5]
	s_cbranch_vccnz .LBB7_1934
; %bb.1933:
	v_trunc_f64_e32 v[7:8], v[39:40]
	s_movk_i32 s4, 0xffe0
	v_ldexp_f64 v[9:10], v[7:8], s4
	s_mov_b32 s4, 0
	s_mov_b32 s5, 0xc1f00000
	v_floor_f64_e32 v[9:10], v[9:10]
	v_fma_f64 v[7:8], v[9:10], s[4:5], v[7:8]
	v_cvt_u32_f64_e32 v7, v[7:8]
	global_store_byte v[4:5], v7, off
.LBB7_1934:
	s_mov_b64 s[8:9], -1
.LBB7_1935:
	s_andn2_b64 vcc, exec, s[8:9]
	s_cbranch_vccnz .LBB7_2012
; %bb.1936:
	v_add_u32_e32 v4, s15, v6
	v_ashrrev_i32_e32 v5, 31, v4
	v_mov_b32_e32 v6, s37
	v_add_co_u32_e32 v4, vcc, s36, v4
	s_cmp_lt_i32 s14, 11
	v_addc_co_u32_e32 v5, vcc, v6, v5, vcc
	s_cbranch_scc1 .LBB7_2057
; %bb.1937:
	s_and_b32 s15, 0xffff, s14
	s_mov_b64 s[8:9], -1
	s_mov_b64 s[6:7], 0
	s_cmp_gt_i32 s15, 25
	s_mov_b64 s[4:5], 0
	s_cbranch_scc0 .LBB7_1970
; %bb.1938:
	s_cmp_gt_i32 s15, 28
	s_cbranch_scc0 .LBB7_1954
; %bb.1939:
	s_cmp_gt_i32 s15, 43
	;; [unrolled: 3-line block ×3, first 2 shown]
	s_cbranch_scc0 .LBB7_1944
; %bb.1941:
	s_cmp_eq_u32 s15, 46
	s_mov_b64 s[4:5], -1
	s_cbranch_scc0 .LBB7_1943
; %bb.1942:
	v_cvt_f32_f64_e32 v7, v[2:3]
	v_cvt_f32_f64_e32 v6, v[0:1]
	s_movk_i32 s4, 0x7fff
	v_mov_b32_e32 v10, 0x7fc00000
	v_bfe_u32 v9, v7, 16, 1
	v_add3_u32 v9, v7, v9, s4
	v_bfe_u32 v8, v6, 16, 1
	v_and_b32_e32 v9, 0xffff0000, v9
	v_cmp_o_f32_e32 vcc, v7, v7
	v_add3_u32 v8, v6, v8, s4
	v_cndmask_b32_e32 v7, v10, v9, vcc
	v_cmp_o_f32_e32 vcc, v6, v6
	v_mov_b32_e32 v6, 0x7fc0
	v_cndmask_b32_sdwa v6, v6, v8, vcc dst_sel:DWORD dst_unused:UNUSED_PAD src0_sel:DWORD src1_sel:WORD_1
	v_or_b32_e32 v6, v7, v6
	global_store_dword v[4:5], v6, off
	s_mov_b64 s[4:5], 0
.LBB7_1943:
	s_mov_b64 s[8:9], 0
.LBB7_1944:
	s_and_b64 vcc, exec, s[8:9]
	s_cbranch_vccz .LBB7_1949
; %bb.1945:
	s_cmp_eq_u32 s15, 44
	s_mov_b64 s[4:5], -1
	s_cbranch_scc0 .LBB7_1949
; %bb.1946:
	v_cvt_f32_f64_e32 v6, v[0:1]
	s_movk_i32 s4, 0xff
	v_mov_b32_e32 v8, 0xff
	v_bfe_u32 v7, v6, 23, 8
	v_cmp_ne_u32_e32 vcc, s4, v7
	s_and_saveexec_b64 s[8:9], vcc
; %bb.1947:
	s_mov_b32 s4, 0x3fffff
	v_lshrrev_b32_e32 v8, 23, v6
	v_and_b32_e32 v9, 0x400000, v6
	v_and_or_b32 v6, v6, s4, v7
	v_cmp_ne_u32_e32 vcc, 0, v9
	v_cmp_ne_u32_e64 s[4:5], 0, v6
	s_and_b64 s[4:5], vcc, s[4:5]
	v_cndmask_b32_e64 v6, 0, 1, s[4:5]
	v_add_u32_e32 v8, v8, v6
; %bb.1948:
	s_or_b64 exec, exec, s[8:9]
	s_mov_b64 s[4:5], 0
	global_store_byte v[4:5], v8, off
.LBB7_1949:
	s_mov_b64 s[8:9], 0
.LBB7_1950:
	s_and_b64 vcc, exec, s[8:9]
	s_cbranch_vccz .LBB7_1953
; %bb.1951:
	s_cmp_eq_u32 s15, 29
	s_mov_b64 s[4:5], -1
	s_cbranch_scc0 .LBB7_1953
; %bb.1952:
	v_trunc_f64_e32 v[6:7], v[0:1]
	s_movk_i32 s4, 0xffe0
	v_ldexp_f64 v[8:9], v[6:7], s4
	s_mov_b32 s4, 0
	s_mov_b32 s5, 0xc1f00000
	v_floor_f64_e32 v[8:9], v[8:9]
	v_fma_f64 v[6:7], v[8:9], s[4:5], v[6:7]
	v_cvt_u32_f64_e32 v8, v[8:9]
	s_mov_b64 s[4:5], 0
	v_cvt_u32_f64_e32 v7, v[6:7]
	global_store_dwordx2 v[4:5], v[7:8], off
.LBB7_1953:
	s_mov_b64 s[8:9], 0
.LBB7_1954:
	s_and_b64 vcc, exec, s[8:9]
	s_cbranch_vccz .LBB7_1969
; %bb.1955:
	s_cmp_lt_i32 s15, 27
	s_mov_b64 s[8:9], -1
	s_cbranch_scc1 .LBB7_1961
; %bb.1956:
	v_cvt_u32_f64_e32 v6, v[0:1]
	s_cmp_gt_i32 s15, 27
	s_cbranch_scc0 .LBB7_1958
; %bb.1957:
	global_store_dword v[4:5], v6, off
	s_mov_b64 s[8:9], 0
.LBB7_1958:
	s_andn2_b64 vcc, exec, s[8:9]
	s_cbranch_vccnz .LBB7_1960
; %bb.1959:
	global_store_short v[4:5], v6, off
.LBB7_1960:
	s_mov_b64 s[8:9], 0
.LBB7_1961:
	s_andn2_b64 vcc, exec, s[8:9]
	s_cbranch_vccnz .LBB7_1969
; %bb.1962:
	v_cvt_f32_f64_e32 v6, v[0:1]
	s_mov_b32 s8, 0x43800000
	v_mov_b32_e32 v8, 0x80
	v_and_b32_e32 v7, 0x7fffffff, v6
	v_cmp_gt_u32_e32 vcc, s8, v7
	s_and_saveexec_b64 s[8:9], vcc
	s_cbranch_execz .LBB7_1968
; %bb.1963:
	s_mov_b32 s10, 0x3bffffff
	v_cmp_lt_u32_e32 vcc, s10, v7
	s_mov_b64 s[10:11], 0
                                        ; implicit-def: $vgpr7
	s_and_saveexec_b64 s[12:13], vcc
	s_xor_b64 s[12:13], exec, s[12:13]
	s_cbranch_execz .LBB7_2073
; %bb.1964:
	v_bfe_u32 v7, v6, 20, 1
	s_mov_b32 s16, 0x487ffff
	v_add3_u32 v7, v6, v7, s16
	s_mov_b64 s[10:11], exec
	v_lshrrev_b32_e32 v7, 20, v7
	s_andn2_saveexec_b64 s[12:13], s[12:13]
	s_cbranch_execnz .LBB7_2074
.LBB7_1965:
	s_or_b64 exec, exec, s[12:13]
	v_mov_b32_e32 v8, 0
	s_and_saveexec_b64 s[12:13], s[10:11]
.LBB7_1966:
	v_lshrrev_b32_e32 v6, 24, v6
	s_movk_i32 s10, 0x80
	v_and_or_b32 v8, v6, s10, v7
.LBB7_1967:
	s_or_b64 exec, exec, s[12:13]
.LBB7_1968:
	s_or_b64 exec, exec, s[8:9]
	global_store_byte v[4:5], v8, off
.LBB7_1969:
	s_mov_b64 s[8:9], 0
.LBB7_1970:
	s_and_b64 vcc, exec, s[8:9]
	s_cbranch_vccz .LBB7_2010
; %bb.1971:
	s_cmp_gt_i32 s15, 22
	s_mov_b64 s[6:7], -1
	s_cbranch_scc0 .LBB7_2003
; %bb.1972:
	s_cmp_lt_i32 s15, 24
	s_cbranch_scc1 .LBB7_1992
; %bb.1973:
	s_cmp_gt_i32 s15, 24
	s_cbranch_scc0 .LBB7_1981
; %bb.1974:
	v_cvt_f32_f64_e32 v6, v[0:1]
	s_mov_b32 s6, 0x47800000
	v_mov_b32_e32 v8, 0x80
	v_and_b32_e32 v7, 0x7fffffff, v6
	v_cmp_gt_u32_e32 vcc, s6, v7
	s_and_saveexec_b64 s[6:7], vcc
	s_cbranch_execz .LBB7_1980
; %bb.1975:
	s_mov_b32 s8, 0x37ffffff
	v_cmp_lt_u32_e32 vcc, s8, v7
	s_mov_b64 s[8:9], 0
                                        ; implicit-def: $vgpr7
	s_and_saveexec_b64 s[10:11], vcc
	s_xor_b64 s[10:11], exec, s[10:11]
	s_cbranch_execz .LBB7_2076
; %bb.1976:
	v_bfe_u32 v7, v6, 21, 1
	s_mov_b32 s12, 0x88fffff
	v_add3_u32 v7, v6, v7, s12
	s_mov_b64 s[8:9], exec
	v_lshrrev_b32_e32 v7, 21, v7
	s_andn2_saveexec_b64 s[10:11], s[10:11]
	s_cbranch_execnz .LBB7_2077
.LBB7_1977:
	s_or_b64 exec, exec, s[10:11]
	v_mov_b32_e32 v8, 0
	s_and_saveexec_b64 s[10:11], s[8:9]
.LBB7_1978:
	v_lshrrev_b32_e32 v6, 24, v6
	s_movk_i32 s8, 0x80
	v_and_or_b32 v8, v6, s8, v7
.LBB7_1979:
	s_or_b64 exec, exec, s[10:11]
.LBB7_1980:
	s_or_b64 exec, exec, s[6:7]
	s_mov_b64 s[6:7], 0
	global_store_byte v[4:5], v8, off
.LBB7_1981:
	s_and_b64 vcc, exec, s[6:7]
	s_cbranch_vccz .LBB7_1991
; %bb.1982:
	v_cvt_f32_f64_e32 v6, v[0:1]
	s_mov_b32 s6, 0x43f00000
                                        ; implicit-def: $vgpr7
	v_and_b32_e32 v8, 0x7fffffff, v6
	v_cmp_gt_u32_e32 vcc, s6, v8
	s_and_saveexec_b64 s[6:7], vcc
	s_xor_b64 s[6:7], exec, s[6:7]
	s_cbranch_execz .LBB7_1988
; %bb.1983:
	s_mov_b32 s8, 0x3c7fffff
	v_cmp_lt_u32_e32 vcc, s8, v8
                                        ; implicit-def: $vgpr7
	s_and_saveexec_b64 s[8:9], vcc
	s_xor_b64 s[8:9], exec, s[8:9]
; %bb.1984:
	v_bfe_u32 v7, v6, 20, 1
	s_mov_b32 s10, 0x407ffff
	v_add3_u32 v7, v6, v7, s10
	v_lshrrev_b32_e32 v8, 20, v7
	v_and_b32_e32 v7, 0xff00000, v7
	s_mov_b32 s10, 0x7f00000
	v_mov_b32_e32 v9, 0x7e
	v_cmp_ne_u32_e32 vcc, s10, v7
	v_cndmask_b32_e32 v7, v9, v8, vcc
; %bb.1985:
	s_andn2_saveexec_b64 s[8:9], s[8:9]
; %bb.1986:
	s_mov_b32 s10, 0x46800000
	v_add_f32_e64 v7, |v6|, s10
; %bb.1987:
	s_or_b64 exec, exec, s[8:9]
                                        ; implicit-def: $vgpr8
.LBB7_1988:
	s_andn2_saveexec_b64 s[6:7], s[6:7]
; %bb.1989:
	s_mov_b32 s8, 0x7f800000
	v_mov_b32_e32 v7, 0x7e
	v_mov_b32_e32 v9, 0x7f
	v_cmp_lt_u32_e32 vcc, s8, v8
	v_cndmask_b32_e32 v7, v7, v9, vcc
; %bb.1990:
	s_or_b64 exec, exec, s[6:7]
	v_lshrrev_b32_e32 v6, 24, v6
	s_movk_i32 s6, 0x80
	v_and_or_b32 v6, v6, s6, v7
	global_store_byte v[4:5], v6, off
.LBB7_1991:
	s_mov_b64 s[6:7], 0
.LBB7_1992:
	s_andn2_b64 vcc, exec, s[6:7]
	s_cbranch_vccnz .LBB7_2002
; %bb.1993:
	v_cvt_f32_f64_e32 v6, v[0:1]
	s_mov_b32 s6, 0x47800000
                                        ; implicit-def: $vgpr7
	v_and_b32_e32 v8, 0x7fffffff, v6
	v_cmp_gt_u32_e32 vcc, s6, v8
	s_and_saveexec_b64 s[6:7], vcc
	s_xor_b64 s[6:7], exec, s[6:7]
	s_cbranch_execz .LBB7_1999
; %bb.1994:
	s_mov_b32 s8, 0x387fffff
	v_cmp_lt_u32_e32 vcc, s8, v8
                                        ; implicit-def: $vgpr7
	s_and_saveexec_b64 s[8:9], vcc
	s_xor_b64 s[8:9], exec, s[8:9]
; %bb.1995:
	v_bfe_u32 v7, v6, 21, 1
	s_mov_b32 s10, 0x80fffff
	v_add3_u32 v7, v6, v7, s10
	v_lshrrev_b32_e32 v7, 21, v7
; %bb.1996:
	s_andn2_saveexec_b64 s[8:9], s[8:9]
; %bb.1997:
	s_mov_b32 s10, 0x43000000
	v_add_f32_e64 v7, |v6|, s10
; %bb.1998:
	s_or_b64 exec, exec, s[8:9]
                                        ; implicit-def: $vgpr8
.LBB7_1999:
	s_andn2_saveexec_b64 s[6:7], s[6:7]
; %bb.2000:
	s_mov_b32 s8, 0x7f800000
	v_mov_b32_e32 v7, 0x7c
	v_mov_b32_e32 v9, 0x7f
	v_cmp_lt_u32_e32 vcc, s8, v8
	v_cndmask_b32_e32 v7, v7, v9, vcc
; %bb.2001:
	s_or_b64 exec, exec, s[6:7]
	v_lshrrev_b32_e32 v6, 24, v6
	s_movk_i32 s6, 0x80
	v_and_or_b32 v6, v6, s6, v7
	global_store_byte v[4:5], v6, off
.LBB7_2002:
	s_mov_b64 s[6:7], 0
.LBB7_2003:
	s_andn2_b64 vcc, exec, s[6:7]
	s_mov_b64 s[6:7], 0
	s_cbranch_vccnz .LBB7_2010
; %bb.2004:
	s_cmp_gt_i32 s15, 14
	s_mov_b64 s[8:9], -1
	s_cbranch_scc0 .LBB7_2008
; %bb.2005:
	s_cmp_eq_u32 s15, 15
	s_mov_b64 s[4:5], -1
	s_cbranch_scc0 .LBB7_2007
; %bb.2006:
	v_cvt_f32_f64_e32 v6, v[0:1]
	s_movk_i32 s4, 0x7fff
	v_mov_b32_e32 v7, 0x7fc0
	v_bfe_u32 v8, v6, 16, 1
	v_cmp_o_f32_e32 vcc, v6, v6
	v_add3_u32 v6, v6, v8, s4
	v_cndmask_b32_sdwa v6, v7, v6, vcc dst_sel:DWORD dst_unused:UNUSED_PAD src0_sel:DWORD src1_sel:WORD_1
	global_store_short v[4:5], v6, off
	s_mov_b64 s[4:5], 0
.LBB7_2007:
	s_mov_b64 s[8:9], 0
.LBB7_2008:
	s_and_b64 vcc, exec, s[8:9]
	s_cbranch_vccz .LBB7_2010
; %bb.2009:
	s_cmp_lg_u32 s15, 11
	s_mov_b64 s[6:7], -1
	s_cselect_b64 s[4:5], -1, 0
.LBB7_2010:
	s_and_b64 vcc, exec, s[4:5]
	s_cbranch_vccnz .LBB7_2075
.LBB7_2011:
	s_mov_b64 s[4:5], 0
	s_branch .LBB7_2013
.LBB7_2012:
	s_mov_b64 s[4:5], 0
	s_mov_b64 s[6:7], 0
                                        ; implicit-def: $sgpr14
                                        ; implicit-def: $vgpr4_vgpr5
                                        ; implicit-def: $vgpr2_vgpr3
.LBB7_2013:
	s_and_b64 s[8:9], s[4:5], exec
	s_and_b64 s[42:43], s[6:7], exec
	s_andn2_b64 s[4:5], s[46:47], exec
	s_and_b64 s[6:7], s[48:49], exec
	s_or_b64 s[46:47], s[4:5], s[6:7]
.LBB7_2014:
	s_or_b64 exec, exec, s[44:45]
	s_and_saveexec_b64 s[4:5], s[46:47]
	s_cbranch_execz .LBB7_2017
; %bb.2015:
	; divergent unreachable
	s_or_b64 exec, exec, s[4:5]
	s_and_saveexec_b64 s[4:5], s[42:43]
	s_xor_b64 s[6:7], exec, s[4:5]
	s_cbranch_execnz .LBB7_2018
.LBB7_2016:
	s_or_b64 exec, exec, s[6:7]
	s_and_saveexec_b64 s[4:5], s[8:9]
	s_cbranch_execnz .LBB7_2019
	s_branch .LBB7_2056
.LBB7_2017:
	s_or_b64 exec, exec, s[4:5]
	s_and_saveexec_b64 s[4:5], s[42:43]
	s_xor_b64 s[6:7], exec, s[4:5]
	s_cbranch_execz .LBB7_2016
.LBB7_2018:
	s_waitcnt vmcnt(0)
	v_cmp_neq_f64_e32 vcc, 0, v[0:1]
	v_cmp_neq_f64_e64 s[4:5], 0, v[2:3]
	s_or_b64 s[4:5], vcc, s[4:5]
	v_cndmask_b32_e64 v6, 0, 1, s[4:5]
	global_store_byte v[4:5], v6, off
	s_or_b64 exec, exec, s[6:7]
	s_and_saveexec_b64 s[4:5], s[8:9]
	s_cbranch_execz .LBB7_2056
.LBB7_2019:
	s_sext_i32_i16 s6, s14
	s_cmp_lt_i32 s6, 5
	s_mov_b64 s[4:5], -1
	s_cbranch_scc1 .LBB7_2040
; %bb.2020:
	s_cmp_lt_i32 s6, 8
	s_cbranch_scc1 .LBB7_2030
; %bb.2021:
	s_cmp_lt_i32 s6, 9
	s_cbranch_scc1 .LBB7_2027
; %bb.2022:
	s_cmp_gt_i32 s6, 9
	s_cbranch_scc0 .LBB7_2024
; %bb.2023:
	s_waitcnt vmcnt(0)
	global_store_dwordx4 v[4:5], v[0:3], off
	s_mov_b64 s[4:5], 0
.LBB7_2024:
	s_andn2_b64 vcc, exec, s[4:5]
	s_cbranch_vccnz .LBB7_2026
; %bb.2025:
	s_waitcnt vmcnt(0)
	v_cvt_f32_f64_e32 v6, v[0:1]
	v_cvt_f32_f64_e32 v7, v[2:3]
	global_store_dwordx2 v[4:5], v[6:7], off
.LBB7_2026:
	s_mov_b64 s[4:5], 0
.LBB7_2027:
	s_andn2_b64 vcc, exec, s[4:5]
	s_cbranch_vccnz .LBB7_2029
; %bb.2028:
	s_movk_i32 s4, 0x1ff
	s_waitcnt vmcnt(0)
	v_and_or_b32 v6, v1, s4, v0
	v_cmp_ne_u32_e32 vcc, 0, v6
	v_cndmask_b32_e64 v6, 0, 1, vcc
	v_lshrrev_b32_e32 v7, 8, v1
	s_movk_i32 s5, 0xffe
	v_bfe_u32 v8, v1, 20, 11
	v_and_or_b32 v6, v7, s5, v6
	v_sub_u32_e32 v9, 0x3f1, v8
	v_or_b32_e32 v7, 0x1000, v6
	v_med3_i32 v9, v9, 0, 13
	v_lshrrev_b32_e32 v10, v9, v7
	v_lshlrev_b32_e32 v9, v9, v10
	v_cmp_ne_u32_e32 vcc, v9, v7
	v_cndmask_b32_e64 v7, 0, 1, vcc
	v_add_u32_e32 v8, 0xfffffc10, v8
	v_or_b32_e32 v7, v10, v7
	v_lshl_or_b32 v9, v8, 12, v6
	v_cmp_gt_i32_e32 vcc, 1, v8
	v_cndmask_b32_e32 v7, v9, v7, vcc
	v_and_b32_e32 v9, 7, v7
	v_cmp_lt_i32_e32 vcc, 5, v9
	v_cndmask_b32_e64 v10, 0, 1, vcc
	v_cmp_eq_u32_e32 vcc, 3, v9
	v_cndmask_b32_e64 v9, 0, 1, vcc
	v_or_b32_e32 v9, v9, v10
	v_lshrrev_b32_e32 v7, 2, v7
	v_add_u32_e32 v7, v7, v9
	v_mov_b32_e32 v9, 0x7c00
	v_cmp_gt_i32_e32 vcc, 31, v8
	v_cndmask_b32_e32 v7, v9, v7, vcc
	v_mov_b32_e32 v10, 0x7e00
	v_cmp_ne_u32_e32 vcc, 0, v6
	s_movk_i32 s6, 0x40f
	v_cndmask_b32_e32 v6, v9, v10, vcc
	v_cmp_eq_u32_e32 vcc, s6, v8
	v_and_or_b32 v2, v3, s4, v2
	v_cndmask_b32_e32 v6, v7, v6, vcc
	v_lshrrev_b32_e32 v7, 16, v1
	s_mov_b32 s7, 0x8000
	v_cmp_ne_u32_e32 vcc, 0, v2
	v_and_or_b32 v6, v7, s7, v6
	v_cndmask_b32_e64 v2, 0, 1, vcc
	v_lshrrev_b32_e32 v7, 8, v3
	v_bfe_u32 v8, v3, 20, 11
	v_and_or_b32 v2, v7, s5, v2
	v_sub_u32_e32 v11, 0x3f1, v8
	v_or_b32_e32 v7, 0x1000, v2
	v_med3_i32 v11, v11, 0, 13
	v_lshrrev_b32_e32 v12, v11, v7
	v_lshlrev_b32_e32 v11, v11, v12
	v_cmp_ne_u32_e32 vcc, v11, v7
	v_cndmask_b32_e64 v7, 0, 1, vcc
	v_add_u32_e32 v8, 0xfffffc10, v8
	v_or_b32_e32 v7, v12, v7
	v_lshl_or_b32 v11, v8, 12, v2
	v_cmp_gt_i32_e32 vcc, 1, v8
	v_cndmask_b32_e32 v7, v11, v7, vcc
	v_and_b32_e32 v11, 7, v7
	v_cmp_lt_i32_e32 vcc, 5, v11
	v_cndmask_b32_e64 v12, 0, 1, vcc
	v_cmp_eq_u32_e32 vcc, 3, v11
	v_cndmask_b32_e64 v11, 0, 1, vcc
	v_or_b32_e32 v11, v11, v12
	v_lshrrev_b32_e32 v7, 2, v7
	v_add_u32_e32 v7, v7, v11
	v_cmp_gt_i32_e32 vcc, 31, v8
	v_cndmask_b32_e32 v7, v9, v7, vcc
	v_cmp_ne_u32_e32 vcc, 0, v2
	v_cndmask_b32_e32 v2, v9, v10, vcc
	v_cmp_eq_u32_e32 vcc, s6, v8
	v_cndmask_b32_e32 v2, v7, v2, vcc
	v_lshrrev_b32_e32 v3, 16, v3
	v_and_or_b32 v2, v3, s7, v2
	v_and_b32_e32 v3, 0xffff, v6
	v_lshl_or_b32 v2, v2, 16, v3
	global_store_dword v[4:5], v2, off
.LBB7_2029:
	s_mov_b64 s[4:5], 0
.LBB7_2030:
	s_andn2_b64 vcc, exec, s[4:5]
	s_cbranch_vccnz .LBB7_2039
; %bb.2031:
	s_sext_i32_i16 s6, s14
	s_cmp_lt_i32 s6, 6
	s_mov_b64 s[4:5], -1
	s_cbranch_scc1 .LBB7_2037
; %bb.2032:
	s_cmp_gt_i32 s6, 6
	s_cbranch_scc0 .LBB7_2034
; %bb.2033:
	s_waitcnt vmcnt(0)
	global_store_dwordx2 v[4:5], v[0:1], off
	s_mov_b64 s[4:5], 0
.LBB7_2034:
	s_andn2_b64 vcc, exec, s[4:5]
	s_cbranch_vccnz .LBB7_2036
; %bb.2035:
	s_waitcnt vmcnt(0)
	v_cvt_f32_f64_e32 v2, v[0:1]
	global_store_dword v[4:5], v2, off
.LBB7_2036:
	s_mov_b64 s[4:5], 0
.LBB7_2037:
	s_andn2_b64 vcc, exec, s[4:5]
	s_cbranch_vccnz .LBB7_2039
; %bb.2038:
	s_movk_i32 s4, 0x1ff
	s_waitcnt vmcnt(0)
	v_and_or_b32 v2, v1, s4, v0
	v_cmp_ne_u32_e32 vcc, 0, v2
	v_cndmask_b32_e64 v2, 0, 1, vcc
	v_lshrrev_b32_e32 v3, 8, v1
	s_movk_i32 s4, 0xffe
	v_bfe_u32 v6, v1, 20, 11
	v_and_or_b32 v2, v3, s4, v2
	v_sub_u32_e32 v7, 0x3f1, v6
	v_or_b32_e32 v3, 0x1000, v2
	v_med3_i32 v7, v7, 0, 13
	v_lshrrev_b32_e32 v8, v7, v3
	v_lshlrev_b32_e32 v7, v7, v8
	v_cmp_ne_u32_e32 vcc, v7, v3
	v_cndmask_b32_e64 v3, 0, 1, vcc
	v_add_u32_e32 v6, 0xfffffc10, v6
	v_or_b32_e32 v3, v8, v3
	v_lshl_or_b32 v7, v6, 12, v2
	v_cmp_gt_i32_e32 vcc, 1, v6
	v_cndmask_b32_e32 v3, v7, v3, vcc
	v_and_b32_e32 v7, 7, v3
	v_cmp_lt_i32_e32 vcc, 5, v7
	v_cndmask_b32_e64 v8, 0, 1, vcc
	v_cmp_eq_u32_e32 vcc, 3, v7
	v_cndmask_b32_e64 v7, 0, 1, vcc
	v_or_b32_e32 v7, v7, v8
	v_lshrrev_b32_e32 v3, 2, v3
	v_add_u32_e32 v3, v3, v7
	v_mov_b32_e32 v7, 0x7c00
	v_cmp_gt_i32_e32 vcc, 31, v6
	v_cndmask_b32_e32 v3, v7, v3, vcc
	v_mov_b32_e32 v8, 0x7e00
	v_cmp_ne_u32_e32 vcc, 0, v2
	s_movk_i32 s4, 0x40f
	v_cndmask_b32_e32 v2, v7, v8, vcc
	v_cmp_eq_u32_e32 vcc, s4, v6
	v_cndmask_b32_e32 v2, v3, v2, vcc
	v_lshrrev_b32_e32 v3, 16, v1
	s_mov_b32 s4, 0x8000
	v_and_or_b32 v2, v3, s4, v2
	global_store_short v[4:5], v2, off
.LBB7_2039:
	s_mov_b64 s[4:5], 0
.LBB7_2040:
	s_andn2_b64 vcc, exec, s[4:5]
	s_cbranch_vccnz .LBB7_2056
; %bb.2041:
	s_sext_i32_i16 s6, s14
	s_cmp_lt_i32 s6, 2
	s_mov_b64 s[4:5], -1
	s_cbranch_scc1 .LBB7_2051
; %bb.2042:
	s_cmp_lt_i32 s6, 3
	s_cbranch_scc1 .LBB7_2048
; %bb.2043:
	s_cmp_gt_i32 s6, 3
	s_cbranch_scc0 .LBB7_2045
; %bb.2044:
	s_waitcnt vmcnt(0)
	v_trunc_f64_e32 v[2:3], v[0:1]
	s_movk_i32 s4, 0xffe0
	v_ldexp_f64 v[6:7], v[2:3], s4
	s_mov_b32 s4, 0
	s_mov_b32 s5, 0xc1f00000
	v_floor_f64_e32 v[6:7], v[6:7]
	v_fma_f64 v[2:3], v[6:7], s[4:5], v[2:3]
	v_cvt_i32_f64_e32 v7, v[6:7]
	s_mov_b64 s[4:5], 0
	v_cvt_u32_f64_e32 v6, v[2:3]
	global_store_dwordx2 v[4:5], v[6:7], off
.LBB7_2045:
	s_andn2_b64 vcc, exec, s[4:5]
	s_cbranch_vccnz .LBB7_2047
; %bb.2046:
	s_waitcnt vmcnt(0)
	v_cvt_i32_f64_e32 v2, v[0:1]
	global_store_dword v[4:5], v2, off
.LBB7_2047:
	s_mov_b64 s[4:5], 0
.LBB7_2048:
	s_andn2_b64 vcc, exec, s[4:5]
	s_cbranch_vccnz .LBB7_2050
; %bb.2049:
	s_waitcnt vmcnt(0)
	v_cvt_i32_f64_e32 v2, v[0:1]
	global_store_short v[4:5], v2, off
.LBB7_2050:
	s_mov_b64 s[4:5], 0
.LBB7_2051:
	s_andn2_b64 vcc, exec, s[4:5]
	s_cbranch_vccnz .LBB7_2056
; %bb.2052:
	s_sext_i32_i16 s4, s14
	s_cmp_gt_i32 s4, 0
	s_mov_b64 s[4:5], -1
	s_cbranch_scc0 .LBB7_2054
; %bb.2053:
	s_waitcnt vmcnt(0)
	v_cvt_i32_f64_e32 v2, v[0:1]
	s_mov_b64 s[4:5], 0
	global_store_byte v[4:5], v2, off
.LBB7_2054:
	s_andn2_b64 vcc, exec, s[4:5]
	s_cbranch_vccnz .LBB7_2056
; %bb.2055:
	s_waitcnt vmcnt(0)
	v_trunc_f64_e32 v[0:1], v[0:1]
	s_movk_i32 s4, 0xffe0
	v_ldexp_f64 v[2:3], v[0:1], s4
	s_mov_b32 s4, 0
	s_mov_b32 s5, 0xc1f00000
	v_floor_f64_e32 v[2:3], v[2:3]
	v_fma_f64 v[0:1], v[2:3], s[4:5], v[0:1]
	v_cvt_u32_f64_e32 v0, v[0:1]
	global_store_byte v[4:5], v0, off
	s_endpgm
.LBB7_2056:
	s_endpgm
.LBB7_2057:
	s_mov_b64 s[6:7], 0
	s_mov_b64 s[4:5], -1
	s_branch .LBB7_2013
.LBB7_2058:
	s_andn2_saveexec_b64 s[12:13], s[12:13]
	s_cbranch_execz .LBB7_1607
.LBB7_2059:
	s_mov_b32 s16, 0x46000000
	v_add_f32_e64 v8, |v7|, s16
	v_and_b32_e32 v8, 0xff, v8
	v_cmp_ne_u32_e32 vcc, 0, v8
	s_andn2_b64 s[10:11], s[10:11], exec
	s_and_b64 s[16:17], vcc, exec
	s_or_b64 s[10:11], s[10:11], s[16:17]
	s_or_b64 exec, exec, s[12:13]
	v_mov_b32_e32 v9, 0
	s_and_saveexec_b64 s[12:13], s[10:11]
	s_cbranch_execnz .LBB7_1608
	s_branch .LBB7_1609
.LBB7_2060:
	s_trap 2
	s_or_b64 s[48:49], s[48:49], exec
	s_cbranch_execz .LBB7_1655
	s_branch .LBB7_1656
.LBB7_2061:
	s_andn2_saveexec_b64 s[10:11], s[10:11]
	s_cbranch_execz .LBB7_1620
.LBB7_2062:
	s_mov_b32 s12, 0x42800000
	v_add_f32_e64 v8, |v7|, s12
	v_and_b32_e32 v8, 0xff, v8
	v_cmp_ne_u32_e32 vcc, 0, v8
	s_andn2_b64 s[8:9], s[8:9], exec
	s_and_b64 s[12:13], vcc, exec
	s_or_b64 s[8:9], s[8:9], s[12:13]
	s_or_b64 exec, exec, s[10:11]
	v_mov_b32_e32 v9, 0
	s_and_saveexec_b64 s[10:11], s[8:9]
	s_cbranch_execnz .LBB7_1621
	s_branch .LBB7_1622
.LBB7_2063:
	s_andn2_saveexec_b64 s[12:13], s[12:13]
	s_cbranch_execz .LBB7_1726
.LBB7_2064:
	s_mov_b32 s17, 0x46000000
	v_add_f32_e64 v8, |v7|, s17
	v_and_b32_e32 v8, 0xff, v8
	v_cmp_ne_u32_e32 vcc, 0, v8
	s_andn2_b64 s[10:11], s[10:11], exec
	s_and_b64 s[18:19], vcc, exec
	s_or_b64 s[10:11], s[10:11], s[18:19]
	s_or_b64 exec, exec, s[12:13]
	v_mov_b32_e32 v9, 0
	s_and_saveexec_b64 s[12:13], s[10:11]
	s_cbranch_execnz .LBB7_1727
	s_branch .LBB7_1728
.LBB7_2065:
	s_trap 2
	s_or_b64 s[48:49], s[48:49], exec
	s_cbranch_execz .LBB7_1774
	s_branch .LBB7_1775
.LBB7_2066:
	s_andn2_saveexec_b64 s[10:11], s[10:11]
	s_cbranch_execz .LBB7_1739
.LBB7_2067:
	s_mov_b32 s12, 0x42800000
	v_add_f32_e64 v8, |v7|, s12
	v_and_b32_e32 v8, 0xff, v8
	v_cmp_ne_u32_e32 vcc, 0, v8
	s_andn2_b64 s[8:9], s[8:9], exec
	s_and_b64 s[12:13], vcc, exec
	s_or_b64 s[8:9], s[8:9], s[12:13]
	s_or_b64 exec, exec, s[10:11]
	v_mov_b32_e32 v9, 0
	s_and_saveexec_b64 s[10:11], s[8:9]
	s_cbranch_execnz .LBB7_1740
	s_branch .LBB7_1741
.LBB7_2068:
	s_andn2_saveexec_b64 s[12:13], s[12:13]
	s_cbranch_execz .LBB7_1845
.LBB7_2069:
	s_mov_b32 s17, 0x46000000
	v_add_f32_e64 v8, |v7|, s17
	v_and_b32_e32 v8, 0xff, v8
	v_cmp_ne_u32_e32 vcc, 0, v8
	s_andn2_b64 s[10:11], s[10:11], exec
	s_and_b64 s[18:19], vcc, exec
	s_or_b64 s[10:11], s[10:11], s[18:19]
	s_or_b64 exec, exec, s[12:13]
	v_mov_b32_e32 v9, 0
	s_and_saveexec_b64 s[12:13], s[10:11]
	s_cbranch_execnz .LBB7_1846
	s_branch .LBB7_1847
.LBB7_2070:
	s_trap 2
	s_or_b64 s[48:49], s[48:49], exec
	s_cbranch_execz .LBB7_1893
	s_branch .LBB7_1894
.LBB7_2071:
	s_andn2_saveexec_b64 s[10:11], s[10:11]
	s_cbranch_execz .LBB7_1858
.LBB7_2072:
	s_mov_b32 s12, 0x42800000
	v_add_f32_e64 v8, |v7|, s12
	v_and_b32_e32 v8, 0xff, v8
	v_cmp_ne_u32_e32 vcc, 0, v8
	s_andn2_b64 s[8:9], s[8:9], exec
	s_and_b64 s[12:13], vcc, exec
	s_or_b64 s[8:9], s[8:9], s[12:13]
	s_or_b64 exec, exec, s[10:11]
	v_mov_b32_e32 v9, 0
	s_and_saveexec_b64 s[10:11], s[8:9]
	s_cbranch_execnz .LBB7_1859
	s_branch .LBB7_1860
.LBB7_2073:
	s_andn2_saveexec_b64 s[12:13], s[12:13]
	s_cbranch_execz .LBB7_1965
.LBB7_2074:
	s_mov_b32 s16, 0x46000000
	v_add_f32_e64 v7, |v6|, s16
	v_and_b32_e32 v7, 0xff, v7
	v_cmp_ne_u32_e32 vcc, 0, v7
	s_andn2_b64 s[10:11], s[10:11], exec
	s_and_b64 s[16:17], vcc, exec
	s_or_b64 s[10:11], s[10:11], s[16:17]
	s_or_b64 exec, exec, s[12:13]
	v_mov_b32_e32 v8, 0
	s_and_saveexec_b64 s[12:13], s[10:11]
	s_cbranch_execnz .LBB7_1966
	s_branch .LBB7_1967
.LBB7_2075:
	s_mov_b64 s[6:7], 0
	s_or_b64 s[48:49], s[48:49], exec
	s_trap 2
	s_branch .LBB7_2011
.LBB7_2076:
	s_andn2_saveexec_b64 s[10:11], s[10:11]
	s_cbranch_execz .LBB7_1977
.LBB7_2077:
	s_mov_b32 s12, 0x42800000
	v_add_f32_e64 v7, |v6|, s12
	v_and_b32_e32 v7, 0xff, v7
	v_cmp_ne_u32_e32 vcc, 0, v7
	s_andn2_b64 s[8:9], s[8:9], exec
	s_and_b64 s[12:13], vcc, exec
	s_or_b64 s[8:9], s[8:9], s[12:13]
	s_or_b64 exec, exec, s[10:11]
	v_mov_b32_e32 v8, 0
	s_and_saveexec_b64 s[10:11], s[8:9]
	s_cbranch_execnz .LBB7_1978
	s_branch .LBB7_1979
	.section	.rodata,"a",@progbits
	.p2align	6, 0x0
	.amdhsa_kernel _ZN2at6native32elementwise_kernel_manual_unrollILi128ELi4EZNS0_15gpu_kernel_implIZZZNS0_16asin_kernel_cudaERNS_18TensorIteratorBaseEENKUlvE_clEvENKUlvE_clEvEUlN3c107complexIdEEE_EEvS4_RKT_EUlibE_EEviT1_
		.amdhsa_group_segment_fixed_size 0
		.amdhsa_private_segment_fixed_size 12
		.amdhsa_kernarg_size 40
		.amdhsa_user_sgpr_count 8
		.amdhsa_user_sgpr_private_segment_buffer 1
		.amdhsa_user_sgpr_dispatch_ptr 0
		.amdhsa_user_sgpr_queue_ptr 0
		.amdhsa_user_sgpr_kernarg_segment_ptr 1
		.amdhsa_user_sgpr_dispatch_id 0
		.amdhsa_user_sgpr_flat_scratch_init 1
		.amdhsa_user_sgpr_private_segment_size 0
		.amdhsa_uses_dynamic_stack 0
		.amdhsa_system_sgpr_private_segment_wavefront_offset 1
		.amdhsa_system_sgpr_workgroup_id_x 1
		.amdhsa_system_sgpr_workgroup_id_y 0
		.amdhsa_system_sgpr_workgroup_id_z 0
		.amdhsa_system_sgpr_workgroup_info 0
		.amdhsa_system_vgpr_workitem_id 0
		.amdhsa_next_free_vgpr 55
		.amdhsa_next_free_sgpr 63
		.amdhsa_reserve_vcc 1
		.amdhsa_reserve_flat_scratch 1
		.amdhsa_float_round_mode_32 0
		.amdhsa_float_round_mode_16_64 0
		.amdhsa_float_denorm_mode_32 3
		.amdhsa_float_denorm_mode_16_64 3
		.amdhsa_dx10_clamp 1
		.amdhsa_ieee_mode 1
		.amdhsa_fp16_overflow 0
		.amdhsa_exception_fp_ieee_invalid_op 0
		.amdhsa_exception_fp_denorm_src 0
		.amdhsa_exception_fp_ieee_div_zero 0
		.amdhsa_exception_fp_ieee_overflow 0
		.amdhsa_exception_fp_ieee_underflow 0
		.amdhsa_exception_fp_ieee_inexact 0
		.amdhsa_exception_int_div_zero 0
	.end_amdhsa_kernel
	.section	.text._ZN2at6native32elementwise_kernel_manual_unrollILi128ELi4EZNS0_15gpu_kernel_implIZZZNS0_16asin_kernel_cudaERNS_18TensorIteratorBaseEENKUlvE_clEvENKUlvE_clEvEUlN3c107complexIdEEE_EEvS4_RKT_EUlibE_EEviT1_,"axG",@progbits,_ZN2at6native32elementwise_kernel_manual_unrollILi128ELi4EZNS0_15gpu_kernel_implIZZZNS0_16asin_kernel_cudaERNS_18TensorIteratorBaseEENKUlvE_clEvENKUlvE_clEvEUlN3c107complexIdEEE_EEvS4_RKT_EUlibE_EEviT1_,comdat
.Lfunc_end7:
	.size	_ZN2at6native32elementwise_kernel_manual_unrollILi128ELi4EZNS0_15gpu_kernel_implIZZZNS0_16asin_kernel_cudaERNS_18TensorIteratorBaseEENKUlvE_clEvENKUlvE_clEvEUlN3c107complexIdEEE_EEvS4_RKT_EUlibE_EEviT1_, .Lfunc_end7-_ZN2at6native32elementwise_kernel_manual_unrollILi128ELi4EZNS0_15gpu_kernel_implIZZZNS0_16asin_kernel_cudaERNS_18TensorIteratorBaseEENKUlvE_clEvENKUlvE_clEvEUlN3c107complexIdEEE_EEvS4_RKT_EUlibE_EEviT1_
                                        ; -- End function
	.set _ZN2at6native32elementwise_kernel_manual_unrollILi128ELi4EZNS0_15gpu_kernel_implIZZZNS0_16asin_kernel_cudaERNS_18TensorIteratorBaseEENKUlvE_clEvENKUlvE_clEvEUlN3c107complexIdEEE_EEvS4_RKT_EUlibE_EEviT1_.num_vgpr, max(55, .L_ZZZZN2at6native16asin_kernel_cudaERNS_18TensorIteratorBaseEENKUlvE_clEvENKUlvE_clEvENKUlN3c107complexIdEEE_clES7_.num_vgpr)
	.set _ZN2at6native32elementwise_kernel_manual_unrollILi128ELi4EZNS0_15gpu_kernel_implIZZZNS0_16asin_kernel_cudaERNS_18TensorIteratorBaseEENKUlvE_clEvENKUlvE_clEvEUlN3c107complexIdEEE_EEvS4_RKT_EUlibE_EEviT1_.num_agpr, max(0, .L_ZZZZN2at6native16asin_kernel_cudaERNS_18TensorIteratorBaseEENKUlvE_clEvENKUlvE_clEvENKUlN3c107complexIdEEE_clES7_.num_agpr)
	.set _ZN2at6native32elementwise_kernel_manual_unrollILi128ELi4EZNS0_15gpu_kernel_implIZZZNS0_16asin_kernel_cudaERNS_18TensorIteratorBaseEENKUlvE_clEvENKUlvE_clEvEUlN3c107complexIdEEE_EEvS4_RKT_EUlibE_EEviT1_.numbered_sgpr, max(63, .L_ZZZZN2at6native16asin_kernel_cudaERNS_18TensorIteratorBaseEENKUlvE_clEvENKUlvE_clEvENKUlN3c107complexIdEEE_clES7_.numbered_sgpr)
	.set _ZN2at6native32elementwise_kernel_manual_unrollILi128ELi4EZNS0_15gpu_kernel_implIZZZNS0_16asin_kernel_cudaERNS_18TensorIteratorBaseEENKUlvE_clEvENKUlvE_clEvEUlN3c107complexIdEEE_EEvS4_RKT_EUlibE_EEviT1_.num_named_barrier, max(0, .L_ZZZZN2at6native16asin_kernel_cudaERNS_18TensorIteratorBaseEENKUlvE_clEvENKUlvE_clEvENKUlN3c107complexIdEEE_clES7_.num_named_barrier)
	.set _ZN2at6native32elementwise_kernel_manual_unrollILi128ELi4EZNS0_15gpu_kernel_implIZZZNS0_16asin_kernel_cudaERNS_18TensorIteratorBaseEENKUlvE_clEvENKUlvE_clEvEUlN3c107complexIdEEE_EEvS4_RKT_EUlibE_EEviT1_.private_seg_size, 0+max(.L_ZZZZN2at6native16asin_kernel_cudaERNS_18TensorIteratorBaseEENKUlvE_clEvENKUlvE_clEvENKUlN3c107complexIdEEE_clES7_.private_seg_size)
	.set _ZN2at6native32elementwise_kernel_manual_unrollILi128ELi4EZNS0_15gpu_kernel_implIZZZNS0_16asin_kernel_cudaERNS_18TensorIteratorBaseEENKUlvE_clEvENKUlvE_clEvEUlN3c107complexIdEEE_EEvS4_RKT_EUlibE_EEviT1_.uses_vcc, or(1, .L_ZZZZN2at6native16asin_kernel_cudaERNS_18TensorIteratorBaseEENKUlvE_clEvENKUlvE_clEvENKUlN3c107complexIdEEE_clES7_.uses_vcc)
	.set _ZN2at6native32elementwise_kernel_manual_unrollILi128ELi4EZNS0_15gpu_kernel_implIZZZNS0_16asin_kernel_cudaERNS_18TensorIteratorBaseEENKUlvE_clEvENKUlvE_clEvEUlN3c107complexIdEEE_EEvS4_RKT_EUlibE_EEviT1_.uses_flat_scratch, or(1, .L_ZZZZN2at6native16asin_kernel_cudaERNS_18TensorIteratorBaseEENKUlvE_clEvENKUlvE_clEvENKUlN3c107complexIdEEE_clES7_.uses_flat_scratch)
	.set _ZN2at6native32elementwise_kernel_manual_unrollILi128ELi4EZNS0_15gpu_kernel_implIZZZNS0_16asin_kernel_cudaERNS_18TensorIteratorBaseEENKUlvE_clEvENKUlvE_clEvEUlN3c107complexIdEEE_EEvS4_RKT_EUlibE_EEviT1_.has_dyn_sized_stack, or(0, .L_ZZZZN2at6native16asin_kernel_cudaERNS_18TensorIteratorBaseEENKUlvE_clEvENKUlvE_clEvENKUlN3c107complexIdEEE_clES7_.has_dyn_sized_stack)
	.set _ZN2at6native32elementwise_kernel_manual_unrollILi128ELi4EZNS0_15gpu_kernel_implIZZZNS0_16asin_kernel_cudaERNS_18TensorIteratorBaseEENKUlvE_clEvENKUlvE_clEvEUlN3c107complexIdEEE_EEvS4_RKT_EUlibE_EEviT1_.has_recursion, or(0, .L_ZZZZN2at6native16asin_kernel_cudaERNS_18TensorIteratorBaseEENKUlvE_clEvENKUlvE_clEvENKUlN3c107complexIdEEE_clES7_.has_recursion)
	.set _ZN2at6native32elementwise_kernel_manual_unrollILi128ELi4EZNS0_15gpu_kernel_implIZZZNS0_16asin_kernel_cudaERNS_18TensorIteratorBaseEENKUlvE_clEvENKUlvE_clEvEUlN3c107complexIdEEE_EEvS4_RKT_EUlibE_EEviT1_.has_indirect_call, or(0, .L_ZZZZN2at6native16asin_kernel_cudaERNS_18TensorIteratorBaseEENKUlvE_clEvENKUlvE_clEvENKUlN3c107complexIdEEE_clES7_.has_indirect_call)
	.section	.AMDGPU.csdata,"",@progbits
; Kernel info:
; codeLenInByte = 38364
; TotalNumSgprs: 69
; NumVgprs: 55
; ScratchSize: 12
; MemoryBound: 1
; FloatMode: 240
; IeeeMode: 1
; LDSByteSize: 0 bytes/workgroup (compile time only)
; SGPRBlocks: 8
; VGPRBlocks: 13
; NumSGPRsForWavesPerEU: 69
; NumVGPRsForWavesPerEU: 55
; Occupancy: 4
; WaveLimiterHint : 0
; COMPUTE_PGM_RSRC2:SCRATCH_EN: 1
; COMPUTE_PGM_RSRC2:USER_SGPR: 8
; COMPUTE_PGM_RSRC2:TRAP_HANDLER: 0
; COMPUTE_PGM_RSRC2:TGID_X_EN: 1
; COMPUTE_PGM_RSRC2:TGID_Y_EN: 0
; COMPUTE_PGM_RSRC2:TGID_Z_EN: 0
; COMPUTE_PGM_RSRC2:TIDIG_COMP_CNT: 0
	.section	.text._ZN2at6native32elementwise_kernel_manual_unrollILi128ELi4EZNS0_15gpu_kernel_implIZZZNS0_16asin_kernel_cudaERNS_18TensorIteratorBaseEENKUlvE_clEvENKUlvE_clEvEUlN3c107complexIdEEE_EEvS4_RKT_EUlibE0_EEviT1_,"axG",@progbits,_ZN2at6native32elementwise_kernel_manual_unrollILi128ELi4EZNS0_15gpu_kernel_implIZZZNS0_16asin_kernel_cudaERNS_18TensorIteratorBaseEENKUlvE_clEvENKUlvE_clEvEUlN3c107complexIdEEE_EEvS4_RKT_EUlibE0_EEviT1_,comdat
	.globl	_ZN2at6native32elementwise_kernel_manual_unrollILi128ELi4EZNS0_15gpu_kernel_implIZZZNS0_16asin_kernel_cudaERNS_18TensorIteratorBaseEENKUlvE_clEvENKUlvE_clEvEUlN3c107complexIdEEE_EEvS4_RKT_EUlibE0_EEviT1_ ; -- Begin function _ZN2at6native32elementwise_kernel_manual_unrollILi128ELi4EZNS0_15gpu_kernel_implIZZZNS0_16asin_kernel_cudaERNS_18TensorIteratorBaseEENKUlvE_clEvENKUlvE_clEvEUlN3c107complexIdEEE_EEvS4_RKT_EUlibE0_EEviT1_
	.p2align	8
	.type	_ZN2at6native32elementwise_kernel_manual_unrollILi128ELi4EZNS0_15gpu_kernel_implIZZZNS0_16asin_kernel_cudaERNS_18TensorIteratorBaseEENKUlvE_clEvENKUlvE_clEvEUlN3c107complexIdEEE_EEvS4_RKT_EUlibE0_EEviT1_,@function
_ZN2at6native32elementwise_kernel_manual_unrollILi128ELi4EZNS0_15gpu_kernel_implIZZZNS0_16asin_kernel_cudaERNS_18TensorIteratorBaseEENKUlvE_clEvENKUlvE_clEvEUlN3c107complexIdEEE_EEvS4_RKT_EUlibE0_EEviT1_: ; @_ZN2at6native32elementwise_kernel_manual_unrollILi128ELi4EZNS0_15gpu_kernel_implIZZZNS0_16asin_kernel_cudaERNS_18TensorIteratorBaseEENKUlvE_clEvENKUlvE_clEvEUlN3c107complexIdEEE_EEvS4_RKT_EUlibE0_EEviT1_
; %bb.0:
	s_add_u32 flat_scratch_lo, s6, s9
	s_load_dword s85, s[4:5], 0x0
	s_load_dword s33, s[4:5], 0x8
	s_addc_u32 flat_scratch_hi, s7, 0
	s_add_u32 s0, s0, s9
	s_addc_u32 s1, s1, 0
	s_mov_b64 s[34:35], s[4:5]
	s_add_u32 s42, s34, 8
	s_addc_u32 s43, s35, 0
	v_lshl_or_b32 v43, s8, 9, v0
	s_waitcnt lgkmcnt(0)
	s_add_i32 s82, s33, -1
	v_or_b32_e32 v6, 0x180, v43
	s_cmp_gt_u32 s82, 1
	v_cmp_le_i32_e32 vcc, s85, v6
	s_cselect_b64 s[54:55], -1, 0
	s_mov_b64 s[52:53], 0
	s_mov_b64 s[44:45], 0
	s_mov_b32 s32, 0
	s_and_saveexec_b64 s[4:5], vcc
	s_xor_b64 s[56:57], exec, s[4:5]
	s_cbranch_execz .LBB8_1105
; %bb.1:
	v_mov_b32_e32 v0, 0
	global_load_ushort v0, v0, s[42:43] offset:345
	s_load_dwordx4 s[48:51], s[42:43], 0x4
	s_load_dwordx2 s[58:59], s[42:43], 0x14
	s_load_dwordx4 s[44:47], s[42:43], 0xc4
	s_load_dwordx4 s[36:39], s[42:43], 0x148
	s_cmp_lg_u32 s33, 0
	s_cselect_b64 s[64:65], -1, 0
	s_add_u32 s62, s42, 0xc4
	s_addc_u32 s63, s43, 0
	s_min_u32 s86, s82, 15
	s_cmp_gt_u32 s33, 1
	s_cselect_b64 s[60:61], -1, 0
	v_cmp_gt_i32_e32 vcc, s85, v43
	s_mov_b64 s[6:7], -1
	s_mov_b64 s[74:75], 0
	s_mov_b64 s[68:69], 0
	;; [unrolled: 1-line block ×3, first 2 shown]
	s_waitcnt vmcnt(0)
	v_readfirstlane_b32 s83, v0
	s_and_b32 s4, 0xffff, s83
	s_lshr_b32 s84, s4, 8
	s_and_saveexec_b64 s[70:71], vcc
	s_cbranch_execz .LBB8_270
; %bb.2:
	s_andn2_b64 vcc, exec, s[54:55]
	s_cbranch_vccnz .LBB8_7
; %bb.3:
	s_andn2_b64 vcc, exec, s[64:65]
	s_cbranch_vccnz .LBB8_8
; %bb.4:
	s_add_i32 s29, s86, 1
	s_cmp_eq_u32 s82, 2
	s_cbranch_scc1 .LBB8_9
; %bb.5:
	s_and_b32 s28, s29, 28
	v_mov_b32_e32 v0, 0
	s_mov_b32 s30, 0
	s_mov_b64 s[24:25], s[42:43]
	s_mov_b64 s[26:27], s[62:63]
	v_mov_b32_e32 v39, 0
	v_mov_b32_e32 v1, v43
.LBB8_6:                                ; =>This Inner Loop Header: Depth=1
	s_load_dwordx8 s[12:19], s[24:25], 0x4
	s_load_dwordx4 s[20:23], s[24:25], 0x24
	s_load_dwordx8 s[4:11], s[26:27], 0x0
	s_add_u32 s24, s24, 48
	s_addc_u32 s25, s25, 0
	s_waitcnt lgkmcnt(0)
	v_mul_hi_u32 v2, s13, v1
	s_add_i32 s30, s30, 4
	s_add_u32 s26, s26, 32
	s_addc_u32 s27, s27, 0
	v_add_u32_e32 v2, v1, v2
	v_lshrrev_b32_e32 v2, s14, v2
	v_mul_lo_u32 v3, v2, s12
	v_mul_hi_u32 v4, s16, v2
	s_cmp_lg_u32 s28, s30
	v_sub_u32_e32 v1, v1, v3
	v_add_u32_e32 v3, v2, v4
	v_mul_lo_u32 v4, v1, s4
	v_mul_lo_u32 v5, v1, s5
	v_lshrrev_b32_e32 v1, s17, v3
	v_mul_lo_u32 v3, v1, s15
	v_mul_hi_u32 v6, s19, v1
	v_sub_u32_e32 v2, v2, v3
	v_add_u32_e32 v3, v1, v6
	v_lshrrev_b32_e32 v3, s20, v3
	v_mul_hi_u32 v7, s22, v3
	v_mul_lo_u32 v8, v3, s18
	v_mul_lo_u32 v6, v2, s6
	;; [unrolled: 1-line block ×3, first 2 shown]
	v_sub_u32_e32 v8, v1, v8
	v_add_u32_e32 v1, v3, v7
	v_lshrrev_b32_e32 v1, s23, v1
	v_mul_lo_u32 v7, v1, s21
	v_mul_lo_u32 v9, v8, s8
	v_mul_lo_u32 v8, v8, s9
	v_add3_u32 v4, v4, v39, v6
	v_sub_u32_e32 v3, v3, v7
	v_mul_lo_u32 v7, v3, s10
	v_mul_lo_u32 v3, v3, s11
	v_add3_u32 v0, v5, v0, v2
	v_add3_u32 v39, v9, v4, v7
	v_add3_u32 v0, v8, v0, v3
	s_cbranch_scc1 .LBB8_6
	s_branch .LBB8_10
.LBB8_7:
                                        ; implicit-def: $vgpr39
                                        ; implicit-def: $vgpr0
	s_branch .LBB8_14
.LBB8_8:
	v_mov_b32_e32 v39, 0
	v_mov_b32_e32 v0, 0
	s_branch .LBB8_13
.LBB8_9:
	s_mov_b32 s28, 0
	v_mov_b32_e32 v39, 0
	v_mov_b32_e32 v0, 0
	;; [unrolled: 1-line block ×3, first 2 shown]
.LBB8_10:
	s_and_b32 s8, s29, 3
	s_cmp_eq_u32 s8, 0
	s_cbranch_scc1 .LBB8_13
; %bb.11:
	s_lshl_b32 s4, s28, 3
	s_add_u32 s4, s42, s4
	s_addc_u32 s5, s43, 0
	s_add_u32 s4, s4, 0xc4
	s_addc_u32 s5, s5, 0
	s_mul_i32 s6, s28, 12
	s_add_u32 s6, s42, s6
	s_addc_u32 s7, s43, 0
.LBB8_12:                               ; =>This Inner Loop Header: Depth=1
	s_load_dwordx2 s[10:11], s[6:7], 0x4
	s_load_dword s9, s[6:7], 0xc
	s_load_dwordx2 s[12:13], s[4:5], 0x0
	s_add_u32 s6, s6, 12
	s_addc_u32 s7, s7, 0
	s_waitcnt lgkmcnt(0)
	v_mul_hi_u32 v2, s11, v1
	s_add_u32 s4, s4, 8
	s_addc_u32 s5, s5, 0
	s_add_i32 s8, s8, -1
	v_add_u32_e32 v2, v1, v2
	v_lshrrev_b32_e32 v2, s9, v2
	v_mul_lo_u32 v3, v2, s10
	s_cmp_lg_u32 s8, 0
	v_sub_u32_e32 v1, v1, v3
	v_mad_u64_u32 v[39:40], s[10:11], v1, s12, v[39:40]
	v_mad_u64_u32 v[0:1], s[10:11], v1, s13, v[0:1]
	v_mov_b32_e32 v1, v2
	s_cbranch_scc1 .LBB8_12
.LBB8_13:
	s_cbranch_execnz .LBB8_16
.LBB8_14:
	s_waitcnt lgkmcnt(0)
	v_mul_hi_u32 v0, s49, v43
	s_andn2_b64 vcc, exec, s[60:61]
	v_add_u32_e32 v0, v43, v0
	v_lshrrev_b32_e32 v1, s50, v0
	v_mul_lo_u32 v0, v1, s48
	v_sub_u32_e32 v0, v43, v0
	v_mul_lo_u32 v39, v0, s44
	v_mul_lo_u32 v0, v0, s45
	s_cbranch_vccnz .LBB8_16
; %bb.15:
	v_mul_hi_u32 v2, s58, v1
	v_add_u32_e32 v2, v1, v2
	v_lshrrev_b32_e32 v2, s59, v2
	v_mul_lo_u32 v2, v2, s51
	v_sub_u32_e32 v1, v1, v2
	v_mad_u64_u32 v[39:40], s[4:5], v1, s46, v[39:40]
	v_mad_u64_u32 v[0:1], s[4:5], v1, s47, v[0:1]
.LBB8_16:
	s_waitcnt lgkmcnt(0)
	v_mov_b32_e32 v1, s39
	s_and_b32 s10, 0xffff, s84
	v_add_co_u32_e32 v4, vcc, s38, v0
	s_cmp_lt_i32 s10, 11
	v_addc_co_u32_e32 v5, vcc, 0, v1, vcc
	s_cbranch_scc1 .LBB8_23
; %bb.17:
	s_cmp_gt_i32 s10, 25
	s_cbranch_scc0 .LBB8_32
; %bb.18:
	s_cmp_gt_i32 s10, 28
	s_cbranch_scc0 .LBB8_35
; %bb.19:
	s_cmp_gt_i32 s10, 43
	s_cbranch_scc0 .LBB8_37
; %bb.20:
	s_cmp_gt_i32 s10, 45
	s_cbranch_scc0 .LBB8_39
; %bb.21:
	s_cmp_eq_u32 s10, 46
	s_mov_b64 s[6:7], 0
	s_cbranch_scc0 .LBB8_41
; %bb.22:
	global_load_dword v0, v[4:5], off
	s_mov_b64 s[4:5], -1
	s_mov_b64 s[68:69], 0
	s_waitcnt vmcnt(0)
	v_and_b32_e32 v2, 0xffff0000, v0
	v_lshlrev_b32_e32 v0, 16, v0
	v_cvt_f64_f32_e32 v[0:1], v0
	v_cvt_f64_f32_e32 v[2:3], v2
	s_branch .LBB8_43
.LBB8_23:
	s_mov_b64 s[68:69], 0
                                        ; implicit-def: $vgpr2_vgpr3
	s_mov_b64 s[4:5], 0
	s_cbranch_execnz .LBB8_218
.LBB8_24:
	s_andn2_b64 vcc, exec, s[4:5]
	s_cbranch_vccnz .LBB8_267
.LBB8_25:
	s_getpc_b64 s[4:5]
	s_add_u32 s4, s4, _ZZZZN2at6native16asin_kernel_cudaERNS_18TensorIteratorBaseEENKUlvE_clEvENKUlvE_clEvENKUlN3c107complexIdEEE_clES7_@rel32@lo+4
	s_addc_u32 s5, s5, _ZZZZN2at6native16asin_kernel_cudaERNS_18TensorIteratorBaseEENKUlvE_clEvENKUlvE_clEvENKUlN3c107complexIdEEE_clES7_@rel32@hi+12
	s_swappc_b64 s[30:31], s[4:5]
	v_mov_b32_e32 v5, s37
	s_and_b32 s12, s83, 0xff
	v_add_co_u32_e32 v4, vcc, s36, v39
	s_cmp_lt_i32 s12, 11
	v_addc_co_u32_e32 v5, vcc, 0, v5, vcc
	s_cbranch_scc1 .LBB8_33
; %bb.26:
	s_and_b32 s13, 0xffff, s12
	s_cmp_gt_i32 s13, 25
	s_cbranch_scc0 .LBB8_36
; %bb.27:
	s_cmp_gt_i32 s13, 28
	s_cbranch_scc0 .LBB8_38
; %bb.28:
	;; [unrolled: 3-line block ×4, first 2 shown]
	s_mov_b64 s[8:9], 0
	s_mov_b64 s[6:7], -1
	s_cmp_eq_u32 s13, 46
	s_mov_b64 s[4:5], 0
	s_cbranch_scc0 .LBB8_47
; %bb.31:
	v_cvt_f32_f64_e32 v7, v[2:3]
	v_cvt_f32_f64_e32 v6, v[0:1]
	s_movk_i32 s4, 0x7fff
	v_mov_b32_e32 v10, 0x7fc00000
	v_bfe_u32 v9, v7, 16, 1
	v_add3_u32 v9, v7, v9, s4
	v_bfe_u32 v8, v6, 16, 1
	v_and_b32_e32 v9, 0xffff0000, v9
	v_cmp_o_f32_e32 vcc, v7, v7
	v_add3_u32 v8, v6, v8, s4
	v_cndmask_b32_e32 v7, v10, v9, vcc
	v_cmp_o_f32_e32 vcc, v6, v6
	v_mov_b32_e32 v6, 0x7fc0
	v_cndmask_b32_sdwa v6, v6, v8, vcc dst_sel:DWORD dst_unused:UNUSED_PAD src0_sel:DWORD src1_sel:WORD_1
	v_or_b32_e32 v6, v7, v6
	global_store_dword v[4:5], v6, off
	s_mov_b64 s[4:5], -1
	s_mov_b64 s[6:7], 0
	s_branch .LBB8_47
.LBB8_32:
	s_mov_b64 s[68:69], 0
	s_mov_b64 s[4:5], 0
                                        ; implicit-def: $vgpr2_vgpr3
	s_cbranch_execnz .LBB8_185
	s_branch .LBB8_217
.LBB8_33:
	s_mov_b64 s[6:7], 0
	s_mov_b64 s[4:5], 0
	s_cbranch_execnz .LBB8_116
.LBB8_34:
	s_andn2_b64 vcc, exec, s[4:5]
	s_cbranch_vccnz .LBB8_268
	s_branch .LBB8_154
.LBB8_35:
	s_mov_b64 s[6:7], -1
	s_mov_b64 s[68:69], 0
	s_mov_b64 s[4:5], 0
                                        ; implicit-def: $vgpr2_vgpr3
	s_branch .LBB8_164
.LBB8_36:
	s_mov_b64 s[8:9], -1
	s_mov_b64 s[6:7], 0
	s_mov_b64 s[4:5], 0
	s_branch .LBB8_74
.LBB8_37:
	s_mov_b64 s[6:7], -1
	s_mov_b64 s[68:69], 0
	s_mov_b64 s[4:5], 0
                                        ; implicit-def: $vgpr2_vgpr3
	s_branch .LBB8_158
.LBB8_38:
	s_mov_b64 s[8:9], -1
	s_mov_b64 s[6:7], 0
	s_mov_b64 s[4:5], 0
	s_branch .LBB8_57
.LBB8_39:
	s_mov_b64 s[6:7], -1
	s_mov_b64 s[68:69], 0
	s_branch .LBB8_42
.LBB8_40:
	s_mov_b64 s[8:9], -1
	s_mov_b64 s[6:7], 0
	s_mov_b64 s[4:5], 0
	s_branch .LBB8_53
.LBB8_41:
	s_mov_b64 s[68:69], -1
.LBB8_42:
	s_mov_b64 s[4:5], 0
                                        ; implicit-def: $vgpr2_vgpr3
.LBB8_43:
	s_and_b64 vcc, exec, s[6:7]
	s_cbranch_vccz .LBB8_157
; %bb.44:
	s_cmp_eq_u32 s10, 44
	s_cbranch_scc0 .LBB8_155
; %bb.45:
	global_load_ubyte v2, v[4:5], off
	s_movk_i32 s6, 0xff
	v_bfrev_b32_e32 v3, 4
	v_mov_b32_e32 v6, 0x7ff80000
	v_bfrev_b32_e32 v7, 28
	s_mov_b64 s[4:5], -1
	s_mov_b64 s[68:69], 0
	s_waitcnt vmcnt(0)
	v_lshlrev_b32_e32 v0, 23, v2
	v_cvt_f64_f32_e32 v[0:1], v0
	v_cmp_ne_u32_e32 vcc, s6, v2
	v_cndmask_b32_e32 v0, v3, v0, vcc
	v_cndmask_b32_e32 v1, v6, v1, vcc
	v_cmp_ne_u32_e32 vcc, 0, v2
	v_cndmask_b32_e32 v1, v7, v1, vcc
	v_cndmask_b32_e32 v0, 0, v0, vcc
	s_branch .LBB8_156
.LBB8_46:
	s_mov_b64 s[8:9], -1
	s_mov_b64 s[6:7], 0
	s_mov_b64 s[4:5], 0
.LBB8_47:
	s_and_b64 vcc, exec, s[8:9]
	s_cbranch_vccz .LBB8_52
; %bb.48:
	s_cmp_eq_u32 s13, 44
	s_mov_b64 s[6:7], -1
	s_cbranch_scc0 .LBB8_52
; %bb.49:
	v_cvt_f32_f64_e32 v6, v[0:1]
	s_movk_i32 s4, 0xff
	v_mov_b32_e32 v8, 0xff
	v_bfe_u32 v7, v6, 23, 8
	v_cmp_ne_u32_e32 vcc, s4, v7
	s_and_saveexec_b64 s[6:7], vcc
; %bb.50:
	s_mov_b32 s4, 0x3fffff
	v_lshrrev_b32_e32 v8, 23, v6
	v_and_b32_e32 v9, 0x400000, v6
	v_and_or_b32 v6, v6, s4, v7
	v_cmp_ne_u32_e32 vcc, 0, v9
	v_cmp_ne_u32_e64 s[4:5], 0, v6
	s_and_b64 s[4:5], vcc, s[4:5]
	v_cndmask_b32_e64 v6, 0, 1, s[4:5]
	v_add_u32_e32 v8, v8, v6
; %bb.51:
	s_or_b64 exec, exec, s[6:7]
	s_mov_b64 s[4:5], -1
	s_mov_b64 s[6:7], 0
	global_store_byte v[4:5], v8, off
.LBB8_52:
	s_mov_b64 s[8:9], 0
.LBB8_53:
	s_and_b64 vcc, exec, s[8:9]
	s_cbranch_vccz .LBB8_56
; %bb.54:
	s_cmp_eq_u32 s13, 29
	s_mov_b64 s[6:7], -1
	s_cbranch_scc0 .LBB8_56
; %bb.55:
	v_trunc_f64_e32 v[6:7], v[0:1]
	s_movk_i32 s4, 0xffe0
	s_mov_b64 s[6:7], 0
	s_mov_b64 s[8:9], 0
	v_ldexp_f64 v[8:9], v[6:7], s4
	s_mov_b32 s4, 0
	s_mov_b32 s5, 0xc1f00000
	v_floor_f64_e32 v[8:9], v[8:9]
	v_fma_f64 v[6:7], v[8:9], s[4:5], v[6:7]
	v_cvt_u32_f64_e32 v8, v[8:9]
	s_mov_b64 s[4:5], -1
	v_cvt_u32_f64_e32 v7, v[6:7]
	global_store_dwordx2 v[4:5], v[7:8], off
	s_branch .LBB8_57
.LBB8_56:
	s_mov_b64 s[8:9], 0
.LBB8_57:
	s_and_b64 vcc, exec, s[8:9]
	s_cbranch_vccz .LBB8_73
; %bb.58:
	s_cmp_lt_i32 s13, 27
	s_mov_b64 s[4:5], -1
	s_cbranch_scc1 .LBB8_64
; %bb.59:
	v_cvt_u32_f64_e32 v6, v[0:1]
	s_cmp_gt_i32 s13, 27
	s_cbranch_scc0 .LBB8_61
; %bb.60:
	s_mov_b64 s[4:5], 0
	global_store_dword v[4:5], v6, off
.LBB8_61:
	s_andn2_b64 vcc, exec, s[4:5]
	s_cbranch_vccnz .LBB8_63
; %bb.62:
	global_store_short v[4:5], v6, off
.LBB8_63:
	s_mov_b64 s[4:5], 0
.LBB8_64:
	s_andn2_b64 vcc, exec, s[4:5]
	s_cbranch_vccnz .LBB8_72
; %bb.65:
	v_cvt_f32_f64_e32 v6, v[0:1]
	s_mov_b32 s4, 0x43800000
	v_mov_b32_e32 v8, 0x80
	v_and_b32_e32 v7, 0x7fffffff, v6
	v_cmp_gt_u32_e32 vcc, s4, v7
	s_and_saveexec_b64 s[4:5], vcc
	s_cbranch_execz .LBB8_71
; %bb.66:
	s_mov_b32 s8, 0x3bffffff
	v_cmp_lt_u32_e32 vcc, s8, v7
	s_mov_b64 s[8:9], 0
                                        ; implicit-def: $vgpr7
	s_and_saveexec_b64 s[10:11], vcc
	s_xor_b64 s[10:11], exec, s[10:11]
	s_cbranch_execz .LBB8_311
; %bb.67:
	v_bfe_u32 v7, v6, 20, 1
	s_mov_b32 s14, 0x487ffff
	v_add3_u32 v7, v6, v7, s14
	s_mov_b64 s[8:9], exec
	v_lshrrev_b32_e32 v7, 20, v7
	s_andn2_saveexec_b64 s[10:11], s[10:11]
	s_cbranch_execnz .LBB8_312
.LBB8_68:
	s_or_b64 exec, exec, s[10:11]
	v_mov_b32_e32 v8, 0
	s_and_saveexec_b64 s[10:11], s[8:9]
.LBB8_69:
	v_lshrrev_b32_e32 v6, 24, v6
	s_movk_i32 s8, 0x80
	v_and_or_b32 v8, v6, s8, v7
.LBB8_70:
	s_or_b64 exec, exec, s[10:11]
.LBB8_71:
	s_or_b64 exec, exec, s[4:5]
	global_store_byte v[4:5], v8, off
.LBB8_72:
	s_mov_b64 s[4:5], -1
.LBB8_73:
	s_mov_b64 s[8:9], 0
.LBB8_74:
	s_and_b64 vcc, exec, s[8:9]
	s_cbranch_vccz .LBB8_115
; %bb.75:
	s_cmp_gt_i32 s13, 22
	s_mov_b64 s[8:9], -1
	s_cbranch_scc0 .LBB8_107
; %bb.76:
	s_cmp_lt_i32 s13, 24
	s_mov_b64 s[4:5], -1
	s_cbranch_scc1 .LBB8_96
; %bb.77:
	s_cmp_gt_i32 s13, 24
	s_cbranch_scc0 .LBB8_85
; %bb.78:
	v_cvt_f32_f64_e32 v6, v[0:1]
	s_mov_b32 s4, 0x47800000
	v_mov_b32_e32 v8, 0x80
	v_and_b32_e32 v7, 0x7fffffff, v6
	v_cmp_gt_u32_e32 vcc, s4, v7
	s_and_saveexec_b64 s[4:5], vcc
	s_cbranch_execz .LBB8_84
; %bb.79:
	s_mov_b32 s8, 0x37ffffff
	v_cmp_lt_u32_e32 vcc, s8, v7
	s_mov_b64 s[8:9], 0
                                        ; implicit-def: $vgpr7
	s_and_saveexec_b64 s[10:11], vcc
	s_xor_b64 s[10:11], exec, s[10:11]
	s_cbranch_execz .LBB8_315
; %bb.80:
	v_bfe_u32 v7, v6, 21, 1
	s_mov_b32 s14, 0x88fffff
	v_add3_u32 v7, v6, v7, s14
	s_mov_b64 s[8:9], exec
	v_lshrrev_b32_e32 v7, 21, v7
	s_andn2_saveexec_b64 s[10:11], s[10:11]
	s_cbranch_execnz .LBB8_316
.LBB8_81:
	s_or_b64 exec, exec, s[10:11]
	v_mov_b32_e32 v8, 0
	s_and_saveexec_b64 s[10:11], s[8:9]
.LBB8_82:
	v_lshrrev_b32_e32 v6, 24, v6
	s_movk_i32 s8, 0x80
	v_and_or_b32 v8, v6, s8, v7
.LBB8_83:
	s_or_b64 exec, exec, s[10:11]
.LBB8_84:
	s_or_b64 exec, exec, s[4:5]
	s_mov_b64 s[4:5], 0
	global_store_byte v[4:5], v8, off
.LBB8_85:
	s_and_b64 vcc, exec, s[4:5]
	s_cbranch_vccz .LBB8_95
; %bb.86:
	v_cvt_f32_f64_e32 v6, v[0:1]
	s_mov_b32 s4, 0x43f00000
                                        ; implicit-def: $vgpr7
	v_and_b32_e32 v8, 0x7fffffff, v6
	v_cmp_gt_u32_e32 vcc, s4, v8
	s_and_saveexec_b64 s[4:5], vcc
	s_xor_b64 s[4:5], exec, s[4:5]
	s_cbranch_execz .LBB8_92
; %bb.87:
	s_mov_b32 s8, 0x3c7fffff
	v_cmp_lt_u32_e32 vcc, s8, v8
                                        ; implicit-def: $vgpr7
	s_and_saveexec_b64 s[8:9], vcc
	s_xor_b64 s[8:9], exec, s[8:9]
; %bb.88:
	v_bfe_u32 v7, v6, 20, 1
	s_mov_b32 s10, 0x407ffff
	v_add3_u32 v7, v6, v7, s10
	v_lshrrev_b32_e32 v8, 20, v7
	v_and_b32_e32 v7, 0xff00000, v7
	s_mov_b32 s10, 0x7f00000
	v_mov_b32_e32 v9, 0x7e
	v_cmp_ne_u32_e32 vcc, s10, v7
	v_cndmask_b32_e32 v7, v9, v8, vcc
; %bb.89:
	s_andn2_saveexec_b64 s[8:9], s[8:9]
; %bb.90:
	s_mov_b32 s10, 0x46800000
	v_add_f32_e64 v7, |v6|, s10
; %bb.91:
	s_or_b64 exec, exec, s[8:9]
                                        ; implicit-def: $vgpr8
.LBB8_92:
	s_andn2_saveexec_b64 s[4:5], s[4:5]
; %bb.93:
	s_mov_b32 s8, 0x7f800000
	v_mov_b32_e32 v7, 0x7e
	v_mov_b32_e32 v9, 0x7f
	v_cmp_lt_u32_e32 vcc, s8, v8
	v_cndmask_b32_e32 v7, v7, v9, vcc
; %bb.94:
	s_or_b64 exec, exec, s[4:5]
	v_lshrrev_b32_e32 v6, 24, v6
	s_movk_i32 s4, 0x80
	v_and_or_b32 v6, v6, s4, v7
	global_store_byte v[4:5], v6, off
.LBB8_95:
	s_mov_b64 s[4:5], 0
.LBB8_96:
	s_andn2_b64 vcc, exec, s[4:5]
	s_cbranch_vccnz .LBB8_106
; %bb.97:
	v_cvt_f32_f64_e32 v6, v[0:1]
	s_mov_b32 s4, 0x47800000
                                        ; implicit-def: $vgpr7
	v_and_b32_e32 v8, 0x7fffffff, v6
	v_cmp_gt_u32_e32 vcc, s4, v8
	s_and_saveexec_b64 s[4:5], vcc
	s_xor_b64 s[4:5], exec, s[4:5]
	s_cbranch_execz .LBB8_103
; %bb.98:
	s_mov_b32 s8, 0x387fffff
	v_cmp_lt_u32_e32 vcc, s8, v8
                                        ; implicit-def: $vgpr7
	s_and_saveexec_b64 s[8:9], vcc
	s_xor_b64 s[8:9], exec, s[8:9]
; %bb.99:
	v_bfe_u32 v7, v6, 21, 1
	s_mov_b32 s10, 0x80fffff
	v_add3_u32 v7, v6, v7, s10
	v_lshrrev_b32_e32 v7, 21, v7
; %bb.100:
	s_andn2_saveexec_b64 s[8:9], s[8:9]
; %bb.101:
	s_mov_b32 s10, 0x43000000
	v_add_f32_e64 v7, |v6|, s10
; %bb.102:
	s_or_b64 exec, exec, s[8:9]
                                        ; implicit-def: $vgpr8
.LBB8_103:
	s_andn2_saveexec_b64 s[4:5], s[4:5]
; %bb.104:
	s_mov_b32 s8, 0x7f800000
	v_mov_b32_e32 v7, 0x7c
	v_mov_b32_e32 v9, 0x7f
	v_cmp_lt_u32_e32 vcc, s8, v8
	v_cndmask_b32_e32 v7, v7, v9, vcc
; %bb.105:
	s_or_b64 exec, exec, s[4:5]
	v_lshrrev_b32_e32 v6, 24, v6
	s_movk_i32 s4, 0x80
	v_and_or_b32 v6, v6, s4, v7
	global_store_byte v[4:5], v6, off
.LBB8_106:
	s_mov_b64 s[8:9], 0
	s_mov_b64 s[4:5], -1
.LBB8_107:
	s_andn2_b64 vcc, exec, s[8:9]
	s_cbranch_vccnz .LBB8_115
; %bb.108:
	s_cmp_gt_i32 s13, 14
	s_mov_b64 s[8:9], -1
	s_cbranch_scc0 .LBB8_112
; %bb.109:
	s_cmp_eq_u32 s13, 15
	s_mov_b64 s[6:7], -1
	s_cbranch_scc0 .LBB8_111
; %bb.110:
	v_cvt_f32_f64_e32 v6, v[0:1]
	s_movk_i32 s4, 0x7fff
	v_mov_b32_e32 v7, 0x7fc0
	s_mov_b64 s[6:7], 0
	v_bfe_u32 v8, v6, 16, 1
	v_cmp_o_f32_e32 vcc, v6, v6
	v_add3_u32 v6, v6, v8, s4
	v_cndmask_b32_sdwa v6, v7, v6, vcc dst_sel:DWORD dst_unused:UNUSED_PAD src0_sel:DWORD src1_sel:WORD_1
	global_store_short v[4:5], v6, off
	s_mov_b64 s[4:5], -1
.LBB8_111:
	s_mov_b64 s[8:9], 0
.LBB8_112:
	s_and_b64 vcc, exec, s[8:9]
	s_cbranch_vccz .LBB8_115
; %bb.113:
	s_cmp_eq_u32 s13, 11
	s_mov_b64 s[6:7], -1
	s_cbranch_scc0 .LBB8_115
; %bb.114:
	v_cmp_neq_f64_e32 vcc, 0, v[0:1]
	v_cmp_neq_f64_e64 s[4:5], 0, v[2:3]
	s_mov_b64 s[6:7], 0
	s_or_b64 s[4:5], vcc, s[4:5]
	v_cndmask_b32_e64 v6, 0, 1, s[4:5]
	s_mov_b64 s[4:5], -1
	global_store_byte v[4:5], v6, off
.LBB8_115:
	s_branch .LBB8_34
.LBB8_116:
	s_and_b32 s8, 0xffff, s12
	s_cmp_lt_i32 s8, 5
	s_mov_b64 s[4:5], -1
	s_cbranch_scc1 .LBB8_137
; %bb.117:
	s_cmp_lt_i32 s8, 8
	s_cbranch_scc1 .LBB8_127
; %bb.118:
	s_cmp_lt_i32 s8, 9
	s_cbranch_scc1 .LBB8_124
; %bb.119:
	s_cmp_gt_i32 s8, 9
	s_cbranch_scc0 .LBB8_121
; %bb.120:
	global_store_dwordx4 v[4:5], v[0:3], off
	s_mov_b64 s[4:5], 0
.LBB8_121:
	s_andn2_b64 vcc, exec, s[4:5]
	s_cbranch_vccnz .LBB8_123
; %bb.122:
	v_cvt_f32_f64_e32 v6, v[0:1]
	v_cvt_f32_f64_e32 v7, v[2:3]
	global_store_dwordx2 v[4:5], v[6:7], off
.LBB8_123:
	s_mov_b64 s[4:5], 0
.LBB8_124:
	s_andn2_b64 vcc, exec, s[4:5]
	s_cbranch_vccnz .LBB8_126
; %bb.125:
	s_movk_i32 s4, 0x1ff
	v_and_or_b32 v6, v1, s4, v0
	v_cmp_ne_u32_e32 vcc, 0, v6
	v_cndmask_b32_e64 v6, 0, 1, vcc
	v_lshrrev_b32_e32 v7, 8, v1
	s_movk_i32 s5, 0xffe
	v_bfe_u32 v8, v1, 20, 11
	v_and_or_b32 v6, v7, s5, v6
	v_sub_u32_e32 v9, 0x3f1, v8
	v_or_b32_e32 v7, 0x1000, v6
	v_med3_i32 v9, v9, 0, 13
	v_lshrrev_b32_e32 v10, v9, v7
	v_lshlrev_b32_e32 v9, v9, v10
	v_cmp_ne_u32_e32 vcc, v9, v7
	v_cndmask_b32_e64 v7, 0, 1, vcc
	v_add_u32_e32 v8, 0xfffffc10, v8
	v_or_b32_e32 v7, v10, v7
	v_lshl_or_b32 v9, v8, 12, v6
	v_cmp_gt_i32_e32 vcc, 1, v8
	v_cndmask_b32_e32 v7, v9, v7, vcc
	v_and_b32_e32 v9, 7, v7
	v_cmp_lt_i32_e32 vcc, 5, v9
	v_cndmask_b32_e64 v10, 0, 1, vcc
	v_cmp_eq_u32_e32 vcc, 3, v9
	v_cndmask_b32_e64 v9, 0, 1, vcc
	v_or_b32_e32 v9, v9, v10
	v_lshrrev_b32_e32 v7, 2, v7
	v_add_u32_e32 v7, v7, v9
	v_mov_b32_e32 v9, 0x7c00
	v_cmp_gt_i32_e32 vcc, 31, v8
	v_cndmask_b32_e32 v7, v9, v7, vcc
	v_mov_b32_e32 v10, 0x7e00
	v_cmp_ne_u32_e32 vcc, 0, v6
	s_movk_i32 s9, 0x40f
	v_cndmask_b32_e32 v6, v9, v10, vcc
	v_cmp_eq_u32_e32 vcc, s9, v8
	v_and_or_b32 v2, v3, s4, v2
	v_cndmask_b32_e32 v6, v7, v6, vcc
	v_lshrrev_b32_e32 v7, 16, v1
	s_mov_b32 s10, 0x8000
	v_cmp_ne_u32_e32 vcc, 0, v2
	v_and_or_b32 v6, v7, s10, v6
	v_cndmask_b32_e64 v2, 0, 1, vcc
	v_lshrrev_b32_e32 v7, 8, v3
	v_bfe_u32 v8, v3, 20, 11
	v_and_or_b32 v2, v7, s5, v2
	v_sub_u32_e32 v11, 0x3f1, v8
	v_or_b32_e32 v7, 0x1000, v2
	v_med3_i32 v11, v11, 0, 13
	v_lshrrev_b32_e32 v12, v11, v7
	v_lshlrev_b32_e32 v11, v11, v12
	v_cmp_ne_u32_e32 vcc, v11, v7
	v_cndmask_b32_e64 v7, 0, 1, vcc
	v_add_u32_e32 v8, 0xfffffc10, v8
	v_or_b32_e32 v7, v12, v7
	v_lshl_or_b32 v11, v8, 12, v2
	v_cmp_gt_i32_e32 vcc, 1, v8
	v_cndmask_b32_e32 v7, v11, v7, vcc
	v_and_b32_e32 v11, 7, v7
	v_cmp_lt_i32_e32 vcc, 5, v11
	v_cndmask_b32_e64 v12, 0, 1, vcc
	v_cmp_eq_u32_e32 vcc, 3, v11
	v_cndmask_b32_e64 v11, 0, 1, vcc
	v_or_b32_e32 v11, v11, v12
	v_lshrrev_b32_e32 v7, 2, v7
	v_add_u32_e32 v7, v7, v11
	v_cmp_gt_i32_e32 vcc, 31, v8
	v_cndmask_b32_e32 v7, v9, v7, vcc
	v_cmp_ne_u32_e32 vcc, 0, v2
	v_cndmask_b32_e32 v2, v9, v10, vcc
	v_cmp_eq_u32_e32 vcc, s9, v8
	v_cndmask_b32_e32 v2, v7, v2, vcc
	v_lshrrev_b32_e32 v3, 16, v3
	v_and_or_b32 v2, v3, s10, v2
	v_and_b32_e32 v3, 0xffff, v6
	v_lshl_or_b32 v2, v2, 16, v3
	global_store_dword v[4:5], v2, off
.LBB8_126:
	s_mov_b64 s[4:5], 0
.LBB8_127:
	s_andn2_b64 vcc, exec, s[4:5]
	s_cbranch_vccnz .LBB8_136
; %bb.128:
	s_cmp_lt_i32 s8, 6
	s_mov_b64 s[4:5], -1
	s_cbranch_scc1 .LBB8_134
; %bb.129:
	s_cmp_gt_i32 s8, 6
	s_cbranch_scc0 .LBB8_131
; %bb.130:
	global_store_dwordx2 v[4:5], v[0:1], off
	s_mov_b64 s[4:5], 0
.LBB8_131:
	s_andn2_b64 vcc, exec, s[4:5]
	s_cbranch_vccnz .LBB8_133
; %bb.132:
	v_cvt_f32_f64_e32 v2, v[0:1]
	global_store_dword v[4:5], v2, off
.LBB8_133:
	s_mov_b64 s[4:5], 0
.LBB8_134:
	s_andn2_b64 vcc, exec, s[4:5]
	s_cbranch_vccnz .LBB8_136
; %bb.135:
	s_movk_i32 s4, 0x1ff
	v_and_or_b32 v2, v1, s4, v0
	v_cmp_ne_u32_e32 vcc, 0, v2
	v_cndmask_b32_e64 v2, 0, 1, vcc
	v_lshrrev_b32_e32 v3, 8, v1
	s_movk_i32 s4, 0xffe
	v_bfe_u32 v6, v1, 20, 11
	v_and_or_b32 v2, v3, s4, v2
	v_sub_u32_e32 v7, 0x3f1, v6
	v_or_b32_e32 v3, 0x1000, v2
	v_med3_i32 v7, v7, 0, 13
	v_lshrrev_b32_e32 v8, v7, v3
	v_lshlrev_b32_e32 v7, v7, v8
	v_cmp_ne_u32_e32 vcc, v7, v3
	v_cndmask_b32_e64 v3, 0, 1, vcc
	v_add_u32_e32 v6, 0xfffffc10, v6
	v_or_b32_e32 v3, v8, v3
	v_lshl_or_b32 v7, v6, 12, v2
	v_cmp_gt_i32_e32 vcc, 1, v6
	v_cndmask_b32_e32 v3, v7, v3, vcc
	v_and_b32_e32 v7, 7, v3
	v_cmp_lt_i32_e32 vcc, 5, v7
	v_cndmask_b32_e64 v8, 0, 1, vcc
	v_cmp_eq_u32_e32 vcc, 3, v7
	v_cndmask_b32_e64 v7, 0, 1, vcc
	v_or_b32_e32 v7, v7, v8
	v_lshrrev_b32_e32 v3, 2, v3
	v_add_u32_e32 v3, v3, v7
	v_mov_b32_e32 v7, 0x7c00
	v_cmp_gt_i32_e32 vcc, 31, v6
	v_cndmask_b32_e32 v3, v7, v3, vcc
	v_mov_b32_e32 v8, 0x7e00
	v_cmp_ne_u32_e32 vcc, 0, v2
	s_movk_i32 s4, 0x40f
	v_cndmask_b32_e32 v2, v7, v8, vcc
	v_cmp_eq_u32_e32 vcc, s4, v6
	v_cndmask_b32_e32 v2, v3, v2, vcc
	v_lshrrev_b32_e32 v3, 16, v1
	s_mov_b32 s4, 0x8000
	v_and_or_b32 v2, v3, s4, v2
	global_store_short v[4:5], v2, off
.LBB8_136:
	s_mov_b64 s[4:5], 0
.LBB8_137:
	s_andn2_b64 vcc, exec, s[4:5]
	s_cbranch_vccnz .LBB8_153
; %bb.138:
	s_cmp_lt_i32 s8, 2
	s_mov_b64 s[4:5], -1
	s_cbranch_scc1 .LBB8_148
; %bb.139:
	s_cmp_lt_i32 s8, 3
	s_cbranch_scc1 .LBB8_145
; %bb.140:
	s_cmp_gt_i32 s8, 3
	s_cbranch_scc0 .LBB8_142
; %bb.141:
	v_trunc_f64_e32 v[2:3], v[0:1]
	s_movk_i32 s4, 0xffe0
	v_ldexp_f64 v[6:7], v[2:3], s4
	s_mov_b32 s4, 0
	s_mov_b32 s5, 0xc1f00000
	v_floor_f64_e32 v[6:7], v[6:7]
	v_fma_f64 v[2:3], v[6:7], s[4:5], v[2:3]
	v_cvt_i32_f64_e32 v7, v[6:7]
	s_mov_b64 s[4:5], 0
	v_cvt_u32_f64_e32 v6, v[2:3]
	global_store_dwordx2 v[4:5], v[6:7], off
.LBB8_142:
	s_andn2_b64 vcc, exec, s[4:5]
	s_cbranch_vccnz .LBB8_144
; %bb.143:
	v_cvt_i32_f64_e32 v2, v[0:1]
	global_store_dword v[4:5], v2, off
.LBB8_144:
	s_mov_b64 s[4:5], 0
.LBB8_145:
	s_andn2_b64 vcc, exec, s[4:5]
	s_cbranch_vccnz .LBB8_147
; %bb.146:
	v_cvt_i32_f64_e32 v2, v[0:1]
	global_store_short v[4:5], v2, off
.LBB8_147:
	s_mov_b64 s[4:5], 0
.LBB8_148:
	s_andn2_b64 vcc, exec, s[4:5]
	s_cbranch_vccnz .LBB8_153
; %bb.149:
	s_cmp_gt_i32 s8, 0
	s_mov_b64 s[4:5], -1
	s_cbranch_scc0 .LBB8_151
; %bb.150:
	v_cvt_i32_f64_e32 v2, v[0:1]
	s_mov_b64 s[4:5], 0
	global_store_byte v[4:5], v2, off
.LBB8_151:
	s_andn2_b64 vcc, exec, s[4:5]
	s_cbranch_vccnz .LBB8_153
; %bb.152:
	v_trunc_f64_e32 v[0:1], v[0:1]
	s_movk_i32 s4, 0xffe0
	v_ldexp_f64 v[2:3], v[0:1], s4
	s_mov_b32 s4, 0
	s_mov_b32 s5, 0xc1f00000
	v_floor_f64_e32 v[2:3], v[2:3]
	v_fma_f64 v[0:1], v[2:3], s[4:5], v[0:1]
	v_cvt_u32_f64_e32 v0, v[0:1]
	global_store_byte v[4:5], v0, off
.LBB8_153:
.LBB8_154:
	v_add_u32_e32 v43, 0x80, v43
	s_mov_b64 s[4:5], -1
	s_branch .LBB8_269
.LBB8_155:
	s_mov_b64 s[68:69], -1
                                        ; implicit-def: $vgpr0_vgpr1
.LBB8_156:
	v_mov_b32_e32 v2, 0
	v_mov_b32_e32 v3, 0
.LBB8_157:
	s_mov_b64 s[6:7], 0
.LBB8_158:
	s_and_b64 vcc, exec, s[6:7]
	s_cbranch_vccz .LBB8_163
; %bb.159:
	s_cmp_eq_u32 s10, 29
	s_cbranch_scc0 .LBB8_161
; %bb.160:
	global_load_dwordx2 v[0:1], v[4:5], off
	s_mov_b64 s[4:5], -1
	s_mov_b64 s[68:69], 0
	s_waitcnt vmcnt(0)
	v_cvt_f64_u32_e32 v[1:2], v1
	v_cvt_f64_u32_e32 v[6:7], v0
	v_ldexp_f64 v[1:2], v[1:2], 32
	v_add_f64 v[0:1], v[1:2], v[6:7]
	s_branch .LBB8_162
.LBB8_161:
	s_mov_b64 s[68:69], -1
                                        ; implicit-def: $vgpr0_vgpr1
.LBB8_162:
	v_mov_b32_e32 v2, 0
	v_mov_b32_e32 v3, 0
.LBB8_163:
	s_mov_b64 s[6:7], 0
.LBB8_164:
	s_and_b64 vcc, exec, s[6:7]
	s_cbranch_vccz .LBB8_184
; %bb.165:
	s_cmp_lt_i32 s10, 27
	s_cbranch_scc1 .LBB8_168
; %bb.166:
	s_cmp_gt_i32 s10, 27
	s_cbranch_scc0 .LBB8_169
; %bb.167:
	global_load_dword v0, v[4:5], off
	s_mov_b64 s[4:5], 0
	s_waitcnt vmcnt(0)
	v_cvt_f64_u32_e32 v[0:1], v0
	s_branch .LBB8_170
.LBB8_168:
	s_mov_b64 s[4:5], -1
                                        ; implicit-def: $vgpr0_vgpr1
	s_branch .LBB8_173
.LBB8_169:
	s_mov_b64 s[4:5], -1
                                        ; implicit-def: $vgpr0_vgpr1
.LBB8_170:
	s_andn2_b64 vcc, exec, s[4:5]
	s_cbranch_vccnz .LBB8_172
; %bb.171:
	global_load_ushort v0, v[4:5], off
	s_waitcnt vmcnt(0)
	v_cvt_f64_u32_e32 v[0:1], v0
.LBB8_172:
	s_mov_b64 s[4:5], 0
.LBB8_173:
	s_andn2_b64 vcc, exec, s[4:5]
	s_cbranch_vccnz .LBB8_183
; %bb.174:
	global_load_ubyte v2, v[4:5], off
	s_movk_i32 s4, 0x7f
	s_waitcnt vmcnt(0)
	v_cmp_lt_i16_e32 vcc, s4, v2
	s_mov_b64 s[4:5], 0
	s_and_saveexec_b64 s[6:7], vcc
	s_xor_b64 s[6:7], exec, s[6:7]
	s_cbranch_execz .LBB8_178
; %bb.175:
	s_movk_i32 s4, 0x80
	v_cmp_eq_u16_e32 vcc, s4, v2
	s_mov_b64 s[4:5], -1
	s_and_saveexec_b64 s[8:9], vcc
; %bb.176:
	s_xor_b64 s[4:5], exec, -1
; %bb.177:
	s_or_b64 exec, exec, s[8:9]
	s_and_b64 s[4:5], s[4:5], exec
.LBB8_178:
	s_or_saveexec_b64 s[6:7], s[6:7]
	v_bfrev_b32_e32 v0, 4
	v_mov_b32_e32 v1, 0x7ff80000
	s_xor_b64 exec, exec, s[6:7]
; %bb.179:
	v_cmp_ne_u16_e32 vcc, 0, v2
	v_mov_b32_e32 v0, 0
	s_andn2_b64 s[4:5], s[4:5], exec
	s_and_b64 s[8:9], vcc, exec
	v_mov_b32_e32 v1, 0
	s_or_b64 s[4:5], s[4:5], s[8:9]
; %bb.180:
	s_or_b64 exec, exec, s[6:7]
	s_and_saveexec_b64 s[6:7], s[4:5]
	s_cbranch_execz .LBB8_182
; %bb.181:
	v_and_b32_e32 v1, 0xffff, v2
	v_lshlrev_b32_e32 v0, 24, v2
	v_and_b32_e32 v2, 7, v1
	v_ffbh_u32_e32 v6, v2
	v_min_u32_e32 v6, 32, v6
	v_subrev_u32_e32 v7, 28, v6
	v_bfe_u32 v3, v1, 3, 4
	v_lshlrev_b32_e32 v1, v7, v1
	v_sub_u32_e32 v6, 29, v6
	v_and_b32_e32 v1, 7, v1
	v_cmp_eq_u32_e32 vcc, 0, v3
	v_cndmask_b32_e32 v3, v3, v6, vcc
	v_cndmask_b32_e32 v1, v2, v1, vcc
	v_mov_b32_e32 v2, 0x3b800000
	v_lshlrev_b32_e32 v1, 20, v1
	v_and_b32_e32 v0, 0x80000000, v0
	v_lshl_add_u32 v2, v3, 23, v2
	v_or3_b32 v0, v0, v2, v1
	v_cvt_f64_f32_e32 v[0:1], v0
.LBB8_182:
	s_or_b64 exec, exec, s[6:7]
.LBB8_183:
	v_mov_b32_e32 v2, 0
	v_mov_b32_e32 v3, 0
	s_mov_b64 s[4:5], -1
.LBB8_184:
	s_branch .LBB8_217
.LBB8_185:
	s_cmp_gt_i32 s10, 22
	s_cbranch_scc0 .LBB8_197
; %bb.186:
	s_cmp_lt_i32 s10, 24
	s_cbranch_scc1 .LBB8_198
; %bb.187:
	s_cmp_gt_i32 s10, 24
	s_cbranch_scc0 .LBB8_199
; %bb.188:
	global_load_ubyte v2, v[4:5], off
	s_movk_i32 s4, 0x7f
	s_waitcnt vmcnt(0)
	v_cmp_lt_i16_e32 vcc, s4, v2
	s_mov_b64 s[4:5], 0
	s_and_saveexec_b64 s[6:7], vcc
	s_xor_b64 s[6:7], exec, s[6:7]
	s_cbranch_execz .LBB8_192
; %bb.189:
	s_movk_i32 s4, 0x80
	v_cmp_eq_u16_e32 vcc, s4, v2
	s_mov_b64 s[4:5], -1
	s_and_saveexec_b64 s[8:9], vcc
; %bb.190:
	s_xor_b64 s[4:5], exec, -1
; %bb.191:
	s_or_b64 exec, exec, s[8:9]
	s_and_b64 s[4:5], s[4:5], exec
.LBB8_192:
	s_or_saveexec_b64 s[6:7], s[6:7]
	v_bfrev_b32_e32 v0, 4
	v_mov_b32_e32 v1, 0x7ff80000
	s_xor_b64 exec, exec, s[6:7]
; %bb.193:
	v_cmp_ne_u16_e32 vcc, 0, v2
	v_mov_b32_e32 v0, 0
	s_andn2_b64 s[4:5], s[4:5], exec
	s_and_b64 s[8:9], vcc, exec
	v_mov_b32_e32 v1, 0
	s_or_b64 s[4:5], s[4:5], s[8:9]
; %bb.194:
	s_or_b64 exec, exec, s[6:7]
	s_and_saveexec_b64 s[6:7], s[4:5]
	s_cbranch_execz .LBB8_196
; %bb.195:
	v_and_b32_e32 v1, 0xffff, v2
	v_lshlrev_b32_e32 v0, 24, v2
	v_and_b32_e32 v2, 3, v1
	v_ffbh_u32_e32 v6, v2
	v_min_u32_e32 v6, 32, v6
	v_subrev_u32_e32 v7, 29, v6
	v_bfe_u32 v3, v1, 2, 5
	v_lshlrev_b32_e32 v1, v7, v1
	v_sub_u32_e32 v6, 30, v6
	v_and_b32_e32 v1, 3, v1
	v_cmp_eq_u32_e32 vcc, 0, v3
	v_cndmask_b32_e32 v3, v3, v6, vcc
	v_cndmask_b32_e32 v1, v2, v1, vcc
	v_mov_b32_e32 v2, 0x37800000
	v_lshlrev_b32_e32 v1, 21, v1
	v_and_b32_e32 v0, 0x80000000, v0
	v_lshl_add_u32 v2, v3, 23, v2
	v_or3_b32 v0, v0, v2, v1
	v_cvt_f64_f32_e32 v[0:1], v0
.LBB8_196:
	s_or_b64 exec, exec, s[6:7]
	s_mov_b64 s[4:5], 0
	s_branch .LBB8_200
.LBB8_197:
                                        ; implicit-def: $vgpr0_vgpr1
	s_branch .LBB8_206
.LBB8_198:
	s_mov_b64 s[4:5], -1
                                        ; implicit-def: $vgpr0_vgpr1
	s_branch .LBB8_203
.LBB8_199:
	s_mov_b64 s[4:5], -1
                                        ; implicit-def: $vgpr0_vgpr1
.LBB8_200:
	s_and_b64 vcc, exec, s[4:5]
	s_cbranch_vccz .LBB8_202
; %bb.201:
	global_load_ubyte v0, v[4:5], off
	s_mov_b32 s4, 0x7f800000
	s_waitcnt vmcnt(0)
	v_lshlrev_b32_e32 v0, 24, v0
	v_and_b32_e32 v1, 0x7f000000, v0
	v_ffbh_u32_e32 v2, v1
	v_min_u32_e32 v2, 32, v2
	v_sub_u32_e64 v2, v2, 4 clamp
	v_lshlrev_b32_e32 v6, v2, v1
	v_lshlrev_b32_e32 v2, 23, v2
	v_lshrrev_b32_e32 v6, 4, v6
	v_add_u32_e32 v3, 0x1000000, v1
	v_sub_u32_e32 v2, v6, v2
	v_ashrrev_i32_e32 v3, 8, v3
	v_add_u32_e32 v2, 0x3c000000, v2
	v_and_or_b32 v2, v3, s4, v2
	v_cmp_ne_u32_e32 vcc, 0, v1
	v_cndmask_b32_e32 v1, 0, v2, vcc
	s_brev_b32 s4, 1
	v_and_or_b32 v0, v0, s4, v1
	v_cvt_f64_f32_e32 v[0:1], v0
.LBB8_202:
	s_mov_b64 s[4:5], 0
.LBB8_203:
	s_andn2_b64 vcc, exec, s[4:5]
	s_cbranch_vccnz .LBB8_205
; %bb.204:
	global_load_ubyte v0, v[4:5], off
	s_movk_i32 s4, 0x7f00
	s_brev_b32 s5, 16
	s_waitcnt vmcnt(0)
	v_lshlrev_b16_e32 v1, 8, v0
	v_lshlrev_b32_e32 v0, 25, v0
	v_lshrrev_b32_e32 v2, 4, v0
	v_and_or_b32 v3, v1, s4, 0.5
	v_or_b32_e32 v2, 0x70000000, v2
	v_add_f32_e32 v3, -0.5, v3
	v_mul_f32_e32 v2, 0x7800000, v2
	v_cmp_gt_u32_e32 vcc, s5, v0
	v_bfe_i32 v1, v1, 0, 16
	v_cndmask_b32_e32 v0, v2, v3, vcc
	s_brev_b32 s4, 1
	v_and_or_b32 v0, v1, s4, v0
	v_cvt_f64_f32_e32 v[0:1], v0
.LBB8_205:
	s_mov_b64 s[4:5], -1
	s_cbranch_execnz .LBB8_216
.LBB8_206:
	s_cmp_gt_i32 s10, 14
	s_cbranch_scc0 .LBB8_209
; %bb.207:
	s_cmp_eq_u32 s10, 15
	s_cbranch_scc0 .LBB8_210
; %bb.208:
	global_load_ushort v0, v[4:5], off
	s_mov_b64 s[4:5], -1
	s_mov_b64 s[68:69], 0
	s_waitcnt vmcnt(0)
	v_lshlrev_b32_e32 v0, 16, v0
	v_cvt_f64_f32_e32 v[0:1], v0
	s_branch .LBB8_211
.LBB8_209:
	s_mov_b64 s[6:7], -1
                                        ; implicit-def: $vgpr0_vgpr1
	s_branch .LBB8_212
.LBB8_210:
	s_mov_b64 s[68:69], -1
                                        ; implicit-def: $vgpr0_vgpr1
.LBB8_211:
	s_mov_b64 s[6:7], 0
.LBB8_212:
	s_and_b64 vcc, exec, s[6:7]
	s_cbranch_vccz .LBB8_216
; %bb.213:
	s_cmp_eq_u32 s10, 11
	s_cbranch_scc0 .LBB8_215
; %bb.214:
	global_load_ubyte v1, v[4:5], off
	v_mov_b32_e32 v2, 0x3ff00000
	v_mov_b32_e32 v0, 0
	s_mov_b64 s[4:5], -1
	s_mov_b64 s[68:69], 0
	s_waitcnt vmcnt(0)
	v_cmp_ne_u16_e32 vcc, 0, v1
	v_cndmask_b32_e32 v1, 0, v2, vcc
	s_branch .LBB8_216
.LBB8_215:
	s_mov_b64 s[68:69], -1
                                        ; implicit-def: $vgpr0_vgpr1
.LBB8_216:
	v_mov_b32_e32 v2, 0
	v_mov_b32_e32 v3, 0
.LBB8_217:
	s_branch .LBB8_24
.LBB8_218:
	s_cmp_lt_i32 s10, 5
	s_cbranch_scc1 .LBB8_223
; %bb.219:
	s_cmp_lt_i32 s10, 8
	s_cbranch_scc1 .LBB8_224
; %bb.220:
	;; [unrolled: 3-line block ×3, first 2 shown]
	s_cmp_gt_i32 s10, 9
	s_cbranch_scc0 .LBB8_226
; %bb.222:
	global_load_dwordx4 v[0:3], v[4:5], off
	s_mov_b64 s[4:5], 0
	s_branch .LBB8_227
.LBB8_223:
                                        ; implicit-def: $vgpr2_vgpr3
	s_branch .LBB8_246
.LBB8_224:
	s_mov_b64 s[4:5], -1
                                        ; implicit-def: $vgpr2_vgpr3
	s_branch .LBB8_233
.LBB8_225:
	s_mov_b64 s[4:5], -1
                                        ; implicit-def: $vgpr2_vgpr3
	s_branch .LBB8_230
.LBB8_226:
	s_mov_b64 s[4:5], -1
                                        ; implicit-def: $vgpr2_vgpr3
.LBB8_227:
	s_andn2_b64 vcc, exec, s[4:5]
	s_cbranch_vccnz .LBB8_229
; %bb.228:
	global_load_dwordx2 v[1:2], v[4:5], off
	s_waitcnt vmcnt(0)
	v_cvt_f64_f32_e32 v[0:1], v1
	v_cvt_f64_f32_e32 v[2:3], v2
.LBB8_229:
	s_mov_b64 s[4:5], 0
.LBB8_230:
	s_andn2_b64 vcc, exec, s[4:5]
	s_cbranch_vccnz .LBB8_232
; %bb.231:
	global_load_dword v0, v[4:5], off
	s_waitcnt vmcnt(0)
	v_cvt_f32_f16_e32 v1, v0
	v_cvt_f32_f16_sdwa v2, v0 dst_sel:DWORD dst_unused:UNUSED_PAD src0_sel:WORD_1
	v_cvt_f64_f32_e32 v[0:1], v1
	v_cvt_f64_f32_e32 v[2:3], v2
.LBB8_232:
	s_mov_b64 s[4:5], 0
.LBB8_233:
	s_andn2_b64 vcc, exec, s[4:5]
	s_cbranch_vccnz .LBB8_245
; %bb.234:
	s_cmp_lt_i32 s10, 6
	s_cbranch_scc1 .LBB8_237
; %bb.235:
	s_cmp_gt_i32 s10, 6
	s_cbranch_scc0 .LBB8_238
; %bb.236:
	global_load_dwordx2 v[0:1], v[4:5], off
	s_mov_b64 s[4:5], 0
	s_branch .LBB8_239
.LBB8_237:
	s_mov_b64 s[4:5], -1
                                        ; implicit-def: $vgpr0_vgpr1
	s_branch .LBB8_242
.LBB8_238:
	s_mov_b64 s[4:5], -1
                                        ; implicit-def: $vgpr0_vgpr1
.LBB8_239:
	s_andn2_b64 vcc, exec, s[4:5]
	s_cbranch_vccnz .LBB8_241
; %bb.240:
	global_load_dword v0, v[4:5], off
	s_waitcnt vmcnt(0)
	v_cvt_f64_f32_e32 v[0:1], v0
.LBB8_241:
	s_mov_b64 s[4:5], 0
.LBB8_242:
	s_andn2_b64 vcc, exec, s[4:5]
	s_cbranch_vccnz .LBB8_244
; %bb.243:
	global_load_ushort v0, v[4:5], off
	s_waitcnt vmcnt(0)
	v_cvt_f32_f16_e32 v0, v0
	v_cvt_f64_f32_e32 v[0:1], v0
.LBB8_244:
	s_waitcnt vmcnt(0)
	v_mov_b32_e32 v2, 0
	v_mov_b32_e32 v3, 0
.LBB8_245:
	s_cbranch_execnz .LBB8_266
.LBB8_246:
	s_cmp_lt_i32 s10, 2
	s_cbranch_scc1 .LBB8_250
; %bb.247:
	s_cmp_lt_i32 s10, 3
	s_cbranch_scc1 .LBB8_251
; %bb.248:
	s_cmp_gt_i32 s10, 3
	s_cbranch_scc0 .LBB8_252
; %bb.249:
	global_load_dwordx2 v[0:1], v[4:5], off
	s_mov_b64 s[4:5], 0
	s_waitcnt vmcnt(0)
	v_cvt_f64_i32_e32 v[1:2], v1
	v_cvt_f64_u32_e32 v[6:7], v0
	v_ldexp_f64 v[1:2], v[1:2], 32
	v_add_f64 v[0:1], v[1:2], v[6:7]
	s_branch .LBB8_253
.LBB8_250:
	s_mov_b64 s[4:5], -1
                                        ; implicit-def: $vgpr0_vgpr1
	s_branch .LBB8_259
.LBB8_251:
	s_mov_b64 s[4:5], -1
                                        ; implicit-def: $vgpr0_vgpr1
	s_branch .LBB8_256
.LBB8_252:
	s_mov_b64 s[4:5], -1
                                        ; implicit-def: $vgpr0_vgpr1
.LBB8_253:
	s_andn2_b64 vcc, exec, s[4:5]
	s_cbranch_vccnz .LBB8_255
; %bb.254:
	global_load_dword v0, v[4:5], off
	s_waitcnt vmcnt(0)
	v_cvt_f64_i32_e32 v[0:1], v0
.LBB8_255:
	s_mov_b64 s[4:5], 0
.LBB8_256:
	s_andn2_b64 vcc, exec, s[4:5]
	s_cbranch_vccnz .LBB8_258
; %bb.257:
	global_load_sshort v0, v[4:5], off
	s_waitcnt vmcnt(0)
	v_cvt_f64_i32_e32 v[0:1], v0
.LBB8_258:
	s_mov_b64 s[4:5], 0
.LBB8_259:
	s_andn2_b64 vcc, exec, s[4:5]
	s_cbranch_vccnz .LBB8_265
; %bb.260:
	s_cmp_gt_i32 s10, 0
	s_cbranch_scc0 .LBB8_262
; %bb.261:
	global_load_sbyte v0, v[4:5], off
	s_mov_b64 s[4:5], 0
	s_waitcnt vmcnt(0)
	v_cvt_f64_i32_e32 v[0:1], v0
	s_branch .LBB8_263
.LBB8_262:
	s_mov_b64 s[4:5], -1
                                        ; implicit-def: $vgpr0_vgpr1
.LBB8_263:
	s_andn2_b64 vcc, exec, s[4:5]
	s_cbranch_vccnz .LBB8_265
; %bb.264:
	global_load_ubyte v0, v[4:5], off
	s_waitcnt vmcnt(0)
	v_cvt_f64_u32_e32 v[0:1], v0
.LBB8_265:
	s_waitcnt vmcnt(0)
	v_mov_b32_e32 v2, 0
	v_mov_b32_e32 v3, 0
.LBB8_266:
	s_branch .LBB8_25
.LBB8_267:
	s_mov_b64 s[6:7], 0
.LBB8_268:
	s_mov_b64 s[4:5], 0
                                        ; implicit-def: $vgpr43
.LBB8_269:
	s_and_b64 s[66:67], s[6:7], exec
	s_and_b64 s[68:69], s[68:69], exec
	s_orn2_b64 s[6:7], s[4:5], exec
.LBB8_270:
	s_or_b64 exec, exec, s[70:71]
	s_mov_b64 s[8:9], 0
	s_mov_b64 s[4:5], 0
                                        ; implicit-def: $vgpr0_vgpr1
                                        ; implicit-def: $vgpr39
                                        ; implicit-def: $vgpr6_vgpr7
	s_and_saveexec_b64 s[70:71], s[6:7]
	s_cbranch_execz .LBB8_277
; %bb.271:
	v_cmp_gt_i32_e32 vcc, s85, v43
	s_mov_b64 s[4:5], -1
	s_mov_b64 s[72:73], s[68:69]
	s_mov_b64 s[74:75], s[66:67]
	s_and_saveexec_b64 s[76:77], vcc
	s_cbranch_execz .LBB8_551
; %bb.272:
	s_andn2_b64 vcc, exec, s[54:55]
	s_cbranch_vccnz .LBB8_280
; %bb.273:
	s_andn2_b64 vcc, exec, s[64:65]
	s_cbranch_vccnz .LBB8_281
; %bb.274:
	s_add_i32 s29, s86, 1
	s_cmp_eq_u32 s82, 2
	s_cbranch_scc1 .LBB8_282
; %bb.275:
	s_and_b32 s28, s29, 28
	s_waitcnt vmcnt(0)
	v_mov_b32_e32 v0, 0
	s_mov_b32 s30, 0
	s_mov_b64 s[24:25], s[42:43]
	s_mov_b64 s[26:27], s[62:63]
	v_mov_b32_e32 v39, 0
	v_mov_b32_e32 v1, v43
.LBB8_276:                              ; =>This Inner Loop Header: Depth=1
	s_load_dwordx8 s[12:19], s[24:25], 0x4
	s_load_dwordx4 s[20:23], s[24:25], 0x24
	s_load_dwordx8 s[4:11], s[26:27], 0x0
	s_add_u32 s24, s24, 48
	s_addc_u32 s25, s25, 0
	s_waitcnt lgkmcnt(0)
	v_mul_hi_u32 v2, s13, v1
	s_add_i32 s30, s30, 4
	s_add_u32 s26, s26, 32
	s_addc_u32 s27, s27, 0
	v_add_u32_e32 v2, v1, v2
	v_lshrrev_b32_e32 v2, s14, v2
	v_mul_lo_u32 v3, v2, s12
	v_mul_hi_u32 v4, s16, v2
	s_cmp_eq_u32 s28, s30
	v_sub_u32_e32 v1, v1, v3
	v_add_u32_e32 v3, v2, v4
	v_mul_lo_u32 v4, v1, s4
	v_mul_lo_u32 v5, v1, s5
	v_lshrrev_b32_e32 v1, s17, v3
	v_mul_lo_u32 v3, v1, s15
	v_mul_hi_u32 v6, s19, v1
	v_sub_u32_e32 v2, v2, v3
	v_add_u32_e32 v3, v1, v6
	v_lshrrev_b32_e32 v3, s20, v3
	v_mul_hi_u32 v7, s22, v3
	v_mul_lo_u32 v8, v3, s18
	v_mul_lo_u32 v6, v2, s6
	;; [unrolled: 1-line block ×3, first 2 shown]
	v_sub_u32_e32 v8, v1, v8
	v_add_u32_e32 v1, v3, v7
	v_lshrrev_b32_e32 v1, s23, v1
	v_mul_lo_u32 v7, v1, s21
	v_mul_lo_u32 v9, v8, s8
	v_mul_lo_u32 v8, v8, s9
	v_add3_u32 v4, v4, v39, v6
	v_sub_u32_e32 v3, v3, v7
	v_mul_lo_u32 v7, v3, s10
	v_mul_lo_u32 v3, v3, s11
	v_add3_u32 v0, v5, v0, v2
	v_add3_u32 v39, v9, v4, v7
	;; [unrolled: 1-line block ×3, first 2 shown]
	s_cbranch_scc0 .LBB8_276
	s_branch .LBB8_283
.LBB8_277:
	s_or_b64 exec, exec, s[70:71]
	s_waitcnt lgkmcnt(0)
	s_mov_b64 s[38:39], 0
	s_and_saveexec_b64 s[6:7], s[68:69]
	s_cbranch_execnz .LBB8_935
.LBB8_278:
	s_or_b64 exec, exec, s[6:7]
	s_and_saveexec_b64 s[6:7], s[74:75]
	s_xor_b64 s[6:7], exec, s[6:7]
	s_cbranch_execz .LBB8_936
.LBB8_279:
	s_waitcnt vmcnt(0)
	global_load_ubyte v2, v[0:1], off
	v_mov_b32_e32 v3, 0x3ff00000
	v_mov_b32_e32 v6, 0
	;; [unrolled: 1-line block ×4, first 2 shown]
	s_or_b64 s[4:5], s[4:5], exec
	s_waitcnt vmcnt(0)
	v_cmp_ne_u16_e32 vcc, 0, v2
	v_cndmask_b32_e32 v5, 0, v3, vcc
	s_or_b64 exec, exec, s[6:7]
	s_and_saveexec_b64 s[6:7], s[8:9]
	s_cbranch_execz .LBB8_984
	s_branch .LBB8_937
.LBB8_280:
                                        ; implicit-def: $vgpr39
                                        ; implicit-def: $vgpr0
	s_andn2_b64 vcc, exec, s[4:5]
	s_cbranch_vccz .LBB8_287
	s_branch .LBB8_289
.LBB8_281:
	v_mov_b32_e32 v39, 0
	s_waitcnt vmcnt(0)
	v_mov_b32_e32 v0, 0
	s_branch .LBB8_286
.LBB8_282:
	s_mov_b32 s28, 0
	v_mov_b32_e32 v39, 0
	s_waitcnt vmcnt(0)
	v_mov_b32_e32 v0, 0
	v_mov_b32_e32 v1, v43
.LBB8_283:
	s_and_b32 s8, s29, 3
	s_cmp_eq_u32 s8, 0
	s_cbranch_scc1 .LBB8_286
; %bb.284:
	s_lshl_b32 s4, s28, 3
	s_add_u32 s4, s42, s4
	s_addc_u32 s5, s43, 0
	s_add_u32 s4, s4, 0xc4
	s_addc_u32 s5, s5, 0
	s_mul_i32 s6, s28, 12
	s_add_u32 s6, s42, s6
	s_addc_u32 s7, s43, 0
.LBB8_285:                              ; =>This Inner Loop Header: Depth=1
	s_load_dwordx2 s[10:11], s[6:7], 0x4
	s_load_dword s9, s[6:7], 0xc
	s_load_dwordx2 s[12:13], s[4:5], 0x0
	s_add_u32 s6, s6, 12
	s_addc_u32 s7, s7, 0
	s_waitcnt lgkmcnt(0)
	v_mul_hi_u32 v2, s11, v1
	s_add_u32 s4, s4, 8
	s_addc_u32 s5, s5, 0
	s_add_i32 s8, s8, -1
	v_add_u32_e32 v2, v1, v2
	v_lshrrev_b32_e32 v2, s9, v2
	v_mul_lo_u32 v3, v2, s10
	s_cmp_lg_u32 s8, 0
	v_sub_u32_e32 v1, v1, v3
	v_mad_u64_u32 v[39:40], s[10:11], v1, s12, v[39:40]
	v_mad_u64_u32 v[0:1], s[10:11], v1, s13, v[0:1]
	v_mov_b32_e32 v1, v2
	s_cbranch_scc1 .LBB8_285
.LBB8_286:
	s_cbranch_execnz .LBB8_289
.LBB8_287:
	s_waitcnt vmcnt(0) lgkmcnt(0)
	v_mul_hi_u32 v0, s49, v43
	s_andn2_b64 vcc, exec, s[60:61]
	v_add_u32_e32 v0, v43, v0
	v_lshrrev_b32_e32 v1, s50, v0
	v_mul_lo_u32 v0, v1, s48
	v_sub_u32_e32 v0, v43, v0
	v_mul_lo_u32 v39, v0, s44
	v_mul_lo_u32 v0, v0, s45
	s_cbranch_vccnz .LBB8_289
; %bb.288:
	v_mul_hi_u32 v2, s58, v1
	v_add_u32_e32 v2, v1, v2
	v_lshrrev_b32_e32 v2, s59, v2
	v_mul_lo_u32 v2, v2, s51
	v_sub_u32_e32 v1, v1, v2
	v_mad_u64_u32 v[39:40], s[4:5], v1, s46, v[39:40]
	v_mad_u64_u32 v[0:1], s[4:5], v1, s47, v[0:1]
.LBB8_289:
	s_waitcnt vmcnt(0) lgkmcnt(0)
	v_mov_b32_e32 v1, s39
	s_and_b32 s10, 0xffff, s84
	v_add_co_u32_e32 v4, vcc, s38, v0
	s_cmp_lt_i32 s10, 11
	v_addc_co_u32_e32 v5, vcc, 0, v1, vcc
	s_cbranch_scc1 .LBB8_296
; %bb.290:
	s_cmp_gt_i32 s10, 25
	s_cbranch_scc0 .LBB8_305
; %bb.291:
	s_cmp_gt_i32 s10, 28
	s_cbranch_scc0 .LBB8_307
	;; [unrolled: 3-line block ×4, first 2 shown]
; %bb.294:
	s_cmp_eq_u32 s10, 46
	s_mov_b64 s[6:7], 0
	s_cbranch_scc0 .LBB8_317
; %bb.295:
	global_load_dword v0, v[4:5], off
	s_mov_b64 s[4:5], -1
	s_mov_b64 s[72:73], 0
	s_waitcnt vmcnt(0)
	v_and_b32_e32 v2, 0xffff0000, v0
	v_lshlrev_b32_e32 v0, 16, v0
	v_cvt_f64_f32_e32 v[0:1], v0
	v_cvt_f64_f32_e32 v[2:3], v2
	s_branch .LBB8_318
.LBB8_296:
	s_mov_b64 s[4:5], 0
                                        ; implicit-def: $vgpr2_vgpr3
	s_mov_b64 s[72:73], s[68:69]
	s_cbranch_execnz .LBB8_498
.LBB8_297:
	s_andn2_b64 vcc, exec, s[4:5]
	s_cbranch_vccnz .LBB8_548
.LBB8_298:
	s_getpc_b64 s[4:5]
	s_add_u32 s4, s4, _ZZZZN2at6native16asin_kernel_cudaERNS_18TensorIteratorBaseEENKUlvE_clEvENKUlvE_clEvENKUlN3c107complexIdEEE_clES7_@rel32@lo+4
	s_addc_u32 s5, s5, _ZZZZN2at6native16asin_kernel_cudaERNS_18TensorIteratorBaseEENKUlvE_clEvENKUlvE_clEvENKUlN3c107complexIdEEE_clES7_@rel32@hi+12
	s_swappc_b64 s[30:31], s[4:5]
	v_mov_b32_e32 v5, s37
	s_and_b32 s12, s83, 0xff
	v_add_co_u32_e32 v4, vcc, s36, v39
	s_cmp_lt_i32 s12, 11
	v_addc_co_u32_e32 v5, vcc, 0, v5, vcc
	s_cbranch_scc1 .LBB8_306
; %bb.299:
	s_and_b32 s13, 0xffff, s12
	s_cmp_gt_i32 s13, 25
	s_cbranch_scc0 .LBB8_308
; %bb.300:
	s_cmp_gt_i32 s13, 28
	s_cbranch_scc0 .LBB8_310
; %bb.301:
	;; [unrolled: 3-line block ×4, first 2 shown]
	s_mov_b64 s[8:9], 0
	s_mov_b64 s[6:7], -1
	s_cmp_eq_u32 s13, 46
	s_mov_b64 s[4:5], 0
	s_cbranch_scc0 .LBB8_322
; %bb.304:
	v_cvt_f32_f64_e32 v7, v[2:3]
	v_cvt_f32_f64_e32 v6, v[0:1]
	s_movk_i32 s4, 0x7fff
	v_mov_b32_e32 v10, 0x7fc00000
	v_bfe_u32 v9, v7, 16, 1
	v_add3_u32 v9, v7, v9, s4
	v_bfe_u32 v8, v6, 16, 1
	v_and_b32_e32 v9, 0xffff0000, v9
	v_cmp_o_f32_e32 vcc, v7, v7
	v_add3_u32 v8, v6, v8, s4
	v_cndmask_b32_e32 v7, v10, v9, vcc
	v_cmp_o_f32_e32 vcc, v6, v6
	v_mov_b32_e32 v6, 0x7fc0
	v_cndmask_b32_sdwa v6, v6, v8, vcc dst_sel:DWORD dst_unused:UNUSED_PAD src0_sel:DWORD src1_sel:WORD_1
	v_or_b32_e32 v6, v7, v6
	global_store_dword v[4:5], v6, off
	s_mov_b64 s[4:5], -1
	s_mov_b64 s[6:7], 0
	s_branch .LBB8_322
.LBB8_305:
	s_mov_b64 s[6:7], -1
	s_mov_b64 s[4:5], 0
	s_mov_b64 s[72:73], s[68:69]
                                        ; implicit-def: $vgpr2_vgpr3
	s_branch .LBB8_463
.LBB8_306:
	s_mov_b64 s[8:9], -1
	s_mov_b64 s[4:5], 0
	s_mov_b64 s[6:7], s[66:67]
	s_branch .LBB8_391
.LBB8_307:
	s_mov_b64 s[6:7], -1
	s_mov_b64 s[4:5], 0
	s_mov_b64 s[72:73], s[68:69]
                                        ; implicit-def: $vgpr2_vgpr3
	s_branch .LBB8_442
.LBB8_308:
	s_mov_b64 s[8:9], -1
	s_mov_b64 s[4:5], 0
	s_mov_b64 s[6:7], s[66:67]
	s_branch .LBB8_349
.LBB8_309:
	s_mov_b64 s[6:7], -1
	s_mov_b64 s[4:5], 0
	s_mov_b64 s[72:73], s[68:69]
                                        ; implicit-def: $vgpr2_vgpr3
	s_branch .LBB8_436
.LBB8_310:
	s_mov_b64 s[8:9], -1
	s_mov_b64 s[4:5], 0
	s_mov_b64 s[6:7], s[66:67]
	s_branch .LBB8_332
.LBB8_311:
	s_andn2_saveexec_b64 s[10:11], s[10:11]
	s_cbranch_execz .LBB8_68
.LBB8_312:
	s_mov_b32 s14, 0x46000000
	v_add_f32_e64 v7, |v6|, s14
	v_and_b32_e32 v7, 0xff, v7
	v_cmp_ne_u32_e32 vcc, 0, v7
	s_andn2_b64 s[8:9], s[8:9], exec
	s_and_b64 s[14:15], vcc, exec
	s_or_b64 s[8:9], s[8:9], s[14:15]
	s_or_b64 exec, exec, s[10:11]
	v_mov_b32_e32 v8, 0
	s_and_saveexec_b64 s[10:11], s[8:9]
	s_cbranch_execnz .LBB8_69
	s_branch .LBB8_70
.LBB8_313:
	s_mov_b64 s[6:7], -1
	s_mov_b64 s[4:5], 0
	s_mov_b64 s[72:73], s[68:69]
                                        ; implicit-def: $vgpr2_vgpr3
	s_branch .LBB8_318
.LBB8_314:
	s_mov_b64 s[8:9], -1
	s_mov_b64 s[4:5], 0
	s_mov_b64 s[6:7], s[66:67]
	s_branch .LBB8_328
.LBB8_315:
	s_andn2_saveexec_b64 s[10:11], s[10:11]
	s_cbranch_execz .LBB8_81
.LBB8_316:
	s_mov_b32 s14, 0x42800000
	v_add_f32_e64 v7, |v6|, s14
	v_and_b32_e32 v7, 0xff, v7
	v_cmp_ne_u32_e32 vcc, 0, v7
	s_andn2_b64 s[8:9], s[8:9], exec
	s_and_b64 s[14:15], vcc, exec
	s_or_b64 s[8:9], s[8:9], s[14:15]
	s_or_b64 exec, exec, s[10:11]
	v_mov_b32_e32 v8, 0
	s_and_saveexec_b64 s[10:11], s[8:9]
	s_cbranch_execnz .LBB8_82
	s_branch .LBB8_83
.LBB8_317:
	s_mov_b64 s[72:73], -1
                                        ; implicit-def: $vgpr2_vgpr3
	s_mov_b64 s[4:5], 0
.LBB8_318:
	s_and_b64 vcc, exec, s[6:7]
	s_cbranch_vccz .LBB8_435
; %bb.319:
	s_cmp_eq_u32 s10, 44
	s_cbranch_scc0 .LBB8_433
; %bb.320:
	global_load_ubyte v2, v[4:5], off
	s_movk_i32 s6, 0xff
	v_bfrev_b32_e32 v3, 4
	v_mov_b32_e32 v6, 0x7ff80000
	v_bfrev_b32_e32 v7, 28
	s_mov_b64 s[4:5], -1
	s_mov_b64 s[72:73], 0
	s_waitcnt vmcnt(0)
	v_lshlrev_b32_e32 v0, 23, v2
	v_cvt_f64_f32_e32 v[0:1], v0
	v_cmp_ne_u32_e32 vcc, s6, v2
	v_cndmask_b32_e32 v0, v3, v0, vcc
	v_cndmask_b32_e32 v1, v6, v1, vcc
	v_cmp_ne_u32_e32 vcc, 0, v2
	v_cndmask_b32_e32 v1, v7, v1, vcc
	v_cndmask_b32_e32 v0, 0, v0, vcc
	s_branch .LBB8_434
.LBB8_321:
	s_mov_b64 s[8:9], -1
	s_mov_b64 s[4:5], 0
	s_mov_b64 s[6:7], s[66:67]
.LBB8_322:
	s_and_b64 vcc, exec, s[8:9]
	s_cbranch_vccz .LBB8_327
; %bb.323:
	s_cmp_eq_u32 s13, 44
	s_mov_b64 s[6:7], -1
	s_cbranch_scc0 .LBB8_327
; %bb.324:
	v_cvt_f32_f64_e32 v6, v[0:1]
	s_movk_i32 s4, 0xff
	v_mov_b32_e32 v8, 0xff
	v_bfe_u32 v7, v6, 23, 8
	v_cmp_ne_u32_e32 vcc, s4, v7
	s_and_saveexec_b64 s[6:7], vcc
; %bb.325:
	s_mov_b32 s4, 0x3fffff
	v_lshrrev_b32_e32 v8, 23, v6
	v_and_b32_e32 v9, 0x400000, v6
	v_and_or_b32 v6, v6, s4, v7
	v_cmp_ne_u32_e32 vcc, 0, v9
	v_cmp_ne_u32_e64 s[4:5], 0, v6
	s_and_b64 s[4:5], vcc, s[4:5]
	v_cndmask_b32_e64 v6, 0, 1, s[4:5]
	v_add_u32_e32 v8, v8, v6
; %bb.326:
	s_or_b64 exec, exec, s[6:7]
	s_mov_b64 s[4:5], -1
	s_mov_b64 s[6:7], 0
	global_store_byte v[4:5], v8, off
.LBB8_327:
	s_mov_b64 s[8:9], 0
.LBB8_328:
	s_and_b64 vcc, exec, s[8:9]
	s_cbranch_vccz .LBB8_331
; %bb.329:
	s_cmp_eq_u32 s13, 29
	s_mov_b64 s[6:7], -1
	s_cbranch_scc0 .LBB8_331
; %bb.330:
	v_trunc_f64_e32 v[6:7], v[0:1]
	s_movk_i32 s4, 0xffe0
	s_mov_b64 s[6:7], 0
	s_mov_b64 s[8:9], 0
	v_ldexp_f64 v[8:9], v[6:7], s4
	s_mov_b32 s4, 0
	s_mov_b32 s5, 0xc1f00000
	v_floor_f64_e32 v[8:9], v[8:9]
	v_fma_f64 v[6:7], v[8:9], s[4:5], v[6:7]
	v_cvt_u32_f64_e32 v8, v[8:9]
	s_mov_b64 s[4:5], -1
	v_cvt_u32_f64_e32 v7, v[6:7]
	global_store_dwordx2 v[4:5], v[7:8], off
	s_branch .LBB8_332
.LBB8_331:
	s_mov_b64 s[8:9], 0
.LBB8_332:
	s_and_b64 vcc, exec, s[8:9]
	s_cbranch_vccz .LBB8_348
; %bb.333:
	s_cmp_lt_i32 s13, 27
	s_mov_b64 s[4:5], -1
	s_cbranch_scc1 .LBB8_339
; %bb.334:
	v_cvt_u32_f64_e32 v6, v[0:1]
	s_cmp_gt_i32 s13, 27
	s_cbranch_scc0 .LBB8_336
; %bb.335:
	s_mov_b64 s[4:5], 0
	global_store_dword v[4:5], v6, off
.LBB8_336:
	s_andn2_b64 vcc, exec, s[4:5]
	s_cbranch_vccnz .LBB8_338
; %bb.337:
	global_store_short v[4:5], v6, off
.LBB8_338:
	s_mov_b64 s[4:5], 0
.LBB8_339:
	s_andn2_b64 vcc, exec, s[4:5]
	s_cbranch_vccnz .LBB8_347
; %bb.340:
	v_cvt_f32_f64_e32 v6, v[0:1]
	s_mov_b32 s4, 0x43800000
	v_mov_b32_e32 v8, 0x80
	v_and_b32_e32 v7, 0x7fffffff, v6
	v_cmp_gt_u32_e32 vcc, s4, v7
	s_and_saveexec_b64 s[4:5], vcc
	s_cbranch_execz .LBB8_346
; %bb.341:
	s_mov_b32 s8, 0x3bffffff
	v_cmp_lt_u32_e32 vcc, s8, v7
	s_mov_b64 s[8:9], 0
                                        ; implicit-def: $vgpr7
	s_and_saveexec_b64 s[10:11], vcc
	s_xor_b64 s[10:11], exec, s[10:11]
	s_cbranch_execz .LBB8_579
; %bb.342:
	v_bfe_u32 v7, v6, 20, 1
	s_mov_b32 s14, 0x487ffff
	v_add3_u32 v7, v6, v7, s14
	s_mov_b64 s[8:9], exec
	v_lshrrev_b32_e32 v7, 20, v7
	s_andn2_saveexec_b64 s[10:11], s[10:11]
	s_cbranch_execnz .LBB8_580
.LBB8_343:
	s_or_b64 exec, exec, s[10:11]
	v_mov_b32_e32 v8, 0
	s_and_saveexec_b64 s[10:11], s[8:9]
.LBB8_344:
	v_lshrrev_b32_e32 v6, 24, v6
	s_movk_i32 s8, 0x80
	v_and_or_b32 v8, v6, s8, v7
.LBB8_345:
	s_or_b64 exec, exec, s[10:11]
.LBB8_346:
	s_or_b64 exec, exec, s[4:5]
	global_store_byte v[4:5], v8, off
.LBB8_347:
	s_mov_b64 s[4:5], -1
.LBB8_348:
	s_mov_b64 s[8:9], 0
.LBB8_349:
	s_and_b64 vcc, exec, s[8:9]
	s_cbranch_vccz .LBB8_390
; %bb.350:
	s_cmp_gt_i32 s13, 22
	s_mov_b64 s[8:9], -1
	s_cbranch_scc0 .LBB8_382
; %bb.351:
	s_cmp_lt_i32 s13, 24
	s_mov_b64 s[4:5], -1
	s_cbranch_scc1 .LBB8_371
; %bb.352:
	s_cmp_gt_i32 s13, 24
	s_cbranch_scc0 .LBB8_360
; %bb.353:
	v_cvt_f32_f64_e32 v6, v[0:1]
	s_mov_b32 s4, 0x47800000
	v_mov_b32_e32 v8, 0x80
	v_and_b32_e32 v7, 0x7fffffff, v6
	v_cmp_gt_u32_e32 vcc, s4, v7
	s_and_saveexec_b64 s[4:5], vcc
	s_cbranch_execz .LBB8_359
; %bb.354:
	s_mov_b32 s8, 0x37ffffff
	v_cmp_lt_u32_e32 vcc, s8, v7
	s_mov_b64 s[8:9], 0
                                        ; implicit-def: $vgpr7
	s_and_saveexec_b64 s[10:11], vcc
	s_xor_b64 s[10:11], exec, s[10:11]
	s_cbranch_execz .LBB8_582
; %bb.355:
	v_bfe_u32 v7, v6, 21, 1
	s_mov_b32 s14, 0x88fffff
	v_add3_u32 v7, v6, v7, s14
	s_mov_b64 s[8:9], exec
	v_lshrrev_b32_e32 v7, 21, v7
	s_andn2_saveexec_b64 s[10:11], s[10:11]
	s_cbranch_execnz .LBB8_583
.LBB8_356:
	s_or_b64 exec, exec, s[10:11]
	v_mov_b32_e32 v8, 0
	s_and_saveexec_b64 s[10:11], s[8:9]
.LBB8_357:
	v_lshrrev_b32_e32 v6, 24, v6
	s_movk_i32 s8, 0x80
	v_and_or_b32 v8, v6, s8, v7
.LBB8_358:
	s_or_b64 exec, exec, s[10:11]
.LBB8_359:
	s_or_b64 exec, exec, s[4:5]
	s_mov_b64 s[4:5], 0
	global_store_byte v[4:5], v8, off
.LBB8_360:
	s_and_b64 vcc, exec, s[4:5]
	s_cbranch_vccz .LBB8_370
; %bb.361:
	v_cvt_f32_f64_e32 v6, v[0:1]
	s_mov_b32 s4, 0x43f00000
                                        ; implicit-def: $vgpr7
	v_and_b32_e32 v8, 0x7fffffff, v6
	v_cmp_gt_u32_e32 vcc, s4, v8
	s_and_saveexec_b64 s[4:5], vcc
	s_xor_b64 s[4:5], exec, s[4:5]
	s_cbranch_execz .LBB8_367
; %bb.362:
	s_mov_b32 s8, 0x3c7fffff
	v_cmp_lt_u32_e32 vcc, s8, v8
                                        ; implicit-def: $vgpr7
	s_and_saveexec_b64 s[8:9], vcc
	s_xor_b64 s[8:9], exec, s[8:9]
; %bb.363:
	v_bfe_u32 v7, v6, 20, 1
	s_mov_b32 s10, 0x407ffff
	v_add3_u32 v7, v6, v7, s10
	v_lshrrev_b32_e32 v8, 20, v7
	v_and_b32_e32 v7, 0xff00000, v7
	s_mov_b32 s10, 0x7f00000
	v_mov_b32_e32 v9, 0x7e
	v_cmp_ne_u32_e32 vcc, s10, v7
	v_cndmask_b32_e32 v7, v9, v8, vcc
; %bb.364:
	s_andn2_saveexec_b64 s[8:9], s[8:9]
; %bb.365:
	s_mov_b32 s10, 0x46800000
	v_add_f32_e64 v7, |v6|, s10
; %bb.366:
	s_or_b64 exec, exec, s[8:9]
                                        ; implicit-def: $vgpr8
.LBB8_367:
	s_andn2_saveexec_b64 s[4:5], s[4:5]
; %bb.368:
	s_mov_b32 s8, 0x7f800000
	v_mov_b32_e32 v7, 0x7e
	v_mov_b32_e32 v9, 0x7f
	v_cmp_lt_u32_e32 vcc, s8, v8
	v_cndmask_b32_e32 v7, v7, v9, vcc
; %bb.369:
	s_or_b64 exec, exec, s[4:5]
	v_lshrrev_b32_e32 v6, 24, v6
	s_movk_i32 s4, 0x80
	v_and_or_b32 v6, v6, s4, v7
	global_store_byte v[4:5], v6, off
.LBB8_370:
	s_mov_b64 s[4:5], 0
.LBB8_371:
	s_andn2_b64 vcc, exec, s[4:5]
	s_cbranch_vccnz .LBB8_381
; %bb.372:
	v_cvt_f32_f64_e32 v6, v[0:1]
	s_mov_b32 s4, 0x47800000
                                        ; implicit-def: $vgpr7
	v_and_b32_e32 v8, 0x7fffffff, v6
	v_cmp_gt_u32_e32 vcc, s4, v8
	s_and_saveexec_b64 s[4:5], vcc
	s_xor_b64 s[4:5], exec, s[4:5]
	s_cbranch_execz .LBB8_378
; %bb.373:
	s_mov_b32 s8, 0x387fffff
	v_cmp_lt_u32_e32 vcc, s8, v8
                                        ; implicit-def: $vgpr7
	s_and_saveexec_b64 s[8:9], vcc
	s_xor_b64 s[8:9], exec, s[8:9]
; %bb.374:
	v_bfe_u32 v7, v6, 21, 1
	s_mov_b32 s10, 0x80fffff
	v_add3_u32 v7, v6, v7, s10
	v_lshrrev_b32_e32 v7, 21, v7
; %bb.375:
	s_andn2_saveexec_b64 s[8:9], s[8:9]
; %bb.376:
	s_mov_b32 s10, 0x43000000
	v_add_f32_e64 v7, |v6|, s10
; %bb.377:
	s_or_b64 exec, exec, s[8:9]
                                        ; implicit-def: $vgpr8
.LBB8_378:
	s_andn2_saveexec_b64 s[4:5], s[4:5]
; %bb.379:
	s_mov_b32 s8, 0x7f800000
	v_mov_b32_e32 v7, 0x7c
	v_mov_b32_e32 v9, 0x7f
	v_cmp_lt_u32_e32 vcc, s8, v8
	v_cndmask_b32_e32 v7, v7, v9, vcc
; %bb.380:
	s_or_b64 exec, exec, s[4:5]
	v_lshrrev_b32_e32 v6, 24, v6
	s_movk_i32 s4, 0x80
	v_and_or_b32 v6, v6, s4, v7
	global_store_byte v[4:5], v6, off
.LBB8_381:
	s_mov_b64 s[8:9], 0
	s_mov_b64 s[4:5], -1
.LBB8_382:
	s_andn2_b64 vcc, exec, s[8:9]
	s_cbranch_vccnz .LBB8_390
; %bb.383:
	s_cmp_gt_i32 s13, 14
	s_mov_b64 s[8:9], -1
	s_cbranch_scc0 .LBB8_387
; %bb.384:
	s_cmp_eq_u32 s13, 15
	s_mov_b64 s[6:7], -1
	s_cbranch_scc0 .LBB8_386
; %bb.385:
	v_cvt_f32_f64_e32 v6, v[0:1]
	s_movk_i32 s4, 0x7fff
	v_mov_b32_e32 v7, 0x7fc0
	s_mov_b64 s[6:7], 0
	v_bfe_u32 v8, v6, 16, 1
	v_cmp_o_f32_e32 vcc, v6, v6
	v_add3_u32 v6, v6, v8, s4
	v_cndmask_b32_sdwa v6, v7, v6, vcc dst_sel:DWORD dst_unused:UNUSED_PAD src0_sel:DWORD src1_sel:WORD_1
	global_store_short v[4:5], v6, off
	s_mov_b64 s[4:5], -1
.LBB8_386:
	s_mov_b64 s[8:9], 0
.LBB8_387:
	s_and_b64 vcc, exec, s[8:9]
	s_cbranch_vccz .LBB8_390
; %bb.388:
	s_cmp_eq_u32 s13, 11
	s_mov_b64 s[6:7], -1
	s_cbranch_scc0 .LBB8_390
; %bb.389:
	v_cmp_neq_f64_e32 vcc, 0, v[0:1]
	v_cmp_neq_f64_e64 s[4:5], 0, v[2:3]
	s_mov_b64 s[6:7], 0
	s_or_b64 s[4:5], vcc, s[4:5]
	v_cndmask_b32_e64 v6, 0, 1, s[4:5]
	s_mov_b64 s[4:5], -1
	global_store_byte v[4:5], v6, off
.LBB8_390:
	s_mov_b64 s[8:9], 0
.LBB8_391:
	s_and_b64 vcc, exec, s[8:9]
	s_cbranch_vccz .LBB8_430
; %bb.392:
	s_and_b32 s8, 0xffff, s12
	s_cmp_lt_i32 s8, 5
	s_mov_b64 s[4:5], -1
	s_cbranch_scc1 .LBB8_413
; %bb.393:
	s_cmp_lt_i32 s8, 8
	s_cbranch_scc1 .LBB8_403
; %bb.394:
	s_cmp_lt_i32 s8, 9
	s_cbranch_scc1 .LBB8_400
; %bb.395:
	s_cmp_gt_i32 s8, 9
	s_cbranch_scc0 .LBB8_397
; %bb.396:
	s_mov_b64 s[4:5], 0
	global_store_dwordx4 v[4:5], v[0:3], off
.LBB8_397:
	s_andn2_b64 vcc, exec, s[4:5]
	s_cbranch_vccnz .LBB8_399
; %bb.398:
	v_cvt_f32_f64_e32 v6, v[0:1]
	v_cvt_f32_f64_e32 v7, v[2:3]
	global_store_dwordx2 v[4:5], v[6:7], off
.LBB8_399:
	s_mov_b64 s[4:5], 0
.LBB8_400:
	s_andn2_b64 vcc, exec, s[4:5]
	s_cbranch_vccnz .LBB8_402
; %bb.401:
	s_movk_i32 s4, 0x1ff
	v_and_or_b32 v6, v1, s4, v0
	v_cmp_ne_u32_e32 vcc, 0, v6
	v_cndmask_b32_e64 v6, 0, 1, vcc
	v_lshrrev_b32_e32 v7, 8, v1
	s_movk_i32 s5, 0xffe
	v_bfe_u32 v8, v1, 20, 11
	v_and_or_b32 v6, v7, s5, v6
	v_sub_u32_e32 v9, 0x3f1, v8
	v_or_b32_e32 v7, 0x1000, v6
	v_med3_i32 v9, v9, 0, 13
	v_lshrrev_b32_e32 v10, v9, v7
	v_lshlrev_b32_e32 v9, v9, v10
	v_cmp_ne_u32_e32 vcc, v9, v7
	v_cndmask_b32_e64 v7, 0, 1, vcc
	v_add_u32_e32 v8, 0xfffffc10, v8
	v_or_b32_e32 v7, v10, v7
	v_lshl_or_b32 v9, v8, 12, v6
	v_cmp_gt_i32_e32 vcc, 1, v8
	v_cndmask_b32_e32 v7, v9, v7, vcc
	v_and_b32_e32 v9, 7, v7
	v_cmp_lt_i32_e32 vcc, 5, v9
	v_cndmask_b32_e64 v10, 0, 1, vcc
	v_cmp_eq_u32_e32 vcc, 3, v9
	v_cndmask_b32_e64 v9, 0, 1, vcc
	v_or_b32_e32 v9, v9, v10
	v_lshrrev_b32_e32 v7, 2, v7
	v_add_u32_e32 v7, v7, v9
	v_mov_b32_e32 v9, 0x7c00
	v_cmp_gt_i32_e32 vcc, 31, v8
	v_cndmask_b32_e32 v7, v9, v7, vcc
	v_mov_b32_e32 v10, 0x7e00
	v_cmp_ne_u32_e32 vcc, 0, v6
	s_movk_i32 s9, 0x40f
	v_cndmask_b32_e32 v6, v9, v10, vcc
	v_cmp_eq_u32_e32 vcc, s9, v8
	v_and_or_b32 v2, v3, s4, v2
	v_cndmask_b32_e32 v6, v7, v6, vcc
	v_lshrrev_b32_e32 v7, 16, v1
	s_mov_b32 s10, 0x8000
	v_cmp_ne_u32_e32 vcc, 0, v2
	v_and_or_b32 v6, v7, s10, v6
	v_cndmask_b32_e64 v2, 0, 1, vcc
	v_lshrrev_b32_e32 v7, 8, v3
	v_bfe_u32 v8, v3, 20, 11
	v_and_or_b32 v2, v7, s5, v2
	v_sub_u32_e32 v11, 0x3f1, v8
	v_or_b32_e32 v7, 0x1000, v2
	v_med3_i32 v11, v11, 0, 13
	v_lshrrev_b32_e32 v12, v11, v7
	v_lshlrev_b32_e32 v11, v11, v12
	v_cmp_ne_u32_e32 vcc, v11, v7
	v_cndmask_b32_e64 v7, 0, 1, vcc
	v_add_u32_e32 v8, 0xfffffc10, v8
	v_or_b32_e32 v7, v12, v7
	v_lshl_or_b32 v11, v8, 12, v2
	v_cmp_gt_i32_e32 vcc, 1, v8
	v_cndmask_b32_e32 v7, v11, v7, vcc
	v_and_b32_e32 v11, 7, v7
	v_cmp_lt_i32_e32 vcc, 5, v11
	v_cndmask_b32_e64 v12, 0, 1, vcc
	v_cmp_eq_u32_e32 vcc, 3, v11
	v_cndmask_b32_e64 v11, 0, 1, vcc
	v_or_b32_e32 v11, v11, v12
	v_lshrrev_b32_e32 v7, 2, v7
	v_add_u32_e32 v7, v7, v11
	v_cmp_gt_i32_e32 vcc, 31, v8
	v_cndmask_b32_e32 v7, v9, v7, vcc
	v_cmp_ne_u32_e32 vcc, 0, v2
	v_cndmask_b32_e32 v2, v9, v10, vcc
	v_cmp_eq_u32_e32 vcc, s9, v8
	v_cndmask_b32_e32 v2, v7, v2, vcc
	v_lshrrev_b32_e32 v3, 16, v3
	v_and_or_b32 v2, v3, s10, v2
	v_and_b32_e32 v3, 0xffff, v6
	v_lshl_or_b32 v2, v2, 16, v3
	global_store_dword v[4:5], v2, off
.LBB8_402:
	s_mov_b64 s[4:5], 0
.LBB8_403:
	s_andn2_b64 vcc, exec, s[4:5]
	s_cbranch_vccnz .LBB8_412
; %bb.404:
	s_cmp_lt_i32 s8, 6
	s_mov_b64 s[4:5], -1
	s_cbranch_scc1 .LBB8_410
; %bb.405:
	s_cmp_gt_i32 s8, 6
	s_cbranch_scc0 .LBB8_407
; %bb.406:
	s_mov_b64 s[4:5], 0
	global_store_dwordx2 v[4:5], v[0:1], off
.LBB8_407:
	s_andn2_b64 vcc, exec, s[4:5]
	s_cbranch_vccnz .LBB8_409
; %bb.408:
	v_cvt_f32_f64_e32 v2, v[0:1]
	global_store_dword v[4:5], v2, off
.LBB8_409:
	s_mov_b64 s[4:5], 0
.LBB8_410:
	s_andn2_b64 vcc, exec, s[4:5]
	s_cbranch_vccnz .LBB8_412
; %bb.411:
	s_movk_i32 s4, 0x1ff
	v_and_or_b32 v2, v1, s4, v0
	v_cmp_ne_u32_e32 vcc, 0, v2
	v_cndmask_b32_e64 v2, 0, 1, vcc
	v_lshrrev_b32_e32 v3, 8, v1
	s_movk_i32 s4, 0xffe
	v_bfe_u32 v6, v1, 20, 11
	v_and_or_b32 v2, v3, s4, v2
	v_sub_u32_e32 v7, 0x3f1, v6
	v_or_b32_e32 v3, 0x1000, v2
	v_med3_i32 v7, v7, 0, 13
	v_lshrrev_b32_e32 v8, v7, v3
	v_lshlrev_b32_e32 v7, v7, v8
	v_cmp_ne_u32_e32 vcc, v7, v3
	v_cndmask_b32_e64 v3, 0, 1, vcc
	v_add_u32_e32 v6, 0xfffffc10, v6
	v_or_b32_e32 v3, v8, v3
	v_lshl_or_b32 v7, v6, 12, v2
	v_cmp_gt_i32_e32 vcc, 1, v6
	v_cndmask_b32_e32 v3, v7, v3, vcc
	v_and_b32_e32 v7, 7, v3
	v_cmp_lt_i32_e32 vcc, 5, v7
	v_cndmask_b32_e64 v8, 0, 1, vcc
	v_cmp_eq_u32_e32 vcc, 3, v7
	v_cndmask_b32_e64 v7, 0, 1, vcc
	v_or_b32_e32 v7, v7, v8
	v_lshrrev_b32_e32 v3, 2, v3
	v_add_u32_e32 v3, v3, v7
	v_mov_b32_e32 v7, 0x7c00
	v_cmp_gt_i32_e32 vcc, 31, v6
	v_cndmask_b32_e32 v3, v7, v3, vcc
	v_mov_b32_e32 v8, 0x7e00
	v_cmp_ne_u32_e32 vcc, 0, v2
	s_movk_i32 s4, 0x40f
	v_cndmask_b32_e32 v2, v7, v8, vcc
	v_cmp_eq_u32_e32 vcc, s4, v6
	v_cndmask_b32_e32 v2, v3, v2, vcc
	v_lshrrev_b32_e32 v3, 16, v1
	s_mov_b32 s4, 0x8000
	v_and_or_b32 v2, v3, s4, v2
	global_store_short v[4:5], v2, off
.LBB8_412:
	s_mov_b64 s[4:5], 0
.LBB8_413:
	s_andn2_b64 vcc, exec, s[4:5]
	s_cbranch_vccnz .LBB8_429
; %bb.414:
	s_cmp_lt_i32 s8, 2
	s_mov_b64 s[4:5], -1
	s_cbranch_scc1 .LBB8_424
; %bb.415:
	s_cmp_lt_i32 s8, 3
	s_cbranch_scc1 .LBB8_421
; %bb.416:
	s_cmp_gt_i32 s8, 3
	s_cbranch_scc0 .LBB8_418
; %bb.417:
	v_trunc_f64_e32 v[2:3], v[0:1]
	s_movk_i32 s4, 0xffe0
	v_ldexp_f64 v[6:7], v[2:3], s4
	s_mov_b32 s4, 0
	s_mov_b32 s5, 0xc1f00000
	v_floor_f64_e32 v[6:7], v[6:7]
	v_fma_f64 v[2:3], v[6:7], s[4:5], v[2:3]
	v_cvt_i32_f64_e32 v7, v[6:7]
	s_mov_b64 s[4:5], 0
	v_cvt_u32_f64_e32 v6, v[2:3]
	global_store_dwordx2 v[4:5], v[6:7], off
.LBB8_418:
	s_andn2_b64 vcc, exec, s[4:5]
	s_cbranch_vccnz .LBB8_420
; %bb.419:
	v_cvt_i32_f64_e32 v2, v[0:1]
	global_store_dword v[4:5], v2, off
.LBB8_420:
	s_mov_b64 s[4:5], 0
.LBB8_421:
	s_andn2_b64 vcc, exec, s[4:5]
	s_cbranch_vccnz .LBB8_423
; %bb.422:
	v_cvt_i32_f64_e32 v2, v[0:1]
	global_store_short v[4:5], v2, off
.LBB8_423:
	s_mov_b64 s[4:5], 0
.LBB8_424:
	s_andn2_b64 vcc, exec, s[4:5]
	s_cbranch_vccnz .LBB8_429
; %bb.425:
	s_cmp_gt_i32 s8, 0
	s_mov_b64 s[4:5], -1
	s_cbranch_scc0 .LBB8_427
; %bb.426:
	v_cvt_i32_f64_e32 v2, v[0:1]
	s_mov_b64 s[4:5], 0
	global_store_byte v[4:5], v2, off
.LBB8_427:
	s_andn2_b64 vcc, exec, s[4:5]
	s_cbranch_vccnz .LBB8_429
; %bb.428:
	v_trunc_f64_e32 v[0:1], v[0:1]
	s_movk_i32 s4, 0xffe0
	v_ldexp_f64 v[2:3], v[0:1], s4
	s_mov_b32 s4, 0
	s_mov_b32 s5, 0xc1f00000
	v_floor_f64_e32 v[2:3], v[2:3]
	v_fma_f64 v[0:1], v[2:3], s[4:5], v[0:1]
	v_cvt_u32_f64_e32 v0, v[0:1]
	global_store_byte v[4:5], v0, off
.LBB8_429:
	s_mov_b64 s[4:5], -1
.LBB8_430:
	s_andn2_b64 vcc, exec, s[4:5]
	s_cbranch_vccnz .LBB8_432
; %bb.431:
	v_add_u32_e32 v43, 0x80, v43
	s_mov_b64 s[4:5], -1
	s_branch .LBB8_550
.LBB8_432:
	s_mov_b64 s[4:5], 0
	s_branch .LBB8_549
.LBB8_433:
	s_mov_b64 s[72:73], -1
                                        ; implicit-def: $vgpr0_vgpr1
.LBB8_434:
	v_mov_b32_e32 v2, 0
	v_mov_b32_e32 v3, 0
.LBB8_435:
	s_mov_b64 s[6:7], 0
.LBB8_436:
	s_and_b64 vcc, exec, s[6:7]
	s_cbranch_vccz .LBB8_441
; %bb.437:
	s_cmp_eq_u32 s10, 29
	s_cbranch_scc0 .LBB8_439
; %bb.438:
	global_load_dwordx2 v[0:1], v[4:5], off
	s_mov_b64 s[4:5], -1
	s_mov_b64 s[72:73], 0
	s_waitcnt vmcnt(0)
	v_cvt_f64_u32_e32 v[1:2], v1
	v_cvt_f64_u32_e32 v[6:7], v0
	v_ldexp_f64 v[1:2], v[1:2], 32
	v_add_f64 v[0:1], v[1:2], v[6:7]
	s_branch .LBB8_440
.LBB8_439:
	s_mov_b64 s[72:73], -1
                                        ; implicit-def: $vgpr0_vgpr1
.LBB8_440:
	v_mov_b32_e32 v2, 0
	v_mov_b32_e32 v3, 0
.LBB8_441:
	s_mov_b64 s[6:7], 0
.LBB8_442:
	s_and_b64 vcc, exec, s[6:7]
	s_cbranch_vccz .LBB8_462
; %bb.443:
	s_cmp_lt_i32 s10, 27
	s_cbranch_scc1 .LBB8_446
; %bb.444:
	s_cmp_gt_i32 s10, 27
	s_cbranch_scc0 .LBB8_447
; %bb.445:
	global_load_dword v0, v[4:5], off
	s_mov_b64 s[4:5], 0
	s_waitcnt vmcnt(0)
	v_cvt_f64_u32_e32 v[0:1], v0
	s_branch .LBB8_448
.LBB8_446:
	s_mov_b64 s[4:5], -1
                                        ; implicit-def: $vgpr0_vgpr1
	s_branch .LBB8_451
.LBB8_447:
	s_mov_b64 s[4:5], -1
                                        ; implicit-def: $vgpr0_vgpr1
.LBB8_448:
	s_andn2_b64 vcc, exec, s[4:5]
	s_cbranch_vccnz .LBB8_450
; %bb.449:
	global_load_ushort v0, v[4:5], off
	s_waitcnt vmcnt(0)
	v_cvt_f64_u32_e32 v[0:1], v0
.LBB8_450:
	s_mov_b64 s[4:5], 0
.LBB8_451:
	s_andn2_b64 vcc, exec, s[4:5]
	s_cbranch_vccnz .LBB8_461
; %bb.452:
	global_load_ubyte v2, v[4:5], off
	s_movk_i32 s4, 0x7f
	s_waitcnt vmcnt(0)
	v_cmp_lt_i16_e32 vcc, s4, v2
	s_mov_b64 s[4:5], 0
	s_and_saveexec_b64 s[6:7], vcc
	s_xor_b64 s[6:7], exec, s[6:7]
	s_cbranch_execz .LBB8_456
; %bb.453:
	s_movk_i32 s4, 0x80
	v_cmp_eq_u16_e32 vcc, s4, v2
	s_mov_b64 s[4:5], -1
	s_and_saveexec_b64 s[8:9], vcc
; %bb.454:
	s_xor_b64 s[4:5], exec, -1
; %bb.455:
	s_or_b64 exec, exec, s[8:9]
	s_and_b64 s[4:5], s[4:5], exec
.LBB8_456:
	s_or_saveexec_b64 s[6:7], s[6:7]
	v_bfrev_b32_e32 v0, 4
	v_mov_b32_e32 v1, 0x7ff80000
	s_xor_b64 exec, exec, s[6:7]
; %bb.457:
	v_cmp_ne_u16_e32 vcc, 0, v2
	v_mov_b32_e32 v0, 0
	s_andn2_b64 s[4:5], s[4:5], exec
	s_and_b64 s[8:9], vcc, exec
	v_mov_b32_e32 v1, 0
	s_or_b64 s[4:5], s[4:5], s[8:9]
; %bb.458:
	s_or_b64 exec, exec, s[6:7]
	s_and_saveexec_b64 s[6:7], s[4:5]
	s_cbranch_execz .LBB8_460
; %bb.459:
	v_and_b32_e32 v1, 0xffff, v2
	v_lshlrev_b32_e32 v0, 24, v2
	v_and_b32_e32 v2, 7, v1
	v_ffbh_u32_e32 v6, v2
	v_min_u32_e32 v6, 32, v6
	v_subrev_u32_e32 v7, 28, v6
	v_bfe_u32 v3, v1, 3, 4
	v_lshlrev_b32_e32 v1, v7, v1
	v_sub_u32_e32 v6, 29, v6
	v_and_b32_e32 v1, 7, v1
	v_cmp_eq_u32_e32 vcc, 0, v3
	v_cndmask_b32_e32 v3, v3, v6, vcc
	v_cndmask_b32_e32 v1, v2, v1, vcc
	v_mov_b32_e32 v2, 0x3b800000
	v_lshlrev_b32_e32 v1, 20, v1
	v_and_b32_e32 v0, 0x80000000, v0
	v_lshl_add_u32 v2, v3, 23, v2
	v_or3_b32 v0, v0, v2, v1
	v_cvt_f64_f32_e32 v[0:1], v0
.LBB8_460:
	s_or_b64 exec, exec, s[6:7]
.LBB8_461:
	v_mov_b32_e32 v2, 0
	v_mov_b32_e32 v3, 0
	s_mov_b64 s[4:5], -1
.LBB8_462:
	s_mov_b64 s[6:7], 0
.LBB8_463:
	s_and_b64 vcc, exec, s[6:7]
	s_cbranch_vccz .LBB8_497
; %bb.464:
	s_cmp_gt_i32 s10, 22
	s_cbranch_scc0 .LBB8_476
; %bb.465:
	s_cmp_lt_i32 s10, 24
	s_cbranch_scc1 .LBB8_477
; %bb.466:
	s_cmp_gt_i32 s10, 24
	s_cbranch_scc0 .LBB8_478
; %bb.467:
	global_load_ubyte v2, v[4:5], off
	s_movk_i32 s4, 0x7f
	s_waitcnt vmcnt(0)
	v_cmp_lt_i16_e32 vcc, s4, v2
	s_mov_b64 s[4:5], 0
	s_and_saveexec_b64 s[6:7], vcc
	s_xor_b64 s[6:7], exec, s[6:7]
	s_cbranch_execz .LBB8_471
; %bb.468:
	s_movk_i32 s4, 0x80
	v_cmp_eq_u16_e32 vcc, s4, v2
	s_mov_b64 s[4:5], -1
	s_and_saveexec_b64 s[8:9], vcc
; %bb.469:
	s_xor_b64 s[4:5], exec, -1
; %bb.470:
	s_or_b64 exec, exec, s[8:9]
	s_and_b64 s[4:5], s[4:5], exec
.LBB8_471:
	s_or_saveexec_b64 s[6:7], s[6:7]
	v_bfrev_b32_e32 v0, 4
	v_mov_b32_e32 v1, 0x7ff80000
	s_xor_b64 exec, exec, s[6:7]
; %bb.472:
	v_cmp_ne_u16_e32 vcc, 0, v2
	v_mov_b32_e32 v0, 0
	s_andn2_b64 s[4:5], s[4:5], exec
	s_and_b64 s[8:9], vcc, exec
	v_mov_b32_e32 v1, 0
	s_or_b64 s[4:5], s[4:5], s[8:9]
; %bb.473:
	s_or_b64 exec, exec, s[6:7]
	s_and_saveexec_b64 s[6:7], s[4:5]
	s_cbranch_execz .LBB8_475
; %bb.474:
	v_and_b32_e32 v1, 0xffff, v2
	v_lshlrev_b32_e32 v0, 24, v2
	v_and_b32_e32 v2, 3, v1
	v_ffbh_u32_e32 v6, v2
	v_min_u32_e32 v6, 32, v6
	v_subrev_u32_e32 v7, 29, v6
	v_bfe_u32 v3, v1, 2, 5
	v_lshlrev_b32_e32 v1, v7, v1
	v_sub_u32_e32 v6, 30, v6
	v_and_b32_e32 v1, 3, v1
	v_cmp_eq_u32_e32 vcc, 0, v3
	v_cndmask_b32_e32 v3, v3, v6, vcc
	v_cndmask_b32_e32 v1, v2, v1, vcc
	v_mov_b32_e32 v2, 0x37800000
	v_lshlrev_b32_e32 v1, 21, v1
	v_and_b32_e32 v0, 0x80000000, v0
	v_lshl_add_u32 v2, v3, 23, v2
	v_or3_b32 v0, v0, v2, v1
	v_cvt_f64_f32_e32 v[0:1], v0
.LBB8_475:
	s_or_b64 exec, exec, s[6:7]
	s_mov_b64 s[4:5], 0
	s_branch .LBB8_479
.LBB8_476:
	s_mov_b64 s[6:7], -1
                                        ; implicit-def: $vgpr0_vgpr1
	s_branch .LBB8_485
.LBB8_477:
	s_mov_b64 s[4:5], -1
                                        ; implicit-def: $vgpr0_vgpr1
	s_branch .LBB8_482
.LBB8_478:
	s_mov_b64 s[4:5], -1
                                        ; implicit-def: $vgpr0_vgpr1
.LBB8_479:
	s_and_b64 vcc, exec, s[4:5]
	s_cbranch_vccz .LBB8_481
; %bb.480:
	global_load_ubyte v0, v[4:5], off
	s_mov_b32 s4, 0x7f800000
	s_waitcnt vmcnt(0)
	v_lshlrev_b32_e32 v0, 24, v0
	v_and_b32_e32 v1, 0x7f000000, v0
	v_ffbh_u32_e32 v2, v1
	v_min_u32_e32 v2, 32, v2
	v_sub_u32_e64 v2, v2, 4 clamp
	v_lshlrev_b32_e32 v6, v2, v1
	v_lshlrev_b32_e32 v2, 23, v2
	v_lshrrev_b32_e32 v6, 4, v6
	v_add_u32_e32 v3, 0x1000000, v1
	v_sub_u32_e32 v2, v6, v2
	v_ashrrev_i32_e32 v3, 8, v3
	v_add_u32_e32 v2, 0x3c000000, v2
	v_and_or_b32 v2, v3, s4, v2
	v_cmp_ne_u32_e32 vcc, 0, v1
	v_cndmask_b32_e32 v1, 0, v2, vcc
	s_brev_b32 s4, 1
	v_and_or_b32 v0, v0, s4, v1
	v_cvt_f64_f32_e32 v[0:1], v0
.LBB8_481:
	s_mov_b64 s[4:5], 0
.LBB8_482:
	s_andn2_b64 vcc, exec, s[4:5]
	s_cbranch_vccnz .LBB8_484
; %bb.483:
	global_load_ubyte v0, v[4:5], off
	s_movk_i32 s4, 0x7f00
	s_brev_b32 s5, 16
	s_waitcnt vmcnt(0)
	v_lshlrev_b16_e32 v1, 8, v0
	v_lshlrev_b32_e32 v0, 25, v0
	v_lshrrev_b32_e32 v2, 4, v0
	v_and_or_b32 v3, v1, s4, 0.5
	v_or_b32_e32 v2, 0x70000000, v2
	v_add_f32_e32 v3, -0.5, v3
	v_mul_f32_e32 v2, 0x7800000, v2
	v_cmp_gt_u32_e32 vcc, s5, v0
	v_bfe_i32 v1, v1, 0, 16
	v_cndmask_b32_e32 v0, v2, v3, vcc
	s_brev_b32 s4, 1
	v_and_or_b32 v0, v1, s4, v0
	v_cvt_f64_f32_e32 v[0:1], v0
.LBB8_484:
	s_mov_b64 s[6:7], 0
	s_mov_b64 s[4:5], -1
.LBB8_485:
	s_andn2_b64 vcc, exec, s[6:7]
	s_cbranch_vccnz .LBB8_496
; %bb.486:
	s_cmp_gt_i32 s10, 14
	s_cbranch_scc0 .LBB8_489
; %bb.487:
	s_cmp_eq_u32 s10, 15
	s_cbranch_scc0 .LBB8_490
; %bb.488:
	global_load_ushort v0, v[4:5], off
	s_mov_b64 s[4:5], -1
	s_mov_b64 s[72:73], 0
	s_waitcnt vmcnt(0)
	v_lshlrev_b32_e32 v0, 16, v0
	v_cvt_f64_f32_e32 v[0:1], v0
	s_branch .LBB8_491
.LBB8_489:
	s_mov_b64 s[6:7], -1
                                        ; implicit-def: $vgpr0_vgpr1
	s_branch .LBB8_492
.LBB8_490:
	s_mov_b64 s[72:73], -1
                                        ; implicit-def: $vgpr0_vgpr1
.LBB8_491:
	s_mov_b64 s[6:7], 0
.LBB8_492:
	s_and_b64 vcc, exec, s[6:7]
	s_cbranch_vccz .LBB8_496
; %bb.493:
	s_cmp_eq_u32 s10, 11
	s_cbranch_scc0 .LBB8_495
; %bb.494:
	global_load_ubyte v1, v[4:5], off
	v_mov_b32_e32 v2, 0x3ff00000
	v_mov_b32_e32 v0, 0
	s_mov_b64 s[4:5], -1
	s_mov_b64 s[72:73], 0
	s_waitcnt vmcnt(0)
	v_cmp_ne_u16_e32 vcc, 0, v1
	v_cndmask_b32_e32 v1, 0, v2, vcc
	s_branch .LBB8_496
.LBB8_495:
	s_mov_b64 s[72:73], -1
                                        ; implicit-def: $vgpr0_vgpr1
.LBB8_496:
	v_mov_b32_e32 v2, 0
	v_mov_b32_e32 v3, 0
.LBB8_497:
	s_branch .LBB8_297
.LBB8_498:
	s_cmp_lt_i32 s10, 5
	s_cbranch_scc1 .LBB8_503
; %bb.499:
	s_cmp_lt_i32 s10, 8
	s_cbranch_scc1 .LBB8_504
; %bb.500:
	;; [unrolled: 3-line block ×3, first 2 shown]
	s_cmp_gt_i32 s10, 9
	s_cbranch_scc0 .LBB8_506
; %bb.502:
	global_load_dwordx4 v[0:3], v[4:5], off
	s_mov_b64 s[4:5], 0
	s_branch .LBB8_507
.LBB8_503:
	s_mov_b64 s[4:5], -1
                                        ; implicit-def: $vgpr2_vgpr3
	s_branch .LBB8_526
.LBB8_504:
	s_mov_b64 s[4:5], -1
                                        ; implicit-def: $vgpr2_vgpr3
	s_branch .LBB8_513
.LBB8_505:
	s_mov_b64 s[4:5], -1
                                        ; implicit-def: $vgpr2_vgpr3
	s_branch .LBB8_510
.LBB8_506:
	s_mov_b64 s[4:5], -1
                                        ; implicit-def: $vgpr2_vgpr3
.LBB8_507:
	s_andn2_b64 vcc, exec, s[4:5]
	s_cbranch_vccnz .LBB8_509
; %bb.508:
	global_load_dwordx2 v[1:2], v[4:5], off
	s_waitcnt vmcnt(0)
	v_cvt_f64_f32_e32 v[0:1], v1
	v_cvt_f64_f32_e32 v[2:3], v2
.LBB8_509:
	s_mov_b64 s[4:5], 0
.LBB8_510:
	s_andn2_b64 vcc, exec, s[4:5]
	s_cbranch_vccnz .LBB8_512
; %bb.511:
	global_load_dword v0, v[4:5], off
	s_waitcnt vmcnt(0)
	v_cvt_f32_f16_e32 v1, v0
	v_cvt_f32_f16_sdwa v2, v0 dst_sel:DWORD dst_unused:UNUSED_PAD src0_sel:WORD_1
	v_cvt_f64_f32_e32 v[0:1], v1
	v_cvt_f64_f32_e32 v[2:3], v2
.LBB8_512:
	s_mov_b64 s[4:5], 0
.LBB8_513:
	s_andn2_b64 vcc, exec, s[4:5]
	s_cbranch_vccnz .LBB8_525
; %bb.514:
	s_cmp_lt_i32 s10, 6
	s_cbranch_scc1 .LBB8_517
; %bb.515:
	s_cmp_gt_i32 s10, 6
	s_cbranch_scc0 .LBB8_518
; %bb.516:
	global_load_dwordx2 v[0:1], v[4:5], off
	s_mov_b64 s[4:5], 0
	s_branch .LBB8_519
.LBB8_517:
	s_mov_b64 s[4:5], -1
                                        ; implicit-def: $vgpr0_vgpr1
	s_branch .LBB8_522
.LBB8_518:
	s_mov_b64 s[4:5], -1
                                        ; implicit-def: $vgpr0_vgpr1
.LBB8_519:
	s_andn2_b64 vcc, exec, s[4:5]
	s_cbranch_vccnz .LBB8_521
; %bb.520:
	global_load_dword v0, v[4:5], off
	s_waitcnt vmcnt(0)
	v_cvt_f64_f32_e32 v[0:1], v0
.LBB8_521:
	s_mov_b64 s[4:5], 0
.LBB8_522:
	s_andn2_b64 vcc, exec, s[4:5]
	s_cbranch_vccnz .LBB8_524
; %bb.523:
	global_load_ushort v0, v[4:5], off
	s_waitcnt vmcnt(0)
	v_cvt_f32_f16_e32 v0, v0
	v_cvt_f64_f32_e32 v[0:1], v0
.LBB8_524:
	s_waitcnt vmcnt(0)
	v_mov_b32_e32 v2, 0
	v_mov_b32_e32 v3, 0
.LBB8_525:
	s_mov_b64 s[4:5], 0
.LBB8_526:
	s_andn2_b64 vcc, exec, s[4:5]
	s_cbranch_vccnz .LBB8_547
; %bb.527:
	s_cmp_lt_i32 s10, 2
	s_cbranch_scc1 .LBB8_531
; %bb.528:
	s_cmp_lt_i32 s10, 3
	s_cbranch_scc1 .LBB8_532
; %bb.529:
	s_cmp_gt_i32 s10, 3
	s_cbranch_scc0 .LBB8_533
; %bb.530:
	global_load_dwordx2 v[0:1], v[4:5], off
	s_mov_b64 s[4:5], 0
	s_waitcnt vmcnt(0)
	v_cvt_f64_i32_e32 v[1:2], v1
	v_cvt_f64_u32_e32 v[6:7], v0
	v_ldexp_f64 v[1:2], v[1:2], 32
	v_add_f64 v[0:1], v[1:2], v[6:7]
	s_branch .LBB8_534
.LBB8_531:
	s_mov_b64 s[4:5], -1
                                        ; implicit-def: $vgpr0_vgpr1
	s_branch .LBB8_540
.LBB8_532:
	s_mov_b64 s[4:5], -1
                                        ; implicit-def: $vgpr0_vgpr1
	s_branch .LBB8_537
.LBB8_533:
	s_mov_b64 s[4:5], -1
                                        ; implicit-def: $vgpr0_vgpr1
.LBB8_534:
	s_andn2_b64 vcc, exec, s[4:5]
	s_cbranch_vccnz .LBB8_536
; %bb.535:
	global_load_dword v0, v[4:5], off
	s_waitcnt vmcnt(0)
	v_cvt_f64_i32_e32 v[0:1], v0
.LBB8_536:
	s_mov_b64 s[4:5], 0
.LBB8_537:
	s_andn2_b64 vcc, exec, s[4:5]
	s_cbranch_vccnz .LBB8_539
; %bb.538:
	global_load_sshort v0, v[4:5], off
	s_waitcnt vmcnt(0)
	v_cvt_f64_i32_e32 v[0:1], v0
.LBB8_539:
	s_mov_b64 s[4:5], 0
.LBB8_540:
	s_andn2_b64 vcc, exec, s[4:5]
	s_cbranch_vccnz .LBB8_546
; %bb.541:
	s_cmp_gt_i32 s10, 0
	s_cbranch_scc0 .LBB8_543
; %bb.542:
	global_load_sbyte v0, v[4:5], off
	s_mov_b64 s[4:5], 0
	s_waitcnt vmcnt(0)
	v_cvt_f64_i32_e32 v[0:1], v0
	s_branch .LBB8_544
.LBB8_543:
	s_mov_b64 s[4:5], -1
                                        ; implicit-def: $vgpr0_vgpr1
.LBB8_544:
	s_andn2_b64 vcc, exec, s[4:5]
	s_cbranch_vccnz .LBB8_546
; %bb.545:
	global_load_ubyte v0, v[4:5], off
	s_waitcnt vmcnt(0)
	v_cvt_f64_u32_e32 v[0:1], v0
.LBB8_546:
	s_waitcnt vmcnt(0)
	v_mov_b32_e32 v2, 0
	v_mov_b32_e32 v3, 0
.LBB8_547:
	s_branch .LBB8_298
.LBB8_548:
	s_mov_b64 s[4:5], 0
	s_mov_b64 s[6:7], s[66:67]
.LBB8_549:
                                        ; implicit-def: $vgpr43
.LBB8_550:
	s_andn2_b64 s[8:9], s[66:67], exec
	s_and_b64 s[6:7], s[6:7], exec
	s_or_b64 s[74:75], s[8:9], s[6:7]
	s_andn2_b64 s[6:7], s[68:69], exec
	s_and_b64 s[8:9], s[72:73], exec
	s_or_b64 s[72:73], s[6:7], s[8:9]
	s_orn2_b64 s[4:5], s[4:5], exec
.LBB8_551:
	s_or_b64 exec, exec, s[76:77]
	s_mov_b64 s[6:7], 0
	s_mov_b64 s[8:9], 0
	;; [unrolled: 1-line block ×3, first 2 shown]
                                        ; implicit-def: $vgpr0_vgpr1
                                        ; implicit-def: $vgpr39
                                        ; implicit-def: $vgpr6_vgpr7
	s_and_saveexec_b64 s[76:77], s[4:5]
	s_cbranch_execz .LBB8_934
; %bb.552:
	v_cmp_gt_i32_e32 vcc, s85, v43
	s_mov_b64 s[6:7], -1
	s_mov_b64 s[24:25], s[72:73]
	s_mov_b64 s[26:27], s[74:75]
	s_and_saveexec_b64 s[78:79], vcc
	s_cbranch_execz .LBB8_831
; %bb.553:
	s_andn2_b64 vcc, exec, s[54:55]
	s_cbranch_vccnz .LBB8_558
; %bb.554:
	s_andn2_b64 vcc, exec, s[64:65]
	s_cbranch_vccnz .LBB8_559
; %bb.555:
	s_add_i32 s29, s86, 1
	s_cmp_eq_u32 s82, 2
	s_cbranch_scc1 .LBB8_560
; %bb.556:
	s_and_b32 s28, s29, 28
	s_waitcnt vmcnt(0)
	v_mov_b32_e32 v0, 0
	s_mov_b32 s30, 0
	s_mov_b64 s[24:25], s[42:43]
	s_mov_b64 s[26:27], s[62:63]
	v_mov_b32_e32 v39, 0
	v_mov_b32_e32 v1, v43
.LBB8_557:                              ; =>This Inner Loop Header: Depth=1
	s_load_dwordx8 s[12:19], s[24:25], 0x4
	s_load_dwordx4 s[20:23], s[24:25], 0x24
	s_load_dwordx8 s[4:11], s[26:27], 0x0
	s_add_u32 s24, s24, 48
	s_addc_u32 s25, s25, 0
	s_waitcnt lgkmcnt(0)
	v_mul_hi_u32 v2, s13, v1
	s_add_i32 s30, s30, 4
	s_add_u32 s26, s26, 32
	s_addc_u32 s27, s27, 0
	v_add_u32_e32 v2, v1, v2
	v_lshrrev_b32_e32 v2, s14, v2
	v_mul_lo_u32 v3, v2, s12
	v_mul_hi_u32 v4, s16, v2
	s_cmp_eq_u32 s28, s30
	v_sub_u32_e32 v1, v1, v3
	v_add_u32_e32 v3, v2, v4
	v_mul_lo_u32 v4, v1, s4
	v_mul_lo_u32 v5, v1, s5
	v_lshrrev_b32_e32 v1, s17, v3
	v_mul_lo_u32 v3, v1, s15
	v_mul_hi_u32 v6, s19, v1
	v_sub_u32_e32 v2, v2, v3
	v_add_u32_e32 v3, v1, v6
	v_lshrrev_b32_e32 v3, s20, v3
	v_mul_hi_u32 v7, s22, v3
	v_mul_lo_u32 v8, v3, s18
	v_mul_lo_u32 v6, v2, s6
	;; [unrolled: 1-line block ×3, first 2 shown]
	v_sub_u32_e32 v8, v1, v8
	v_add_u32_e32 v1, v3, v7
	v_lshrrev_b32_e32 v1, s23, v1
	v_mul_lo_u32 v7, v1, s21
	v_mul_lo_u32 v9, v8, s8
	;; [unrolled: 1-line block ×3, first 2 shown]
	v_add3_u32 v4, v4, v39, v6
	v_sub_u32_e32 v3, v3, v7
	v_mul_lo_u32 v7, v3, s10
	v_mul_lo_u32 v3, v3, s11
	v_add3_u32 v0, v5, v0, v2
	v_add3_u32 v39, v9, v4, v7
	;; [unrolled: 1-line block ×3, first 2 shown]
	s_cbranch_scc0 .LBB8_557
	s_branch .LBB8_561
.LBB8_558:
	s_mov_b64 s[4:5], -1
                                        ; implicit-def: $vgpr39
                                        ; implicit-def: $vgpr0
	s_branch .LBB8_565
.LBB8_559:
	v_mov_b32_e32 v39, 0
	s_waitcnt vmcnt(0)
	v_mov_b32_e32 v0, 0
	s_branch .LBB8_564
.LBB8_560:
	s_mov_b32 s28, 0
	v_mov_b32_e32 v39, 0
	s_waitcnt vmcnt(0)
	v_mov_b32_e32 v0, 0
	v_mov_b32_e32 v1, v43
.LBB8_561:
	s_and_b32 s8, s29, 3
	s_cmp_eq_u32 s8, 0
	s_cbranch_scc1 .LBB8_564
; %bb.562:
	s_lshl_b32 s4, s28, 3
	s_add_u32 s4, s42, s4
	s_addc_u32 s5, s43, 0
	s_add_u32 s4, s4, 0xc4
	s_addc_u32 s5, s5, 0
	s_mul_i32 s6, s28, 12
	s_add_u32 s6, s42, s6
	s_addc_u32 s7, s43, 0
.LBB8_563:                              ; =>This Inner Loop Header: Depth=1
	s_load_dwordx2 s[10:11], s[6:7], 0x4
	s_load_dword s9, s[6:7], 0xc
	s_load_dwordx2 s[12:13], s[4:5], 0x0
	s_add_u32 s6, s6, 12
	s_addc_u32 s7, s7, 0
	s_waitcnt lgkmcnt(0)
	v_mul_hi_u32 v2, s11, v1
	s_add_u32 s4, s4, 8
	s_addc_u32 s5, s5, 0
	s_add_i32 s8, s8, -1
	v_add_u32_e32 v2, v1, v2
	v_lshrrev_b32_e32 v2, s9, v2
	v_mul_lo_u32 v3, v2, s10
	s_cmp_lg_u32 s8, 0
	v_sub_u32_e32 v1, v1, v3
	v_mad_u64_u32 v[39:40], s[10:11], v1, s12, v[39:40]
	v_mad_u64_u32 v[0:1], s[10:11], v1, s13, v[0:1]
	v_mov_b32_e32 v1, v2
	s_cbranch_scc1 .LBB8_563
.LBB8_564:
	s_mov_b64 s[4:5], 0
.LBB8_565:
	s_andn2_b64 vcc, exec, s[4:5]
	s_cbranch_vccnz .LBB8_568
; %bb.566:
	s_waitcnt vmcnt(0) lgkmcnt(0)
	v_mul_hi_u32 v0, s49, v43
	s_andn2_b64 vcc, exec, s[60:61]
	v_add_u32_e32 v0, v43, v0
	v_lshrrev_b32_e32 v1, s50, v0
	v_mul_lo_u32 v0, v1, s48
	v_sub_u32_e32 v0, v43, v0
	v_mul_lo_u32 v39, v0, s44
	v_mul_lo_u32 v0, v0, s45
	s_cbranch_vccnz .LBB8_568
; %bb.567:
	v_mul_hi_u32 v2, s58, v1
	v_add_u32_e32 v2, v1, v2
	v_lshrrev_b32_e32 v2, s59, v2
	v_mul_lo_u32 v2, v2, s51
	v_sub_u32_e32 v1, v1, v2
	v_mad_u64_u32 v[39:40], s[4:5], v1, s46, v[39:40]
	v_mad_u64_u32 v[0:1], s[4:5], v1, s47, v[0:1]
.LBB8_568:
	s_waitcnt vmcnt(0) lgkmcnt(0)
	v_mov_b32_e32 v1, s39
	s_and_b32 s10, 0xffff, s84
	v_add_co_u32_e32 v4, vcc, s38, v0
	s_cmp_lt_i32 s10, 11
	v_addc_co_u32_e32 v5, vcc, 0, v1, vcc
	s_cbranch_scc1 .LBB8_575
; %bb.569:
	s_cmp_gt_i32 s10, 25
	s_cbranch_scc0 .LBB8_576
; %bb.570:
	s_cmp_gt_i32 s10, 28
	s_cbranch_scc0 .LBB8_577
	;; [unrolled: 3-line block ×4, first 2 shown]
; %bb.573:
	s_cmp_eq_u32 s10, 46
	s_mov_b64 s[6:7], 0
	s_cbranch_scc0 .LBB8_584
; %bb.574:
	global_load_dword v0, v[4:5], off
	s_mov_b64 s[4:5], -1
	s_mov_b64 s[80:81], 0
	s_waitcnt vmcnt(0)
	v_and_b32_e32 v2, 0xffff0000, v0
	v_lshlrev_b32_e32 v0, 16, v0
	v_cvt_f64_f32_e32 v[0:1], v0
	v_cvt_f64_f32_e32 v[2:3], v2
	s_branch .LBB8_585
.LBB8_575:
	s_mov_b64 s[6:7], -1
	s_mov_b64 s[4:5], 0
                                        ; implicit-def: $vgpr2_vgpr3
	s_mov_b64 s[80:81], s[72:73]
	s_branch .LBB8_653
.LBB8_576:
	s_mov_b64 s[6:7], -1
	s_mov_b64 s[4:5], 0
	s_mov_b64 s[80:81], s[72:73]
                                        ; implicit-def: $vgpr2_vgpr3
	s_branch .LBB8_618
.LBB8_577:
	s_mov_b64 s[6:7], -1
	s_mov_b64 s[4:5], 0
	s_mov_b64 s[80:81], s[72:73]
                                        ; implicit-def: $vgpr2_vgpr3
	s_branch .LBB8_597
.LBB8_578:
	s_mov_b64 s[6:7], -1
	s_mov_b64 s[4:5], 0
	s_mov_b64 s[80:81], s[72:73]
                                        ; implicit-def: $vgpr2_vgpr3
	s_branch .LBB8_591
.LBB8_579:
	s_andn2_saveexec_b64 s[10:11], s[10:11]
	s_cbranch_execz .LBB8_343
.LBB8_580:
	s_mov_b32 s14, 0x46000000
	v_add_f32_e64 v7, |v6|, s14
	v_and_b32_e32 v7, 0xff, v7
	v_cmp_ne_u32_e32 vcc, 0, v7
	s_andn2_b64 s[8:9], s[8:9], exec
	s_and_b64 s[14:15], vcc, exec
	s_or_b64 s[8:9], s[8:9], s[14:15]
	s_or_b64 exec, exec, s[10:11]
	v_mov_b32_e32 v8, 0
	s_and_saveexec_b64 s[10:11], s[8:9]
	s_cbranch_execnz .LBB8_344
	s_branch .LBB8_345
.LBB8_581:
	s_mov_b64 s[6:7], -1
	s_mov_b64 s[4:5], 0
	s_mov_b64 s[80:81], s[72:73]
                                        ; implicit-def: $vgpr2_vgpr3
	s_branch .LBB8_585
.LBB8_582:
	s_andn2_saveexec_b64 s[10:11], s[10:11]
	s_cbranch_execz .LBB8_356
.LBB8_583:
	s_mov_b32 s14, 0x42800000
	v_add_f32_e64 v7, |v6|, s14
	v_and_b32_e32 v7, 0xff, v7
	v_cmp_ne_u32_e32 vcc, 0, v7
	s_andn2_b64 s[8:9], s[8:9], exec
	s_and_b64 s[14:15], vcc, exec
	s_or_b64 s[8:9], s[8:9], s[14:15]
	s_or_b64 exec, exec, s[10:11]
	v_mov_b32_e32 v8, 0
	s_and_saveexec_b64 s[10:11], s[8:9]
	s_cbranch_execnz .LBB8_357
	s_branch .LBB8_358
.LBB8_584:
	s_mov_b64 s[80:81], -1
                                        ; implicit-def: $vgpr2_vgpr3
	s_mov_b64 s[4:5], 0
.LBB8_585:
	s_and_b64 vcc, exec, s[6:7]
	s_cbranch_vccz .LBB8_590
; %bb.586:
	s_cmp_eq_u32 s10, 44
	s_cbranch_scc0 .LBB8_588
; %bb.587:
	global_load_ubyte v2, v[4:5], off
	s_movk_i32 s6, 0xff
	v_bfrev_b32_e32 v3, 4
	v_mov_b32_e32 v6, 0x7ff80000
	v_bfrev_b32_e32 v7, 28
	s_mov_b64 s[4:5], -1
	s_mov_b64 s[80:81], 0
	s_waitcnt vmcnt(0)
	v_lshlrev_b32_e32 v0, 23, v2
	v_cvt_f64_f32_e32 v[0:1], v0
	v_cmp_ne_u32_e32 vcc, s6, v2
	v_cndmask_b32_e32 v0, v3, v0, vcc
	v_cndmask_b32_e32 v1, v6, v1, vcc
	v_cmp_ne_u32_e32 vcc, 0, v2
	v_cndmask_b32_e32 v1, v7, v1, vcc
	v_cndmask_b32_e32 v0, 0, v0, vcc
	s_branch .LBB8_589
.LBB8_588:
	s_mov_b64 s[80:81], -1
                                        ; implicit-def: $vgpr0_vgpr1
.LBB8_589:
	v_mov_b32_e32 v2, 0
	v_mov_b32_e32 v3, 0
.LBB8_590:
	s_mov_b64 s[6:7], 0
.LBB8_591:
	s_and_b64 vcc, exec, s[6:7]
	s_cbranch_vccz .LBB8_596
; %bb.592:
	s_cmp_eq_u32 s10, 29
	s_cbranch_scc0 .LBB8_594
; %bb.593:
	global_load_dwordx2 v[0:1], v[4:5], off
	s_mov_b64 s[4:5], -1
	s_mov_b64 s[80:81], 0
	s_waitcnt vmcnt(0)
	v_cvt_f64_u32_e32 v[1:2], v1
	v_cvt_f64_u32_e32 v[6:7], v0
	v_ldexp_f64 v[1:2], v[1:2], 32
	v_add_f64 v[0:1], v[1:2], v[6:7]
	s_branch .LBB8_595
.LBB8_594:
	s_mov_b64 s[80:81], -1
                                        ; implicit-def: $vgpr0_vgpr1
.LBB8_595:
	v_mov_b32_e32 v2, 0
	v_mov_b32_e32 v3, 0
.LBB8_596:
	s_mov_b64 s[6:7], 0
.LBB8_597:
	s_and_b64 vcc, exec, s[6:7]
	s_cbranch_vccz .LBB8_617
; %bb.598:
	s_cmp_lt_i32 s10, 27
	s_cbranch_scc1 .LBB8_601
; %bb.599:
	s_cmp_gt_i32 s10, 27
	s_cbranch_scc0 .LBB8_602
; %bb.600:
	global_load_dword v0, v[4:5], off
	s_mov_b64 s[4:5], 0
	s_waitcnt vmcnt(0)
	v_cvt_f64_u32_e32 v[0:1], v0
	s_branch .LBB8_603
.LBB8_601:
	s_mov_b64 s[4:5], -1
                                        ; implicit-def: $vgpr0_vgpr1
	s_branch .LBB8_606
.LBB8_602:
	s_mov_b64 s[4:5], -1
                                        ; implicit-def: $vgpr0_vgpr1
.LBB8_603:
	s_andn2_b64 vcc, exec, s[4:5]
	s_cbranch_vccnz .LBB8_605
; %bb.604:
	global_load_ushort v0, v[4:5], off
	s_waitcnt vmcnt(0)
	v_cvt_f64_u32_e32 v[0:1], v0
.LBB8_605:
	s_mov_b64 s[4:5], 0
.LBB8_606:
	s_andn2_b64 vcc, exec, s[4:5]
	s_cbranch_vccnz .LBB8_616
; %bb.607:
	global_load_ubyte v2, v[4:5], off
	s_movk_i32 s4, 0x7f
	s_waitcnt vmcnt(0)
	v_cmp_lt_i16_e32 vcc, s4, v2
	s_mov_b64 s[4:5], 0
	s_and_saveexec_b64 s[6:7], vcc
	s_xor_b64 s[6:7], exec, s[6:7]
	s_cbranch_execz .LBB8_611
; %bb.608:
	s_movk_i32 s4, 0x80
	v_cmp_eq_u16_e32 vcc, s4, v2
	s_mov_b64 s[4:5], -1
	s_and_saveexec_b64 s[8:9], vcc
; %bb.609:
	s_xor_b64 s[4:5], exec, -1
; %bb.610:
	s_or_b64 exec, exec, s[8:9]
	s_and_b64 s[4:5], s[4:5], exec
.LBB8_611:
	s_or_saveexec_b64 s[6:7], s[6:7]
	v_bfrev_b32_e32 v0, 4
	v_mov_b32_e32 v1, 0x7ff80000
	s_xor_b64 exec, exec, s[6:7]
; %bb.612:
	v_cmp_ne_u16_e32 vcc, 0, v2
	v_mov_b32_e32 v0, 0
	s_andn2_b64 s[4:5], s[4:5], exec
	s_and_b64 s[8:9], vcc, exec
	v_mov_b32_e32 v1, 0
	s_or_b64 s[4:5], s[4:5], s[8:9]
; %bb.613:
	s_or_b64 exec, exec, s[6:7]
	s_and_saveexec_b64 s[6:7], s[4:5]
	s_cbranch_execz .LBB8_615
; %bb.614:
	v_and_b32_e32 v1, 0xffff, v2
	v_lshlrev_b32_e32 v0, 24, v2
	v_and_b32_e32 v2, 7, v1
	v_ffbh_u32_e32 v6, v2
	v_min_u32_e32 v6, 32, v6
	v_subrev_u32_e32 v7, 28, v6
	v_bfe_u32 v3, v1, 3, 4
	v_lshlrev_b32_e32 v1, v7, v1
	v_sub_u32_e32 v6, 29, v6
	v_and_b32_e32 v1, 7, v1
	v_cmp_eq_u32_e32 vcc, 0, v3
	v_cndmask_b32_e32 v3, v3, v6, vcc
	v_cndmask_b32_e32 v1, v2, v1, vcc
	v_mov_b32_e32 v2, 0x3b800000
	v_lshlrev_b32_e32 v1, 20, v1
	v_and_b32_e32 v0, 0x80000000, v0
	v_lshl_add_u32 v2, v3, 23, v2
	v_or3_b32 v0, v0, v2, v1
	v_cvt_f64_f32_e32 v[0:1], v0
.LBB8_615:
	s_or_b64 exec, exec, s[6:7]
.LBB8_616:
	v_mov_b32_e32 v2, 0
	v_mov_b32_e32 v3, 0
	s_mov_b64 s[4:5], -1
.LBB8_617:
	s_mov_b64 s[6:7], 0
.LBB8_618:
	s_and_b64 vcc, exec, s[6:7]
	s_cbranch_vccz .LBB8_652
; %bb.619:
	s_cmp_gt_i32 s10, 22
	s_cbranch_scc0 .LBB8_631
; %bb.620:
	s_cmp_lt_i32 s10, 24
	s_cbranch_scc1 .LBB8_632
; %bb.621:
	s_cmp_gt_i32 s10, 24
	s_cbranch_scc0 .LBB8_633
; %bb.622:
	global_load_ubyte v2, v[4:5], off
	s_movk_i32 s4, 0x7f
	s_waitcnt vmcnt(0)
	v_cmp_lt_i16_e32 vcc, s4, v2
	s_mov_b64 s[4:5], 0
	s_and_saveexec_b64 s[6:7], vcc
	s_xor_b64 s[6:7], exec, s[6:7]
	s_cbranch_execz .LBB8_626
; %bb.623:
	s_movk_i32 s4, 0x80
	v_cmp_eq_u16_e32 vcc, s4, v2
	s_mov_b64 s[4:5], -1
	s_and_saveexec_b64 s[8:9], vcc
; %bb.624:
	s_xor_b64 s[4:5], exec, -1
; %bb.625:
	s_or_b64 exec, exec, s[8:9]
	s_and_b64 s[4:5], s[4:5], exec
.LBB8_626:
	s_or_saveexec_b64 s[6:7], s[6:7]
	v_bfrev_b32_e32 v0, 4
	v_mov_b32_e32 v1, 0x7ff80000
	s_xor_b64 exec, exec, s[6:7]
; %bb.627:
	v_cmp_ne_u16_e32 vcc, 0, v2
	v_mov_b32_e32 v0, 0
	s_andn2_b64 s[4:5], s[4:5], exec
	s_and_b64 s[8:9], vcc, exec
	v_mov_b32_e32 v1, 0
	s_or_b64 s[4:5], s[4:5], s[8:9]
; %bb.628:
	s_or_b64 exec, exec, s[6:7]
	s_and_saveexec_b64 s[6:7], s[4:5]
	s_cbranch_execz .LBB8_630
; %bb.629:
	v_and_b32_e32 v1, 0xffff, v2
	v_lshlrev_b32_e32 v0, 24, v2
	v_and_b32_e32 v2, 3, v1
	v_ffbh_u32_e32 v6, v2
	v_min_u32_e32 v6, 32, v6
	v_subrev_u32_e32 v7, 29, v6
	v_bfe_u32 v3, v1, 2, 5
	v_lshlrev_b32_e32 v1, v7, v1
	v_sub_u32_e32 v6, 30, v6
	v_and_b32_e32 v1, 3, v1
	v_cmp_eq_u32_e32 vcc, 0, v3
	v_cndmask_b32_e32 v3, v3, v6, vcc
	v_cndmask_b32_e32 v1, v2, v1, vcc
	v_mov_b32_e32 v2, 0x37800000
	v_lshlrev_b32_e32 v1, 21, v1
	v_and_b32_e32 v0, 0x80000000, v0
	v_lshl_add_u32 v2, v3, 23, v2
	v_or3_b32 v0, v0, v2, v1
	v_cvt_f64_f32_e32 v[0:1], v0
.LBB8_630:
	s_or_b64 exec, exec, s[6:7]
	s_mov_b64 s[4:5], 0
	s_branch .LBB8_634
.LBB8_631:
	s_mov_b64 s[6:7], -1
                                        ; implicit-def: $vgpr0_vgpr1
	s_branch .LBB8_640
.LBB8_632:
	s_mov_b64 s[4:5], -1
                                        ; implicit-def: $vgpr0_vgpr1
	s_branch .LBB8_637
.LBB8_633:
	s_mov_b64 s[4:5], -1
                                        ; implicit-def: $vgpr0_vgpr1
.LBB8_634:
	s_and_b64 vcc, exec, s[4:5]
	s_cbranch_vccz .LBB8_636
; %bb.635:
	global_load_ubyte v0, v[4:5], off
	s_mov_b32 s4, 0x7f800000
	s_waitcnt vmcnt(0)
	v_lshlrev_b32_e32 v0, 24, v0
	v_and_b32_e32 v1, 0x7f000000, v0
	v_ffbh_u32_e32 v2, v1
	v_min_u32_e32 v2, 32, v2
	v_sub_u32_e64 v2, v2, 4 clamp
	v_lshlrev_b32_e32 v6, v2, v1
	v_lshlrev_b32_e32 v2, 23, v2
	v_lshrrev_b32_e32 v6, 4, v6
	v_add_u32_e32 v3, 0x1000000, v1
	v_sub_u32_e32 v2, v6, v2
	v_ashrrev_i32_e32 v3, 8, v3
	v_add_u32_e32 v2, 0x3c000000, v2
	v_and_or_b32 v2, v3, s4, v2
	v_cmp_ne_u32_e32 vcc, 0, v1
	v_cndmask_b32_e32 v1, 0, v2, vcc
	s_brev_b32 s4, 1
	v_and_or_b32 v0, v0, s4, v1
	v_cvt_f64_f32_e32 v[0:1], v0
.LBB8_636:
	s_mov_b64 s[4:5], 0
.LBB8_637:
	s_andn2_b64 vcc, exec, s[4:5]
	s_cbranch_vccnz .LBB8_639
; %bb.638:
	global_load_ubyte v0, v[4:5], off
	s_movk_i32 s4, 0x7f00
	s_brev_b32 s5, 16
	s_waitcnt vmcnt(0)
	v_lshlrev_b16_e32 v1, 8, v0
	v_lshlrev_b32_e32 v0, 25, v0
	v_lshrrev_b32_e32 v2, 4, v0
	v_and_or_b32 v3, v1, s4, 0.5
	v_or_b32_e32 v2, 0x70000000, v2
	v_add_f32_e32 v3, -0.5, v3
	v_mul_f32_e32 v2, 0x7800000, v2
	v_cmp_gt_u32_e32 vcc, s5, v0
	v_bfe_i32 v1, v1, 0, 16
	v_cndmask_b32_e32 v0, v2, v3, vcc
	s_brev_b32 s4, 1
	v_and_or_b32 v0, v1, s4, v0
	v_cvt_f64_f32_e32 v[0:1], v0
.LBB8_639:
	s_mov_b64 s[6:7], 0
	s_mov_b64 s[4:5], -1
.LBB8_640:
	s_andn2_b64 vcc, exec, s[6:7]
	s_cbranch_vccnz .LBB8_651
; %bb.641:
	s_cmp_gt_i32 s10, 14
	s_cbranch_scc0 .LBB8_644
; %bb.642:
	s_cmp_eq_u32 s10, 15
	s_cbranch_scc0 .LBB8_645
; %bb.643:
	global_load_ushort v0, v[4:5], off
	s_mov_b64 s[4:5], -1
	s_mov_b64 s[80:81], 0
	s_waitcnt vmcnt(0)
	v_lshlrev_b32_e32 v0, 16, v0
	v_cvt_f64_f32_e32 v[0:1], v0
	s_branch .LBB8_646
.LBB8_644:
	s_mov_b64 s[6:7], -1
                                        ; implicit-def: $vgpr0_vgpr1
	s_branch .LBB8_647
.LBB8_645:
	s_mov_b64 s[80:81], -1
                                        ; implicit-def: $vgpr0_vgpr1
.LBB8_646:
	s_mov_b64 s[6:7], 0
.LBB8_647:
	s_and_b64 vcc, exec, s[6:7]
	s_cbranch_vccz .LBB8_651
; %bb.648:
	s_cmp_eq_u32 s10, 11
	s_cbranch_scc0 .LBB8_650
; %bb.649:
	global_load_ubyte v1, v[4:5], off
	v_mov_b32_e32 v2, 0x3ff00000
	v_mov_b32_e32 v0, 0
	s_mov_b64 s[4:5], -1
	s_mov_b64 s[80:81], 0
	s_waitcnt vmcnt(0)
	v_cmp_ne_u16_e32 vcc, 0, v1
	v_cndmask_b32_e32 v1, 0, v2, vcc
	s_branch .LBB8_651
.LBB8_650:
	s_mov_b64 s[80:81], -1
                                        ; implicit-def: $vgpr0_vgpr1
.LBB8_651:
	v_mov_b32_e32 v2, 0
	v_mov_b32_e32 v3, 0
.LBB8_652:
	s_mov_b64 s[6:7], 0
.LBB8_653:
	s_and_b64 vcc, exec, s[6:7]
	s_cbranch_vccz .LBB8_704
; %bb.654:
	s_cmp_lt_i32 s10, 5
	s_cbranch_scc1 .LBB8_659
; %bb.655:
	s_cmp_lt_i32 s10, 8
	s_cbranch_scc1 .LBB8_660
	;; [unrolled: 3-line block ×3, first 2 shown]
; %bb.657:
	s_cmp_gt_i32 s10, 9
	s_cbranch_scc0 .LBB8_662
; %bb.658:
	global_load_dwordx4 v[0:3], v[4:5], off
	s_mov_b64 s[4:5], 0
	s_branch .LBB8_663
.LBB8_659:
	s_mov_b64 s[4:5], -1
                                        ; implicit-def: $vgpr2_vgpr3
	s_branch .LBB8_682
.LBB8_660:
	s_mov_b64 s[4:5], -1
                                        ; implicit-def: $vgpr2_vgpr3
	s_branch .LBB8_669
.LBB8_661:
	s_mov_b64 s[4:5], -1
                                        ; implicit-def: $vgpr2_vgpr3
	s_branch .LBB8_666
.LBB8_662:
	s_mov_b64 s[4:5], -1
                                        ; implicit-def: $vgpr2_vgpr3
.LBB8_663:
	s_andn2_b64 vcc, exec, s[4:5]
	s_cbranch_vccnz .LBB8_665
; %bb.664:
	global_load_dwordx2 v[1:2], v[4:5], off
	s_waitcnt vmcnt(0)
	v_cvt_f64_f32_e32 v[0:1], v1
	v_cvt_f64_f32_e32 v[2:3], v2
.LBB8_665:
	s_mov_b64 s[4:5], 0
.LBB8_666:
	s_andn2_b64 vcc, exec, s[4:5]
	s_cbranch_vccnz .LBB8_668
; %bb.667:
	global_load_dword v0, v[4:5], off
	s_waitcnt vmcnt(0)
	v_cvt_f32_f16_e32 v1, v0
	v_cvt_f32_f16_sdwa v2, v0 dst_sel:DWORD dst_unused:UNUSED_PAD src0_sel:WORD_1
	v_cvt_f64_f32_e32 v[0:1], v1
	v_cvt_f64_f32_e32 v[2:3], v2
.LBB8_668:
	s_mov_b64 s[4:5], 0
.LBB8_669:
	s_andn2_b64 vcc, exec, s[4:5]
	s_cbranch_vccnz .LBB8_681
; %bb.670:
	s_cmp_lt_i32 s10, 6
	s_cbranch_scc1 .LBB8_673
; %bb.671:
	s_cmp_gt_i32 s10, 6
	s_cbranch_scc0 .LBB8_674
; %bb.672:
	global_load_dwordx2 v[0:1], v[4:5], off
	s_mov_b64 s[4:5], 0
	s_branch .LBB8_675
.LBB8_673:
	s_mov_b64 s[4:5], -1
                                        ; implicit-def: $vgpr0_vgpr1
	s_branch .LBB8_678
.LBB8_674:
	s_mov_b64 s[4:5], -1
                                        ; implicit-def: $vgpr0_vgpr1
.LBB8_675:
	s_andn2_b64 vcc, exec, s[4:5]
	s_cbranch_vccnz .LBB8_677
; %bb.676:
	global_load_dword v0, v[4:5], off
	s_waitcnt vmcnt(0)
	v_cvt_f64_f32_e32 v[0:1], v0
.LBB8_677:
	s_mov_b64 s[4:5], 0
.LBB8_678:
	s_andn2_b64 vcc, exec, s[4:5]
	s_cbranch_vccnz .LBB8_680
; %bb.679:
	global_load_ushort v0, v[4:5], off
	s_waitcnt vmcnt(0)
	v_cvt_f32_f16_e32 v0, v0
	v_cvt_f64_f32_e32 v[0:1], v0
.LBB8_680:
	s_waitcnt vmcnt(0)
	v_mov_b32_e32 v2, 0
	v_mov_b32_e32 v3, 0
.LBB8_681:
	s_mov_b64 s[4:5], 0
.LBB8_682:
	s_andn2_b64 vcc, exec, s[4:5]
	s_cbranch_vccnz .LBB8_703
; %bb.683:
	s_cmp_lt_i32 s10, 2
	s_cbranch_scc1 .LBB8_687
; %bb.684:
	s_cmp_lt_i32 s10, 3
	s_cbranch_scc1 .LBB8_688
; %bb.685:
	s_cmp_gt_i32 s10, 3
	s_cbranch_scc0 .LBB8_689
; %bb.686:
	global_load_dwordx2 v[0:1], v[4:5], off
	s_mov_b64 s[4:5], 0
	s_waitcnt vmcnt(0)
	v_cvt_f64_i32_e32 v[1:2], v1
	v_cvt_f64_u32_e32 v[6:7], v0
	v_ldexp_f64 v[1:2], v[1:2], 32
	v_add_f64 v[0:1], v[1:2], v[6:7]
	s_branch .LBB8_690
.LBB8_687:
	s_mov_b64 s[4:5], -1
                                        ; implicit-def: $vgpr0_vgpr1
	s_branch .LBB8_696
.LBB8_688:
	s_mov_b64 s[4:5], -1
                                        ; implicit-def: $vgpr0_vgpr1
	s_branch .LBB8_693
.LBB8_689:
	s_mov_b64 s[4:5], -1
                                        ; implicit-def: $vgpr0_vgpr1
.LBB8_690:
	s_andn2_b64 vcc, exec, s[4:5]
	s_cbranch_vccnz .LBB8_692
; %bb.691:
	global_load_dword v0, v[4:5], off
	s_waitcnt vmcnt(0)
	v_cvt_f64_i32_e32 v[0:1], v0
.LBB8_692:
	s_mov_b64 s[4:5], 0
.LBB8_693:
	s_andn2_b64 vcc, exec, s[4:5]
	s_cbranch_vccnz .LBB8_695
; %bb.694:
	global_load_sshort v0, v[4:5], off
	s_waitcnt vmcnt(0)
	v_cvt_f64_i32_e32 v[0:1], v0
.LBB8_695:
	s_mov_b64 s[4:5], 0
.LBB8_696:
	s_andn2_b64 vcc, exec, s[4:5]
	s_cbranch_vccnz .LBB8_702
; %bb.697:
	s_cmp_gt_i32 s10, 0
	s_cbranch_scc0 .LBB8_699
; %bb.698:
	global_load_sbyte v0, v[4:5], off
	s_mov_b64 s[4:5], 0
	s_waitcnt vmcnt(0)
	v_cvt_f64_i32_e32 v[0:1], v0
	s_branch .LBB8_700
.LBB8_699:
	s_mov_b64 s[4:5], -1
                                        ; implicit-def: $vgpr0_vgpr1
.LBB8_700:
	s_andn2_b64 vcc, exec, s[4:5]
	s_cbranch_vccnz .LBB8_702
; %bb.701:
	global_load_ubyte v0, v[4:5], off
	s_waitcnt vmcnt(0)
	v_cvt_f64_u32_e32 v[0:1], v0
.LBB8_702:
	s_waitcnt vmcnt(0)
	v_mov_b32_e32 v2, 0
	v_mov_b32_e32 v3, 0
.LBB8_703:
	s_mov_b64 s[4:5], -1
.LBB8_704:
	s_andn2_b64 vcc, exec, s[4:5]
	s_cbranch_vccnz .LBB8_712
; %bb.705:
	s_getpc_b64 s[4:5]
	s_add_u32 s4, s4, _ZZZZN2at6native16asin_kernel_cudaERNS_18TensorIteratorBaseEENKUlvE_clEvENKUlvE_clEvENKUlN3c107complexIdEEE_clES7_@rel32@lo+4
	s_addc_u32 s5, s5, _ZZZZN2at6native16asin_kernel_cudaERNS_18TensorIteratorBaseEENKUlvE_clEvENKUlvE_clEvENKUlN3c107complexIdEEE_clES7_@rel32@hi+12
	s_swappc_b64 s[30:31], s[4:5]
	v_mov_b32_e32 v5, s37
	s_and_b32 s12, s83, 0xff
	v_add_co_u32_e32 v4, vcc, s36, v39
	s_cmp_lt_i32 s12, 11
	v_addc_co_u32_e32 v5, vcc, 0, v5, vcc
	s_cbranch_scc1 .LBB8_713
; %bb.706:
	s_and_b32 s13, 0xffff, s12
	s_cmp_gt_i32 s13, 25
	s_cbranch_scc0 .LBB8_714
; %bb.707:
	s_cmp_gt_i32 s13, 28
	s_cbranch_scc0 .LBB8_715
; %bb.708:
	s_cmp_gt_i32 s13, 43
	s_cbranch_scc0 .LBB8_716
; %bb.709:
	s_cmp_gt_i32 s13, 45
	s_cbranch_scc0 .LBB8_717
; %bb.710:
	s_mov_b64 s[8:9], 0
	s_mov_b64 s[6:7], -1
	s_cmp_eq_u32 s13, 46
	s_mov_b64 s[4:5], 0
	s_cbranch_scc0 .LBB8_718
; %bb.711:
	v_cvt_f32_f64_e32 v7, v[2:3]
	v_cvt_f32_f64_e32 v6, v[0:1]
	s_movk_i32 s4, 0x7fff
	v_mov_b32_e32 v10, 0x7fc00000
	v_bfe_u32 v9, v7, 16, 1
	v_add3_u32 v9, v7, v9, s4
	v_bfe_u32 v8, v6, 16, 1
	v_and_b32_e32 v9, 0xffff0000, v9
	v_cmp_o_f32_e32 vcc, v7, v7
	v_add3_u32 v8, v6, v8, s4
	v_cndmask_b32_e32 v7, v10, v9, vcc
	v_cmp_o_f32_e32 vcc, v6, v6
	v_mov_b32_e32 v6, 0x7fc0
	v_cndmask_b32_sdwa v6, v6, v8, vcc dst_sel:DWORD dst_unused:UNUSED_PAD src0_sel:DWORD src1_sel:WORD_1
	v_or_b32_e32 v6, v7, v6
	global_store_dword v[4:5], v6, off
	s_mov_b64 s[4:5], -1
	s_mov_b64 s[6:7], 0
	s_branch .LBB8_718
.LBB8_712:
	s_mov_b64 s[4:5], 0
	s_mov_b64 s[6:7], s[74:75]
	s_branch .LBB8_829
.LBB8_713:
	s_mov_b64 s[8:9], -1
	s_mov_b64 s[4:5], 0
	s_mov_b64 s[6:7], s[74:75]
	s_branch .LBB8_787
.LBB8_714:
	s_mov_b64 s[8:9], -1
	s_mov_b64 s[4:5], 0
	s_mov_b64 s[6:7], s[74:75]
	s_branch .LBB8_745
.LBB8_715:
	s_mov_b64 s[8:9], -1
	s_mov_b64 s[4:5], 0
	s_mov_b64 s[6:7], s[74:75]
	s_branch .LBB8_728
.LBB8_716:
	s_mov_b64 s[8:9], -1
	s_mov_b64 s[4:5], 0
	s_mov_b64 s[6:7], s[74:75]
	s_branch .LBB8_724
.LBB8_717:
	s_mov_b64 s[8:9], -1
	s_mov_b64 s[4:5], 0
	s_mov_b64 s[6:7], s[74:75]
.LBB8_718:
	s_and_b64 vcc, exec, s[8:9]
	s_cbranch_vccz .LBB8_723
; %bb.719:
	s_cmp_eq_u32 s13, 44
	s_mov_b64 s[6:7], -1
	s_cbranch_scc0 .LBB8_723
; %bb.720:
	v_cvt_f32_f64_e32 v6, v[0:1]
	s_movk_i32 s4, 0xff
	v_mov_b32_e32 v8, 0xff
	v_bfe_u32 v7, v6, 23, 8
	v_cmp_ne_u32_e32 vcc, s4, v7
	s_and_saveexec_b64 s[6:7], vcc
; %bb.721:
	s_mov_b32 s4, 0x3fffff
	v_lshrrev_b32_e32 v8, 23, v6
	v_and_b32_e32 v9, 0x400000, v6
	v_and_or_b32 v6, v6, s4, v7
	v_cmp_ne_u32_e32 vcc, 0, v9
	v_cmp_ne_u32_e64 s[4:5], 0, v6
	s_and_b64 s[4:5], vcc, s[4:5]
	v_cndmask_b32_e64 v6, 0, 1, s[4:5]
	v_add_u32_e32 v8, v8, v6
; %bb.722:
	s_or_b64 exec, exec, s[6:7]
	s_mov_b64 s[4:5], -1
	s_mov_b64 s[6:7], 0
	global_store_byte v[4:5], v8, off
.LBB8_723:
	s_mov_b64 s[8:9], 0
.LBB8_724:
	s_and_b64 vcc, exec, s[8:9]
	s_cbranch_vccz .LBB8_727
; %bb.725:
	s_cmp_eq_u32 s13, 29
	s_mov_b64 s[6:7], -1
	s_cbranch_scc0 .LBB8_727
; %bb.726:
	v_trunc_f64_e32 v[6:7], v[0:1]
	s_movk_i32 s4, 0xffe0
	s_mov_b64 s[6:7], 0
	s_mov_b64 s[8:9], 0
	v_ldexp_f64 v[8:9], v[6:7], s4
	s_mov_b32 s4, 0
	s_mov_b32 s5, 0xc1f00000
	v_floor_f64_e32 v[8:9], v[8:9]
	v_fma_f64 v[6:7], v[8:9], s[4:5], v[6:7]
	v_cvt_u32_f64_e32 v8, v[8:9]
	s_mov_b64 s[4:5], -1
	v_cvt_u32_f64_e32 v7, v[6:7]
	global_store_dwordx2 v[4:5], v[7:8], off
	s_branch .LBB8_728
.LBB8_727:
	s_mov_b64 s[8:9], 0
.LBB8_728:
	s_and_b64 vcc, exec, s[8:9]
	s_cbranch_vccz .LBB8_744
; %bb.729:
	s_cmp_lt_i32 s13, 27
	s_mov_b64 s[4:5], -1
	s_cbranch_scc1 .LBB8_735
; %bb.730:
	v_cvt_u32_f64_e32 v6, v[0:1]
	s_cmp_gt_i32 s13, 27
	s_cbranch_scc0 .LBB8_732
; %bb.731:
	s_mov_b64 s[4:5], 0
	global_store_dword v[4:5], v6, off
.LBB8_732:
	s_andn2_b64 vcc, exec, s[4:5]
	s_cbranch_vccnz .LBB8_734
; %bb.733:
	global_store_short v[4:5], v6, off
.LBB8_734:
	s_mov_b64 s[4:5], 0
.LBB8_735:
	s_andn2_b64 vcc, exec, s[4:5]
	s_cbranch_vccnz .LBB8_743
; %bb.736:
	v_cvt_f32_f64_e32 v6, v[0:1]
	s_mov_b32 s4, 0x43800000
	v_mov_b32_e32 v8, 0x80
	v_and_b32_e32 v7, 0x7fffffff, v6
	v_cmp_gt_u32_e32 vcc, s4, v7
	s_and_saveexec_b64 s[4:5], vcc
	s_cbranch_execz .LBB8_742
; %bb.737:
	s_mov_b32 s8, 0x3bffffff
	v_cmp_lt_u32_e32 vcc, s8, v7
	s_mov_b64 s[8:9], 0
                                        ; implicit-def: $vgpr7
	s_and_saveexec_b64 s[10:11], vcc
	s_xor_b64 s[10:11], exec, s[10:11]
	s_cbranch_execz .LBB8_859
; %bb.738:
	v_bfe_u32 v7, v6, 20, 1
	s_mov_b32 s14, 0x487ffff
	v_add3_u32 v7, v6, v7, s14
	s_mov_b64 s[8:9], exec
	v_lshrrev_b32_e32 v7, 20, v7
	s_andn2_saveexec_b64 s[10:11], s[10:11]
	s_cbranch_execnz .LBB8_860
.LBB8_739:
	s_or_b64 exec, exec, s[10:11]
	v_mov_b32_e32 v8, 0
	s_and_saveexec_b64 s[10:11], s[8:9]
.LBB8_740:
	v_lshrrev_b32_e32 v6, 24, v6
	s_movk_i32 s8, 0x80
	v_and_or_b32 v8, v6, s8, v7
.LBB8_741:
	s_or_b64 exec, exec, s[10:11]
.LBB8_742:
	s_or_b64 exec, exec, s[4:5]
	global_store_byte v[4:5], v8, off
.LBB8_743:
	s_mov_b64 s[4:5], -1
.LBB8_744:
	s_mov_b64 s[8:9], 0
.LBB8_745:
	s_and_b64 vcc, exec, s[8:9]
	s_cbranch_vccz .LBB8_786
; %bb.746:
	s_cmp_gt_i32 s13, 22
	s_mov_b64 s[8:9], -1
	s_cbranch_scc0 .LBB8_778
; %bb.747:
	s_cmp_lt_i32 s13, 24
	s_mov_b64 s[4:5], -1
	s_cbranch_scc1 .LBB8_767
; %bb.748:
	s_cmp_gt_i32 s13, 24
	s_cbranch_scc0 .LBB8_756
; %bb.749:
	v_cvt_f32_f64_e32 v6, v[0:1]
	s_mov_b32 s4, 0x47800000
	v_mov_b32_e32 v8, 0x80
	v_and_b32_e32 v7, 0x7fffffff, v6
	v_cmp_gt_u32_e32 vcc, s4, v7
	s_and_saveexec_b64 s[4:5], vcc
	s_cbranch_execz .LBB8_755
; %bb.750:
	s_mov_b32 s8, 0x37ffffff
	v_cmp_lt_u32_e32 vcc, s8, v7
	s_mov_b64 s[8:9], 0
                                        ; implicit-def: $vgpr7
	s_and_saveexec_b64 s[10:11], vcc
	s_xor_b64 s[10:11], exec, s[10:11]
	s_cbranch_execz .LBB8_862
; %bb.751:
	v_bfe_u32 v7, v6, 21, 1
	s_mov_b32 s14, 0x88fffff
	v_add3_u32 v7, v6, v7, s14
	s_mov_b64 s[8:9], exec
	v_lshrrev_b32_e32 v7, 21, v7
	s_andn2_saveexec_b64 s[10:11], s[10:11]
	s_cbranch_execnz .LBB8_863
.LBB8_752:
	s_or_b64 exec, exec, s[10:11]
	v_mov_b32_e32 v8, 0
	s_and_saveexec_b64 s[10:11], s[8:9]
.LBB8_753:
	v_lshrrev_b32_e32 v6, 24, v6
	s_movk_i32 s8, 0x80
	v_and_or_b32 v8, v6, s8, v7
.LBB8_754:
	s_or_b64 exec, exec, s[10:11]
.LBB8_755:
	s_or_b64 exec, exec, s[4:5]
	s_mov_b64 s[4:5], 0
	global_store_byte v[4:5], v8, off
.LBB8_756:
	s_and_b64 vcc, exec, s[4:5]
	s_cbranch_vccz .LBB8_766
; %bb.757:
	v_cvt_f32_f64_e32 v6, v[0:1]
	s_mov_b32 s4, 0x43f00000
                                        ; implicit-def: $vgpr7
	v_and_b32_e32 v8, 0x7fffffff, v6
	v_cmp_gt_u32_e32 vcc, s4, v8
	s_and_saveexec_b64 s[4:5], vcc
	s_xor_b64 s[4:5], exec, s[4:5]
	s_cbranch_execz .LBB8_763
; %bb.758:
	s_mov_b32 s8, 0x3c7fffff
	v_cmp_lt_u32_e32 vcc, s8, v8
                                        ; implicit-def: $vgpr7
	s_and_saveexec_b64 s[8:9], vcc
	s_xor_b64 s[8:9], exec, s[8:9]
; %bb.759:
	v_bfe_u32 v7, v6, 20, 1
	s_mov_b32 s10, 0x407ffff
	v_add3_u32 v7, v6, v7, s10
	v_lshrrev_b32_e32 v8, 20, v7
	v_and_b32_e32 v7, 0xff00000, v7
	s_mov_b32 s10, 0x7f00000
	v_mov_b32_e32 v9, 0x7e
	v_cmp_ne_u32_e32 vcc, s10, v7
	v_cndmask_b32_e32 v7, v9, v8, vcc
; %bb.760:
	s_andn2_saveexec_b64 s[8:9], s[8:9]
; %bb.761:
	s_mov_b32 s10, 0x46800000
	v_add_f32_e64 v7, |v6|, s10
; %bb.762:
	s_or_b64 exec, exec, s[8:9]
                                        ; implicit-def: $vgpr8
.LBB8_763:
	s_andn2_saveexec_b64 s[4:5], s[4:5]
; %bb.764:
	s_mov_b32 s8, 0x7f800000
	v_mov_b32_e32 v7, 0x7e
	v_mov_b32_e32 v9, 0x7f
	v_cmp_lt_u32_e32 vcc, s8, v8
	v_cndmask_b32_e32 v7, v7, v9, vcc
; %bb.765:
	s_or_b64 exec, exec, s[4:5]
	v_lshrrev_b32_e32 v6, 24, v6
	s_movk_i32 s4, 0x80
	v_and_or_b32 v6, v6, s4, v7
	global_store_byte v[4:5], v6, off
.LBB8_766:
	s_mov_b64 s[4:5], 0
.LBB8_767:
	s_andn2_b64 vcc, exec, s[4:5]
	s_cbranch_vccnz .LBB8_777
; %bb.768:
	v_cvt_f32_f64_e32 v6, v[0:1]
	s_mov_b32 s4, 0x47800000
                                        ; implicit-def: $vgpr7
	v_and_b32_e32 v8, 0x7fffffff, v6
	v_cmp_gt_u32_e32 vcc, s4, v8
	s_and_saveexec_b64 s[4:5], vcc
	s_xor_b64 s[4:5], exec, s[4:5]
	s_cbranch_execz .LBB8_774
; %bb.769:
	s_mov_b32 s8, 0x387fffff
	v_cmp_lt_u32_e32 vcc, s8, v8
                                        ; implicit-def: $vgpr7
	s_and_saveexec_b64 s[8:9], vcc
	s_xor_b64 s[8:9], exec, s[8:9]
; %bb.770:
	v_bfe_u32 v7, v6, 21, 1
	s_mov_b32 s10, 0x80fffff
	v_add3_u32 v7, v6, v7, s10
	v_lshrrev_b32_e32 v7, 21, v7
; %bb.771:
	s_andn2_saveexec_b64 s[8:9], s[8:9]
; %bb.772:
	s_mov_b32 s10, 0x43000000
	v_add_f32_e64 v7, |v6|, s10
; %bb.773:
	s_or_b64 exec, exec, s[8:9]
                                        ; implicit-def: $vgpr8
.LBB8_774:
	s_andn2_saveexec_b64 s[4:5], s[4:5]
; %bb.775:
	s_mov_b32 s8, 0x7f800000
	v_mov_b32_e32 v7, 0x7c
	v_mov_b32_e32 v9, 0x7f
	v_cmp_lt_u32_e32 vcc, s8, v8
	v_cndmask_b32_e32 v7, v7, v9, vcc
; %bb.776:
	s_or_b64 exec, exec, s[4:5]
	v_lshrrev_b32_e32 v6, 24, v6
	s_movk_i32 s4, 0x80
	v_and_or_b32 v6, v6, s4, v7
	global_store_byte v[4:5], v6, off
.LBB8_777:
	s_mov_b64 s[8:9], 0
	s_mov_b64 s[4:5], -1
.LBB8_778:
	s_andn2_b64 vcc, exec, s[8:9]
	s_cbranch_vccnz .LBB8_786
; %bb.779:
	s_cmp_gt_i32 s13, 14
	s_mov_b64 s[8:9], -1
	s_cbranch_scc0 .LBB8_783
; %bb.780:
	s_cmp_eq_u32 s13, 15
	s_mov_b64 s[6:7], -1
	s_cbranch_scc0 .LBB8_782
; %bb.781:
	v_cvt_f32_f64_e32 v6, v[0:1]
	s_movk_i32 s4, 0x7fff
	v_mov_b32_e32 v7, 0x7fc0
	s_mov_b64 s[6:7], 0
	v_bfe_u32 v8, v6, 16, 1
	v_cmp_o_f32_e32 vcc, v6, v6
	v_add3_u32 v6, v6, v8, s4
	v_cndmask_b32_sdwa v6, v7, v6, vcc dst_sel:DWORD dst_unused:UNUSED_PAD src0_sel:DWORD src1_sel:WORD_1
	global_store_short v[4:5], v6, off
	s_mov_b64 s[4:5], -1
.LBB8_782:
	s_mov_b64 s[8:9], 0
.LBB8_783:
	s_and_b64 vcc, exec, s[8:9]
	s_cbranch_vccz .LBB8_786
; %bb.784:
	s_cmp_eq_u32 s13, 11
	s_mov_b64 s[6:7], -1
	s_cbranch_scc0 .LBB8_786
; %bb.785:
	v_cmp_neq_f64_e32 vcc, 0, v[0:1]
	v_cmp_neq_f64_e64 s[4:5], 0, v[2:3]
	s_mov_b64 s[6:7], 0
	s_or_b64 s[4:5], vcc, s[4:5]
	v_cndmask_b32_e64 v6, 0, 1, s[4:5]
	s_mov_b64 s[4:5], -1
	global_store_byte v[4:5], v6, off
.LBB8_786:
	s_mov_b64 s[8:9], 0
.LBB8_787:
	s_and_b64 vcc, exec, s[8:9]
	s_cbranch_vccz .LBB8_826
; %bb.788:
	s_and_b32 s8, 0xffff, s12
	s_cmp_lt_i32 s8, 5
	s_mov_b64 s[4:5], -1
	s_cbranch_scc1 .LBB8_809
; %bb.789:
	s_cmp_lt_i32 s8, 8
	s_cbranch_scc1 .LBB8_799
; %bb.790:
	s_cmp_lt_i32 s8, 9
	s_cbranch_scc1 .LBB8_796
; %bb.791:
	s_cmp_gt_i32 s8, 9
	s_cbranch_scc0 .LBB8_793
; %bb.792:
	s_mov_b64 s[4:5], 0
	global_store_dwordx4 v[4:5], v[0:3], off
.LBB8_793:
	s_andn2_b64 vcc, exec, s[4:5]
	s_cbranch_vccnz .LBB8_795
; %bb.794:
	v_cvt_f32_f64_e32 v6, v[0:1]
	v_cvt_f32_f64_e32 v7, v[2:3]
	global_store_dwordx2 v[4:5], v[6:7], off
.LBB8_795:
	s_mov_b64 s[4:5], 0
.LBB8_796:
	s_andn2_b64 vcc, exec, s[4:5]
	s_cbranch_vccnz .LBB8_798
; %bb.797:
	s_movk_i32 s4, 0x1ff
	v_and_or_b32 v6, v1, s4, v0
	v_cmp_ne_u32_e32 vcc, 0, v6
	v_cndmask_b32_e64 v6, 0, 1, vcc
	v_lshrrev_b32_e32 v7, 8, v1
	s_movk_i32 s5, 0xffe
	v_bfe_u32 v8, v1, 20, 11
	v_and_or_b32 v6, v7, s5, v6
	v_sub_u32_e32 v9, 0x3f1, v8
	v_or_b32_e32 v7, 0x1000, v6
	v_med3_i32 v9, v9, 0, 13
	v_lshrrev_b32_e32 v10, v9, v7
	v_lshlrev_b32_e32 v9, v9, v10
	v_cmp_ne_u32_e32 vcc, v9, v7
	v_cndmask_b32_e64 v7, 0, 1, vcc
	v_add_u32_e32 v8, 0xfffffc10, v8
	v_or_b32_e32 v7, v10, v7
	v_lshl_or_b32 v9, v8, 12, v6
	v_cmp_gt_i32_e32 vcc, 1, v8
	v_cndmask_b32_e32 v7, v9, v7, vcc
	v_and_b32_e32 v9, 7, v7
	v_cmp_lt_i32_e32 vcc, 5, v9
	v_cndmask_b32_e64 v10, 0, 1, vcc
	v_cmp_eq_u32_e32 vcc, 3, v9
	v_cndmask_b32_e64 v9, 0, 1, vcc
	v_or_b32_e32 v9, v9, v10
	v_lshrrev_b32_e32 v7, 2, v7
	v_add_u32_e32 v7, v7, v9
	v_mov_b32_e32 v9, 0x7c00
	v_cmp_gt_i32_e32 vcc, 31, v8
	v_cndmask_b32_e32 v7, v9, v7, vcc
	v_mov_b32_e32 v10, 0x7e00
	v_cmp_ne_u32_e32 vcc, 0, v6
	s_movk_i32 s9, 0x40f
	v_cndmask_b32_e32 v6, v9, v10, vcc
	v_cmp_eq_u32_e32 vcc, s9, v8
	v_and_or_b32 v2, v3, s4, v2
	v_cndmask_b32_e32 v6, v7, v6, vcc
	v_lshrrev_b32_e32 v7, 16, v1
	s_mov_b32 s10, 0x8000
	v_cmp_ne_u32_e32 vcc, 0, v2
	v_and_or_b32 v6, v7, s10, v6
	v_cndmask_b32_e64 v2, 0, 1, vcc
	v_lshrrev_b32_e32 v7, 8, v3
	v_bfe_u32 v8, v3, 20, 11
	v_and_or_b32 v2, v7, s5, v2
	v_sub_u32_e32 v11, 0x3f1, v8
	v_or_b32_e32 v7, 0x1000, v2
	v_med3_i32 v11, v11, 0, 13
	v_lshrrev_b32_e32 v12, v11, v7
	v_lshlrev_b32_e32 v11, v11, v12
	v_cmp_ne_u32_e32 vcc, v11, v7
	v_cndmask_b32_e64 v7, 0, 1, vcc
	v_add_u32_e32 v8, 0xfffffc10, v8
	v_or_b32_e32 v7, v12, v7
	v_lshl_or_b32 v11, v8, 12, v2
	v_cmp_gt_i32_e32 vcc, 1, v8
	v_cndmask_b32_e32 v7, v11, v7, vcc
	v_and_b32_e32 v11, 7, v7
	v_cmp_lt_i32_e32 vcc, 5, v11
	v_cndmask_b32_e64 v12, 0, 1, vcc
	v_cmp_eq_u32_e32 vcc, 3, v11
	v_cndmask_b32_e64 v11, 0, 1, vcc
	v_or_b32_e32 v11, v11, v12
	v_lshrrev_b32_e32 v7, 2, v7
	v_add_u32_e32 v7, v7, v11
	v_cmp_gt_i32_e32 vcc, 31, v8
	v_cndmask_b32_e32 v7, v9, v7, vcc
	v_cmp_ne_u32_e32 vcc, 0, v2
	v_cndmask_b32_e32 v2, v9, v10, vcc
	v_cmp_eq_u32_e32 vcc, s9, v8
	v_cndmask_b32_e32 v2, v7, v2, vcc
	v_lshrrev_b32_e32 v3, 16, v3
	v_and_or_b32 v2, v3, s10, v2
	v_and_b32_e32 v3, 0xffff, v6
	v_lshl_or_b32 v2, v2, 16, v3
	global_store_dword v[4:5], v2, off
.LBB8_798:
	s_mov_b64 s[4:5], 0
.LBB8_799:
	s_andn2_b64 vcc, exec, s[4:5]
	s_cbranch_vccnz .LBB8_808
; %bb.800:
	s_cmp_lt_i32 s8, 6
	s_mov_b64 s[4:5], -1
	s_cbranch_scc1 .LBB8_806
; %bb.801:
	s_cmp_gt_i32 s8, 6
	s_cbranch_scc0 .LBB8_803
; %bb.802:
	s_mov_b64 s[4:5], 0
	global_store_dwordx2 v[4:5], v[0:1], off
.LBB8_803:
	s_andn2_b64 vcc, exec, s[4:5]
	s_cbranch_vccnz .LBB8_805
; %bb.804:
	v_cvt_f32_f64_e32 v2, v[0:1]
	global_store_dword v[4:5], v2, off
.LBB8_805:
	s_mov_b64 s[4:5], 0
.LBB8_806:
	s_andn2_b64 vcc, exec, s[4:5]
	s_cbranch_vccnz .LBB8_808
; %bb.807:
	s_movk_i32 s4, 0x1ff
	v_and_or_b32 v2, v1, s4, v0
	v_cmp_ne_u32_e32 vcc, 0, v2
	v_cndmask_b32_e64 v2, 0, 1, vcc
	v_lshrrev_b32_e32 v3, 8, v1
	s_movk_i32 s4, 0xffe
	v_bfe_u32 v6, v1, 20, 11
	v_and_or_b32 v2, v3, s4, v2
	v_sub_u32_e32 v7, 0x3f1, v6
	v_or_b32_e32 v3, 0x1000, v2
	v_med3_i32 v7, v7, 0, 13
	v_lshrrev_b32_e32 v8, v7, v3
	v_lshlrev_b32_e32 v7, v7, v8
	v_cmp_ne_u32_e32 vcc, v7, v3
	v_cndmask_b32_e64 v3, 0, 1, vcc
	v_add_u32_e32 v6, 0xfffffc10, v6
	v_or_b32_e32 v3, v8, v3
	v_lshl_or_b32 v7, v6, 12, v2
	v_cmp_gt_i32_e32 vcc, 1, v6
	v_cndmask_b32_e32 v3, v7, v3, vcc
	v_and_b32_e32 v7, 7, v3
	v_cmp_lt_i32_e32 vcc, 5, v7
	v_cndmask_b32_e64 v8, 0, 1, vcc
	v_cmp_eq_u32_e32 vcc, 3, v7
	v_cndmask_b32_e64 v7, 0, 1, vcc
	v_or_b32_e32 v7, v7, v8
	v_lshrrev_b32_e32 v3, 2, v3
	v_add_u32_e32 v3, v3, v7
	v_mov_b32_e32 v7, 0x7c00
	v_cmp_gt_i32_e32 vcc, 31, v6
	v_cndmask_b32_e32 v3, v7, v3, vcc
	v_mov_b32_e32 v8, 0x7e00
	v_cmp_ne_u32_e32 vcc, 0, v2
	s_movk_i32 s4, 0x40f
	v_cndmask_b32_e32 v2, v7, v8, vcc
	v_cmp_eq_u32_e32 vcc, s4, v6
	v_cndmask_b32_e32 v2, v3, v2, vcc
	v_lshrrev_b32_e32 v3, 16, v1
	s_mov_b32 s4, 0x8000
	v_and_or_b32 v2, v3, s4, v2
	global_store_short v[4:5], v2, off
.LBB8_808:
	s_mov_b64 s[4:5], 0
.LBB8_809:
	s_andn2_b64 vcc, exec, s[4:5]
	s_cbranch_vccnz .LBB8_825
; %bb.810:
	s_cmp_lt_i32 s8, 2
	s_mov_b64 s[4:5], -1
	s_cbranch_scc1 .LBB8_820
; %bb.811:
	s_cmp_lt_i32 s8, 3
	s_cbranch_scc1 .LBB8_817
; %bb.812:
	s_cmp_gt_i32 s8, 3
	s_cbranch_scc0 .LBB8_814
; %bb.813:
	v_trunc_f64_e32 v[2:3], v[0:1]
	s_movk_i32 s4, 0xffe0
	v_ldexp_f64 v[6:7], v[2:3], s4
	s_mov_b32 s4, 0
	s_mov_b32 s5, 0xc1f00000
	v_floor_f64_e32 v[6:7], v[6:7]
	v_fma_f64 v[2:3], v[6:7], s[4:5], v[2:3]
	v_cvt_i32_f64_e32 v7, v[6:7]
	s_mov_b64 s[4:5], 0
	v_cvt_u32_f64_e32 v6, v[2:3]
	global_store_dwordx2 v[4:5], v[6:7], off
.LBB8_814:
	s_andn2_b64 vcc, exec, s[4:5]
	s_cbranch_vccnz .LBB8_816
; %bb.815:
	v_cvt_i32_f64_e32 v2, v[0:1]
	global_store_dword v[4:5], v2, off
.LBB8_816:
	s_mov_b64 s[4:5], 0
.LBB8_817:
	s_andn2_b64 vcc, exec, s[4:5]
	s_cbranch_vccnz .LBB8_819
; %bb.818:
	v_cvt_i32_f64_e32 v2, v[0:1]
	global_store_short v[4:5], v2, off
.LBB8_819:
	s_mov_b64 s[4:5], 0
.LBB8_820:
	s_andn2_b64 vcc, exec, s[4:5]
	s_cbranch_vccnz .LBB8_825
; %bb.821:
	s_cmp_gt_i32 s8, 0
	s_mov_b64 s[4:5], -1
	s_cbranch_scc0 .LBB8_823
; %bb.822:
	v_cvt_i32_f64_e32 v2, v[0:1]
	s_mov_b64 s[4:5], 0
	global_store_byte v[4:5], v2, off
.LBB8_823:
	s_andn2_b64 vcc, exec, s[4:5]
	s_cbranch_vccnz .LBB8_825
; %bb.824:
	v_trunc_f64_e32 v[0:1], v[0:1]
	s_movk_i32 s4, 0xffe0
	v_ldexp_f64 v[2:3], v[0:1], s4
	s_mov_b32 s4, 0
	s_mov_b32 s5, 0xc1f00000
	v_floor_f64_e32 v[2:3], v[2:3]
	v_fma_f64 v[0:1], v[2:3], s[4:5], v[0:1]
	v_cvt_u32_f64_e32 v0, v[0:1]
	global_store_byte v[4:5], v0, off
.LBB8_825:
	s_mov_b64 s[4:5], -1
.LBB8_826:
	s_andn2_b64 vcc, exec, s[4:5]
	s_cbranch_vccnz .LBB8_828
; %bb.827:
	v_add_u32_e32 v43, 0x80, v43
	s_mov_b64 s[4:5], -1
	s_branch .LBB8_830
.LBB8_828:
	s_mov_b64 s[4:5], 0
.LBB8_829:
                                        ; implicit-def: $vgpr43
.LBB8_830:
	s_andn2_b64 s[8:9], s[74:75], exec
	s_and_b64 s[6:7], s[6:7], exec
	s_or_b64 s[26:27], s[8:9], s[6:7]
	s_andn2_b64 s[6:7], s[72:73], exec
	s_and_b64 s[8:9], s[80:81], exec
	s_or_b64 s[24:25], s[6:7], s[8:9]
	s_orn2_b64 s[6:7], s[4:5], exec
.LBB8_831:
	s_or_b64 exec, exec, s[78:79]
	s_mov_b64 s[4:5], 0
	s_mov_b64 s[8:9], 0
	;; [unrolled: 1-line block ×3, first 2 shown]
                                        ; implicit-def: $vgpr0_vgpr1
                                        ; implicit-def: $vgpr39
                                        ; implicit-def: $vgpr6_vgpr7
	s_and_saveexec_b64 s[28:29], s[6:7]
	s_cbranch_execz .LBB8_933
; %bb.832:
	v_cmp_gt_i32_e32 vcc, s85, v43
	s_mov_b64 s[6:7], 0
	s_mov_b64 s[12:13], s[24:25]
                                        ; implicit-def: $vgpr0_vgpr1
                                        ; implicit-def: $vgpr39
                                        ; implicit-def: $vgpr6_vgpr7
	s_and_saveexec_b64 s[30:31], vcc
	s_cbranch_execz .LBB8_932
; %bb.833:
	s_andn2_b64 vcc, exec, s[54:55]
	s_cbranch_vccnz .LBB8_838
; %bb.834:
	s_andn2_b64 vcc, exec, s[64:65]
	s_cbranch_vccnz .LBB8_839
; %bb.835:
	s_add_i32 s86, s86, 1
	s_cmp_eq_u32 s82, 2
	s_cbranch_scc1 .LBB8_840
; %bb.836:
	s_and_b32 s64, s86, 28
	s_waitcnt vmcnt(0)
	v_mov_b32_e32 v0, 0
	s_mov_b32 s65, 0
	s_mov_b64 s[40:41], s[42:43]
	v_mov_b32_e32 v39, 0
	v_mov_b32_e32 v1, v43
.LBB8_837:                              ; =>This Inner Loop Header: Depth=1
	s_load_dwordx8 s[12:19], s[40:41], 0x4
	s_load_dwordx4 s[20:23], s[40:41], 0x24
	s_load_dwordx8 s[4:11], s[62:63], 0x0
	s_add_u32 s40, s40, 48
	s_addc_u32 s41, s41, 0
	s_waitcnt lgkmcnt(0)
	v_mul_hi_u32 v2, s13, v1
	s_add_i32 s65, s65, 4
	s_add_u32 s62, s62, 32
	s_addc_u32 s63, s63, 0
	v_add_u32_e32 v2, v1, v2
	v_lshrrev_b32_e32 v2, s14, v2
	v_mul_lo_u32 v3, v2, s12
	v_mul_hi_u32 v4, s16, v2
	s_cmp_eq_u32 s64, s65
	v_sub_u32_e32 v1, v1, v3
	v_add_u32_e32 v3, v2, v4
	v_mul_lo_u32 v4, v1, s4
	v_mul_lo_u32 v5, v1, s5
	v_lshrrev_b32_e32 v1, s17, v3
	v_mul_lo_u32 v3, v1, s15
	v_mul_hi_u32 v6, s19, v1
	v_sub_u32_e32 v2, v2, v3
	v_add_u32_e32 v3, v1, v6
	v_lshrrev_b32_e32 v3, s20, v3
	v_mul_hi_u32 v7, s22, v3
	v_mul_lo_u32 v8, v3, s18
	v_mul_lo_u32 v6, v2, s6
	;; [unrolled: 1-line block ×3, first 2 shown]
	v_sub_u32_e32 v8, v1, v8
	v_add_u32_e32 v1, v3, v7
	v_lshrrev_b32_e32 v1, s23, v1
	v_mul_lo_u32 v7, v1, s21
	v_mul_lo_u32 v9, v8, s8
	;; [unrolled: 1-line block ×3, first 2 shown]
	v_add3_u32 v4, v4, v39, v6
	v_sub_u32_e32 v3, v3, v7
	v_mul_lo_u32 v7, v3, s10
	v_mul_lo_u32 v3, v3, s11
	v_add3_u32 v0, v5, v0, v2
	v_add3_u32 v39, v9, v4, v7
	;; [unrolled: 1-line block ×3, first 2 shown]
	s_cbranch_scc0 .LBB8_837
	s_branch .LBB8_841
.LBB8_838:
	s_mov_b64 s[4:5], -1
                                        ; implicit-def: $vgpr39
                                        ; implicit-def: $vgpr0
	s_branch .LBB8_845
.LBB8_839:
	v_mov_b32_e32 v39, 0
	s_waitcnt vmcnt(0)
	v_mov_b32_e32 v0, 0
	s_branch .LBB8_844
.LBB8_840:
	s_mov_b32 s64, 0
	v_mov_b32_e32 v39, 0
	s_waitcnt vmcnt(0)
	v_mov_b32_e32 v0, 0
	v_mov_b32_e32 v1, v43
.LBB8_841:
	s_and_b32 s8, s86, 3
	s_cmp_eq_u32 s8, 0
	s_cbranch_scc1 .LBB8_844
; %bb.842:
	s_lshl_b32 s4, s64, 3
	s_add_u32 s4, s42, s4
	s_addc_u32 s5, s43, 0
	s_add_u32 s4, s4, 0xc4
	s_addc_u32 s5, s5, 0
	s_mul_i32 s6, s64, 12
	s_add_u32 s6, s42, s6
	s_addc_u32 s7, s43, 0
.LBB8_843:                              ; =>This Inner Loop Header: Depth=1
	s_load_dwordx2 s[10:11], s[6:7], 0x4
	s_load_dword s9, s[6:7], 0xc
	s_load_dwordx2 s[12:13], s[4:5], 0x0
	s_add_u32 s6, s6, 12
	s_addc_u32 s7, s7, 0
	s_waitcnt lgkmcnt(0)
	v_mul_hi_u32 v2, s11, v1
	s_add_u32 s4, s4, 8
	s_addc_u32 s5, s5, 0
	s_add_i32 s8, s8, -1
	v_add_u32_e32 v2, v1, v2
	v_lshrrev_b32_e32 v2, s9, v2
	v_mul_lo_u32 v3, v2, s10
	s_cmp_lg_u32 s8, 0
	v_sub_u32_e32 v1, v1, v3
	v_mad_u64_u32 v[39:40], s[10:11], v1, s12, v[39:40]
	v_mad_u64_u32 v[0:1], s[10:11], v1, s13, v[0:1]
	v_mov_b32_e32 v1, v2
	s_cbranch_scc1 .LBB8_843
.LBB8_844:
	s_mov_b64 s[4:5], 0
.LBB8_845:
	s_andn2_b64 vcc, exec, s[4:5]
	s_cbranch_vccnz .LBB8_848
; %bb.846:
	s_waitcnt vmcnt(0) lgkmcnt(0)
	v_mul_hi_u32 v0, s49, v43
	s_andn2_b64 vcc, exec, s[60:61]
	v_add_u32_e32 v0, v43, v0
	v_lshrrev_b32_e32 v1, s50, v0
	v_mul_lo_u32 v0, v1, s48
	v_sub_u32_e32 v0, v43, v0
	v_mul_lo_u32 v39, v0, s44
	v_mul_lo_u32 v0, v0, s45
	s_cbranch_vccnz .LBB8_848
; %bb.847:
	v_mul_hi_u32 v2, s58, v1
	v_add_u32_e32 v2, v1, v2
	v_lshrrev_b32_e32 v2, s59, v2
	v_mul_lo_u32 v2, v2, s51
	v_sub_u32_e32 v1, v1, v2
	v_mad_u64_u32 v[39:40], s[4:5], v1, s46, v[39:40]
	v_mad_u64_u32 v[0:1], s[4:5], v1, s47, v[0:1]
.LBB8_848:
	s_waitcnt vmcnt(0) lgkmcnt(0)
	v_mov_b32_e32 v1, s39
	s_and_b32 s14, 0xffff, s84
	v_add_co_u32_e32 v0, vcc, s38, v0
	s_cmp_lt_i32 s14, 11
	v_addc_co_u32_e32 v1, vcc, 0, v1, vcc
	s_cbranch_scc1 .LBB8_855
; %bb.849:
	s_cmp_gt_i32 s14, 25
	s_mov_b64 s[6:7], 0
	s_cbranch_scc0 .LBB8_856
; %bb.850:
	s_cmp_gt_i32 s14, 28
	s_cbranch_scc0 .LBB8_857
; %bb.851:
	s_cmp_gt_i32 s14, 43
	;; [unrolled: 3-line block ×3, first 2 shown]
	s_cbranch_scc0 .LBB8_861
; %bb.853:
	s_cmp_eq_u32 s14, 46
	s_mov_b64 s[10:11], 0
	s_cbranch_scc0 .LBB8_864
; %bb.854:
	global_load_dword v2, v[0:1], off
	s_mov_b64 s[4:5], 0
	s_mov_b64 s[8:9], -1
	s_waitcnt vmcnt(0)
	v_and_b32_e32 v3, 0xffff0000, v2
	v_lshlrev_b32_e32 v2, 16, v2
	v_cvt_f64_f32_e32 v[4:5], v2
	v_cvt_f64_f32_e32 v[6:7], v3
	s_branch .LBB8_865
.LBB8_855:
	s_mov_b64 s[12:13], -1
	s_mov_b64 s[8:9], 0
	s_mov_b64 s[6:7], 0
	;; [unrolled: 1-line block ×3, first 2 shown]
                                        ; implicit-def: $vgpr6_vgpr7
	s_branch .LBB8_931
.LBB8_856:
	s_mov_b64 s[10:11], -1
	s_mov_b64 s[8:9], 0
	s_mov_b64 s[4:5], s[24:25]
                                        ; implicit-def: $vgpr6_vgpr7
	s_branch .LBB8_898
.LBB8_857:
	s_mov_b64 s[10:11], -1
	s_mov_b64 s[8:9], 0
	s_mov_b64 s[4:5], s[24:25]
                                        ; implicit-def: $vgpr6_vgpr7
	s_branch .LBB8_877
.LBB8_858:
	s_mov_b64 s[10:11], -1
	s_mov_b64 s[8:9], 0
	s_mov_b64 s[4:5], s[24:25]
                                        ; implicit-def: $vgpr6_vgpr7
	s_branch .LBB8_871
.LBB8_859:
	s_andn2_saveexec_b64 s[10:11], s[10:11]
	s_cbranch_execz .LBB8_739
.LBB8_860:
	s_mov_b32 s14, 0x46000000
	v_add_f32_e64 v7, |v6|, s14
	v_and_b32_e32 v7, 0xff, v7
	v_cmp_ne_u32_e32 vcc, 0, v7
	s_andn2_b64 s[8:9], s[8:9], exec
	s_and_b64 s[14:15], vcc, exec
	s_or_b64 s[8:9], s[8:9], s[14:15]
	s_or_b64 exec, exec, s[10:11]
	v_mov_b32_e32 v8, 0
	s_and_saveexec_b64 s[10:11], s[8:9]
	s_cbranch_execnz .LBB8_740
	s_branch .LBB8_741
.LBB8_861:
	s_mov_b64 s[10:11], -1
	s_mov_b64 s[8:9], 0
	s_mov_b64 s[4:5], s[24:25]
                                        ; implicit-def: $vgpr6_vgpr7
	s_branch .LBB8_865
.LBB8_862:
	s_andn2_saveexec_b64 s[10:11], s[10:11]
	s_cbranch_execz .LBB8_752
.LBB8_863:
	s_mov_b32 s14, 0x42800000
	v_add_f32_e64 v7, |v6|, s14
	v_and_b32_e32 v7, 0xff, v7
	v_cmp_ne_u32_e32 vcc, 0, v7
	s_andn2_b64 s[8:9], s[8:9], exec
	s_and_b64 s[14:15], vcc, exec
	s_or_b64 s[8:9], s[8:9], s[14:15]
	s_or_b64 exec, exec, s[10:11]
	v_mov_b32_e32 v8, 0
	s_and_saveexec_b64 s[10:11], s[8:9]
	s_cbranch_execnz .LBB8_753
	s_branch .LBB8_754
.LBB8_864:
	s_mov_b64 s[4:5], -1
                                        ; implicit-def: $vgpr6_vgpr7
	s_mov_b64 s[8:9], 0
.LBB8_865:
	s_and_b64 vcc, exec, s[10:11]
	s_cbranch_vccz .LBB8_870
; %bb.866:
	s_cmp_eq_u32 s14, 44
	s_cbranch_scc0 .LBB8_868
; %bb.867:
	global_load_ubyte v4, v[0:1], off
	s_movk_i32 s8, 0xff
	v_bfrev_b32_e32 v5, 4
	v_mov_b32_e32 v6, 0x7ff80000
	v_bfrev_b32_e32 v7, 28
	s_mov_b64 s[4:5], 0
	s_waitcnt vmcnt(0)
	v_lshlrev_b32_e32 v2, 23, v4
	v_cvt_f64_f32_e32 v[2:3], v2
	v_cmp_ne_u32_e32 vcc, s8, v4
	s_mov_b64 s[8:9], -1
	v_cndmask_b32_e32 v2, v5, v2, vcc
	v_cndmask_b32_e32 v3, v6, v3, vcc
	v_cmp_ne_u32_e32 vcc, 0, v4
	v_cndmask_b32_e32 v5, v7, v3, vcc
	v_cndmask_b32_e32 v4, 0, v2, vcc
	s_branch .LBB8_869
.LBB8_868:
	s_mov_b64 s[4:5], -1
                                        ; implicit-def: $vgpr4_vgpr5
.LBB8_869:
	v_mov_b32_e32 v6, 0
	v_mov_b32_e32 v7, 0
.LBB8_870:
	s_mov_b64 s[10:11], 0
.LBB8_871:
	s_and_b64 vcc, exec, s[10:11]
	s_cbranch_vccz .LBB8_876
; %bb.872:
	s_cmp_eq_u32 s14, 29
	s_cbranch_scc0 .LBB8_874
; %bb.873:
	global_load_dwordx2 v[2:3], v[0:1], off
	s_mov_b64 s[4:5], 0
	s_mov_b64 s[8:9], -1
	s_waitcnt vmcnt(0)
	v_cvt_f64_u32_e32 v[3:4], v3
	v_cvt_f64_u32_e32 v[5:6], v2
	v_ldexp_f64 v[3:4], v[3:4], 32
	v_add_f64 v[4:5], v[3:4], v[5:6]
	s_branch .LBB8_875
.LBB8_874:
	s_mov_b64 s[4:5], -1
                                        ; implicit-def: $vgpr4_vgpr5
.LBB8_875:
	v_mov_b32_e32 v6, 0
	v_mov_b32_e32 v7, 0
.LBB8_876:
	s_mov_b64 s[10:11], 0
.LBB8_877:
	s_and_b64 vcc, exec, s[10:11]
	s_cbranch_vccz .LBB8_897
; %bb.878:
	s_cmp_lt_i32 s14, 27
	s_cbranch_scc1 .LBB8_881
; %bb.879:
	s_cmp_gt_i32 s14, 27
	s_cbranch_scc0 .LBB8_882
; %bb.880:
	global_load_dword v2, v[0:1], off
	s_mov_b64 s[8:9], 0
	s_waitcnt vmcnt(0)
	v_cvt_f64_u32_e32 v[4:5], v2
	s_branch .LBB8_883
.LBB8_881:
	s_mov_b64 s[8:9], -1
                                        ; implicit-def: $vgpr4_vgpr5
	s_branch .LBB8_886
.LBB8_882:
	s_mov_b64 s[8:9], -1
                                        ; implicit-def: $vgpr4_vgpr5
.LBB8_883:
	s_andn2_b64 vcc, exec, s[8:9]
	s_cbranch_vccnz .LBB8_885
; %bb.884:
	global_load_ushort v2, v[0:1], off
	s_waitcnt vmcnt(0)
	v_cvt_f64_u32_e32 v[4:5], v2
.LBB8_885:
	s_mov_b64 s[8:9], 0
.LBB8_886:
	s_andn2_b64 vcc, exec, s[8:9]
	s_cbranch_vccnz .LBB8_896
; %bb.887:
	global_load_ubyte v2, v[0:1], off
	s_movk_i32 s8, 0x7f
	s_waitcnt vmcnt(0)
	v_cmp_lt_i16_e32 vcc, s8, v2
	s_mov_b64 s[8:9], 0
	s_and_saveexec_b64 s[10:11], vcc
	s_xor_b64 s[10:11], exec, s[10:11]
	s_cbranch_execz .LBB8_891
; %bb.888:
	s_movk_i32 s8, 0x80
	v_cmp_eq_u16_e32 vcc, s8, v2
	s_mov_b64 s[8:9], -1
	s_and_saveexec_b64 s[12:13], vcc
; %bb.889:
	s_xor_b64 s[8:9], exec, -1
; %bb.890:
	s_or_b64 exec, exec, s[12:13]
	s_and_b64 s[8:9], s[8:9], exec
.LBB8_891:
	s_or_saveexec_b64 s[10:11], s[10:11]
	v_bfrev_b32_e32 v4, 4
	v_mov_b32_e32 v5, 0x7ff80000
	s_xor_b64 exec, exec, s[10:11]
; %bb.892:
	v_cmp_ne_u16_e32 vcc, 0, v2
	v_mov_b32_e32 v4, 0
	s_andn2_b64 s[8:9], s[8:9], exec
	s_and_b64 s[12:13], vcc, exec
	v_mov_b32_e32 v5, 0
	s_or_b64 s[8:9], s[8:9], s[12:13]
; %bb.893:
	s_or_b64 exec, exec, s[10:11]
	s_and_saveexec_b64 s[10:11], s[8:9]
	s_cbranch_execz .LBB8_895
; %bb.894:
	v_lshlrev_b32_e32 v3, 24, v2
	v_and_b32_e32 v2, 0xffff, v2
	v_and_b32_e32 v4, 7, v2
	v_ffbh_u32_e32 v6, v4
	v_min_u32_e32 v6, 32, v6
	v_subrev_u32_e32 v7, 28, v6
	v_bfe_u32 v5, v2, 3, 4
	v_lshlrev_b32_e32 v2, v7, v2
	v_sub_u32_e32 v6, 29, v6
	v_and_b32_e32 v2, 7, v2
	v_cmp_eq_u32_e32 vcc, 0, v5
	v_cndmask_b32_e32 v5, v5, v6, vcc
	v_cndmask_b32_e32 v2, v4, v2, vcc
	v_mov_b32_e32 v4, 0x3b800000
	v_lshlrev_b32_e32 v2, 20, v2
	v_and_b32_e32 v3, 0x80000000, v3
	v_lshl_add_u32 v4, v5, 23, v4
	v_or3_b32 v2, v3, v4, v2
	v_cvt_f64_f32_e32 v[4:5], v2
.LBB8_895:
	s_or_b64 exec, exec, s[10:11]
.LBB8_896:
	v_mov_b32_e32 v6, 0
	v_mov_b32_e32 v7, 0
	s_mov_b64 s[8:9], -1
.LBB8_897:
	s_mov_b64 s[10:11], 0
.LBB8_898:
	s_and_b64 vcc, exec, s[10:11]
	s_cbranch_vccz .LBB8_930
; %bb.899:
	s_cmp_gt_i32 s14, 22
	s_cbranch_scc0 .LBB8_911
; %bb.900:
	s_cmp_lt_i32 s14, 24
	s_cbranch_scc1 .LBB8_912
; %bb.901:
	s_cmp_gt_i32 s14, 24
	s_cbranch_scc0 .LBB8_913
; %bb.902:
	global_load_ubyte v2, v[0:1], off
	s_movk_i32 s6, 0x7f
	s_waitcnt vmcnt(0)
	v_cmp_lt_i16_e32 vcc, s6, v2
	s_mov_b64 s[6:7], 0
	s_and_saveexec_b64 s[8:9], vcc
	s_xor_b64 s[8:9], exec, s[8:9]
	s_cbranch_execz .LBB8_906
; %bb.903:
	s_movk_i32 s6, 0x80
	v_cmp_eq_u16_e32 vcc, s6, v2
	s_mov_b64 s[6:7], -1
	s_and_saveexec_b64 s[10:11], vcc
; %bb.904:
	s_xor_b64 s[6:7], exec, -1
; %bb.905:
	s_or_b64 exec, exec, s[10:11]
	s_and_b64 s[6:7], s[6:7], exec
.LBB8_906:
	s_or_saveexec_b64 s[8:9], s[8:9]
	v_bfrev_b32_e32 v4, 4
	v_mov_b32_e32 v5, 0x7ff80000
	s_xor_b64 exec, exec, s[8:9]
; %bb.907:
	v_cmp_ne_u16_e32 vcc, 0, v2
	v_mov_b32_e32 v4, 0
	s_andn2_b64 s[6:7], s[6:7], exec
	s_and_b64 s[10:11], vcc, exec
	v_mov_b32_e32 v5, 0
	s_or_b64 s[6:7], s[6:7], s[10:11]
; %bb.908:
	s_or_b64 exec, exec, s[8:9]
	s_and_saveexec_b64 s[8:9], s[6:7]
	s_cbranch_execz .LBB8_910
; %bb.909:
	v_lshlrev_b32_e32 v3, 24, v2
	v_and_b32_e32 v2, 0xffff, v2
	v_and_b32_e32 v4, 3, v2
	v_ffbh_u32_e32 v6, v4
	v_min_u32_e32 v6, 32, v6
	v_subrev_u32_e32 v7, 29, v6
	v_bfe_u32 v5, v2, 2, 5
	v_lshlrev_b32_e32 v2, v7, v2
	v_sub_u32_e32 v6, 30, v6
	v_and_b32_e32 v2, 3, v2
	v_cmp_eq_u32_e32 vcc, 0, v5
	v_cndmask_b32_e32 v5, v5, v6, vcc
	v_cndmask_b32_e32 v2, v4, v2, vcc
	v_mov_b32_e32 v4, 0x37800000
	v_lshlrev_b32_e32 v2, 21, v2
	v_and_b32_e32 v3, 0x80000000, v3
	v_lshl_add_u32 v4, v5, 23, v4
	v_or3_b32 v2, v3, v4, v2
	v_cvt_f64_f32_e32 v[4:5], v2
.LBB8_910:
	s_or_b64 exec, exec, s[8:9]
	s_mov_b64 s[6:7], 0
	s_branch .LBB8_914
.LBB8_911:
	s_mov_b64 s[6:7], -1
                                        ; implicit-def: $vgpr4_vgpr5
	s_branch .LBB8_920
.LBB8_912:
	s_mov_b64 s[6:7], -1
                                        ; implicit-def: $vgpr4_vgpr5
	s_branch .LBB8_917
.LBB8_913:
	s_mov_b64 s[6:7], -1
                                        ; implicit-def: $vgpr4_vgpr5
.LBB8_914:
	s_and_b64 vcc, exec, s[6:7]
	s_cbranch_vccz .LBB8_916
; %bb.915:
	global_load_ubyte v2, v[0:1], off
	s_mov_b32 s6, 0x7f800000
	s_waitcnt vmcnt(0)
	v_lshlrev_b32_e32 v2, 24, v2
	v_and_b32_e32 v3, 0x7f000000, v2
	v_ffbh_u32_e32 v4, v3
	v_min_u32_e32 v4, 32, v4
	v_sub_u32_e64 v4, v4, 4 clamp
	v_lshlrev_b32_e32 v6, v4, v3
	v_lshlrev_b32_e32 v4, 23, v4
	v_lshrrev_b32_e32 v6, 4, v6
	v_add_u32_e32 v5, 0x1000000, v3
	v_sub_u32_e32 v4, v6, v4
	v_ashrrev_i32_e32 v5, 8, v5
	v_add_u32_e32 v4, 0x3c000000, v4
	v_and_or_b32 v4, v5, s6, v4
	v_cmp_ne_u32_e32 vcc, 0, v3
	v_cndmask_b32_e32 v3, 0, v4, vcc
	s_brev_b32 s6, 1
	v_and_or_b32 v2, v2, s6, v3
	v_cvt_f64_f32_e32 v[4:5], v2
.LBB8_916:
	s_mov_b64 s[6:7], 0
.LBB8_917:
	s_andn2_b64 vcc, exec, s[6:7]
	s_cbranch_vccnz .LBB8_919
; %bb.918:
	global_load_ubyte v2, v[0:1], off
	s_movk_i32 s6, 0x7f00
	s_brev_b32 s7, 16
	s_waitcnt vmcnt(0)
	v_lshlrev_b16_e32 v3, 8, v2
	v_lshlrev_b32_e32 v2, 25, v2
	v_lshrrev_b32_e32 v4, 4, v2
	v_and_or_b32 v5, v3, s6, 0.5
	v_or_b32_e32 v4, 0x70000000, v4
	v_add_f32_e32 v5, -0.5, v5
	v_mul_f32_e32 v4, 0x7800000, v4
	v_cmp_gt_u32_e32 vcc, s7, v2
	v_bfe_i32 v3, v3, 0, 16
	v_cndmask_b32_e32 v2, v4, v5, vcc
	s_brev_b32 s6, 1
	v_and_or_b32 v2, v3, s6, v2
	v_cvt_f64_f32_e32 v[4:5], v2
.LBB8_919:
	s_mov_b64 s[6:7], 0
	s_mov_b64 s[8:9], -1
.LBB8_920:
	s_andn2_b64 vcc, exec, s[6:7]
	s_mov_b64 s[6:7], 0
	s_cbranch_vccnz .LBB8_929
; %bb.921:
	s_cmp_gt_i32 s14, 14
	s_cbranch_scc0 .LBB8_924
; %bb.922:
	s_cmp_eq_u32 s14, 15
	s_cbranch_scc0 .LBB8_925
; %bb.923:
	global_load_ushort v2, v[0:1], off
	s_mov_b64 s[4:5], 0
	s_mov_b64 s[8:9], -1
	s_waitcnt vmcnt(0)
	v_lshlrev_b32_e32 v2, 16, v2
	v_cvt_f64_f32_e32 v[4:5], v2
	s_branch .LBB8_926
.LBB8_924:
	s_mov_b64 s[10:11], -1
                                        ; implicit-def: $vgpr4_vgpr5
	s_branch .LBB8_927
.LBB8_925:
	s_mov_b64 s[4:5], -1
                                        ; implicit-def: $vgpr4_vgpr5
.LBB8_926:
	s_mov_b64 s[10:11], 0
.LBB8_927:
	s_and_b64 vcc, exec, s[10:11]
	s_cbranch_vccz .LBB8_929
; %bb.928:
	s_cmp_lg_u32 s14, 11
	s_cselect_b64 s[10:11], -1, 0
	s_andn2_b64 s[4:5], s[4:5], exec
	s_and_b64 s[10:11], s[10:11], exec
	s_mov_b64 s[6:7], -1
	s_or_b64 s[4:5], s[4:5], s[10:11]
.LBB8_929:
	v_mov_b32_e32 v6, 0
	v_mov_b32_e32 v7, 0
.LBB8_930:
	s_mov_b64 s[12:13], 0
.LBB8_931:
	s_and_b64 s[10:11], s[8:9], exec
	s_and_b64 s[8:9], s[12:13], exec
	s_andn2_b64 s[12:13], s[24:25], exec
	s_and_b64 s[4:5], s[4:5], exec
	s_and_b64 s[6:7], s[6:7], exec
	s_or_b64 s[12:13], s[12:13], s[4:5]
.LBB8_932:
	s_or_b64 exec, exec, s[30:31]
	s_and_b64 s[4:5], s[6:7], exec
	s_andn2_b64 s[6:7], s[24:25], exec
	s_and_b64 s[12:13], s[12:13], exec
	s_and_b64 s[10:11], s[10:11], exec
	;; [unrolled: 1-line block ×3, first 2 shown]
	s_or_b64 s[24:25], s[6:7], s[12:13]
.LBB8_933:
	s_or_b64 exec, exec, s[28:29]
	s_andn2_b64 s[6:7], s[74:75], exec
	s_and_b64 s[12:13], s[26:27], exec
	s_or_b64 s[74:75], s[6:7], s[12:13]
	s_and_b64 s[6:7], s[4:5], exec
	s_andn2_b64 s[4:5], s[72:73], exec
	s_and_b64 s[12:13], s[24:25], exec
	s_and_b64 s[10:11], s[10:11], exec
	;; [unrolled: 1-line block ×3, first 2 shown]
	s_or_b64 s[72:73], s[4:5], s[12:13]
.LBB8_934:
	s_or_b64 exec, exec, s[76:77]
	s_andn2_b64 s[4:5], s[66:67], exec
	s_and_b64 s[12:13], s[74:75], exec
	s_or_b64 s[66:67], s[4:5], s[12:13]
	s_and_b64 s[4:5], s[10:11], exec
	s_and_b64 s[74:75], s[6:7], exec
	s_andn2_b64 s[6:7], s[68:69], exec
	s_and_b64 s[10:11], s[72:73], exec
	s_and_b64 s[8:9], s[8:9], exec
	s_or_b64 s[68:69], s[6:7], s[10:11]
	s_or_b64 exec, exec, s[70:71]
	s_waitcnt lgkmcnt(0)
	s_mov_b64 s[38:39], 0
	s_and_saveexec_b64 s[6:7], s[68:69]
	s_cbranch_execz .LBB8_278
.LBB8_935:
	s_mov_b64 s[38:39], exec
	s_andn2_b64 s[74:75], s[74:75], exec
	s_trap 2
	s_or_b64 exec, exec, s[6:7]
	s_and_saveexec_b64 s[6:7], s[74:75]
	s_xor_b64 s[6:7], exec, s[6:7]
	s_cbranch_execnz .LBB8_279
.LBB8_936:
	s_or_b64 exec, exec, s[6:7]
	s_and_saveexec_b64 s[6:7], s[8:9]
	s_cbranch_execz .LBB8_984
.LBB8_937:
	s_sext_i32_i16 s8, s84
	s_cmp_lt_i32 s8, 5
	s_cbranch_scc1 .LBB8_942
; %bb.938:
	s_cmp_lt_i32 s8, 8
	s_cbranch_scc1 .LBB8_943
; %bb.939:
	;; [unrolled: 3-line block ×3, first 2 shown]
	s_cmp_gt_i32 s8, 9
	s_cbranch_scc0 .LBB8_945
; %bb.941:
	s_waitcnt vmcnt(0)
	global_load_dwordx4 v[4:7], v[0:1], off
	s_mov_b64 s[8:9], 0
	s_branch .LBB8_946
.LBB8_942:
                                        ; implicit-def: $vgpr6_vgpr7
	s_branch .LBB8_964
.LBB8_943:
                                        ; implicit-def: $vgpr6_vgpr7
	s_branch .LBB8_952
.LBB8_944:
	s_mov_b64 s[8:9], -1
                                        ; implicit-def: $vgpr6_vgpr7
	s_branch .LBB8_949
.LBB8_945:
	s_mov_b64 s[8:9], -1
                                        ; implicit-def: $vgpr6_vgpr7
.LBB8_946:
	s_andn2_b64 vcc, exec, s[8:9]
	s_cbranch_vccnz .LBB8_948
; %bb.947:
	s_waitcnt vmcnt(0)
	global_load_dwordx2 v[2:3], v[0:1], off
	s_waitcnt vmcnt(0)
	v_cvt_f64_f32_e32 v[4:5], v2
	v_cvt_f64_f32_e32 v[6:7], v3
.LBB8_948:
	s_mov_b64 s[8:9], 0
.LBB8_949:
	s_andn2_b64 vcc, exec, s[8:9]
	s_cbranch_vccnz .LBB8_951
; %bb.950:
	s_waitcnt vmcnt(0)
	global_load_dword v2, v[0:1], off
	s_waitcnt vmcnt(0)
	v_cvt_f32_f16_e32 v3, v2
	v_cvt_f32_f16_sdwa v2, v2 dst_sel:DWORD dst_unused:UNUSED_PAD src0_sel:WORD_1
	v_cvt_f64_f32_e32 v[4:5], v3
	v_cvt_f64_f32_e32 v[6:7], v2
.LBB8_951:
	s_cbranch_execnz .LBB8_963
.LBB8_952:
	s_sext_i32_i16 s8, s84
	s_cmp_lt_i32 s8, 6
	s_cbranch_scc1 .LBB8_955
; %bb.953:
	s_cmp_gt_i32 s8, 6
	s_cbranch_scc0 .LBB8_956
; %bb.954:
	s_waitcnt vmcnt(0)
	global_load_dwordx2 v[4:5], v[0:1], off
	s_mov_b64 s[8:9], 0
	s_branch .LBB8_957
.LBB8_955:
	s_mov_b64 s[8:9], -1
                                        ; implicit-def: $vgpr4_vgpr5
	s_branch .LBB8_960
.LBB8_956:
	s_mov_b64 s[8:9], -1
                                        ; implicit-def: $vgpr4_vgpr5
.LBB8_957:
	s_andn2_b64 vcc, exec, s[8:9]
	s_cbranch_vccnz .LBB8_959
; %bb.958:
	s_waitcnt vmcnt(0)
	global_load_dword v2, v[0:1], off
	s_waitcnt vmcnt(0)
	v_cvt_f64_f32_e32 v[4:5], v2
.LBB8_959:
	s_mov_b64 s[8:9], 0
.LBB8_960:
	s_andn2_b64 vcc, exec, s[8:9]
	s_cbranch_vccnz .LBB8_962
; %bb.961:
	s_waitcnt vmcnt(0)
	global_load_ushort v2, v[0:1], off
	s_waitcnt vmcnt(0)
	v_cvt_f32_f16_e32 v2, v2
	v_cvt_f64_f32_e32 v[4:5], v2
.LBB8_962:
	s_waitcnt vmcnt(0)
	v_mov_b32_e32 v6, 0
	v_mov_b32_e32 v7, 0
.LBB8_963:
	s_cbranch_execnz .LBB8_983
.LBB8_964:
	s_sext_i32_i16 s8, s84
	s_cmp_lt_i32 s8, 2
	s_cbranch_scc1 .LBB8_968
; %bb.965:
	s_cmp_lt_i32 s8, 3
	s_cbranch_scc1 .LBB8_969
; %bb.966:
	s_cmp_gt_i32 s8, 3
	s_cbranch_scc0 .LBB8_970
; %bb.967:
	s_waitcnt vmcnt(0)
	global_load_dwordx2 v[2:3], v[0:1], off
	s_mov_b64 s[8:9], 0
	s_waitcnt vmcnt(0)
	v_cvt_f64_i32_e32 v[3:4], v3
	v_cvt_f64_u32_e32 v[5:6], v2
	v_ldexp_f64 v[3:4], v[3:4], 32
	v_add_f64 v[4:5], v[3:4], v[5:6]
	s_branch .LBB8_971
.LBB8_968:
                                        ; implicit-def: $vgpr4_vgpr5
	s_branch .LBB8_977
.LBB8_969:
	s_mov_b64 s[8:9], -1
                                        ; implicit-def: $vgpr4_vgpr5
	s_branch .LBB8_974
.LBB8_970:
	s_mov_b64 s[8:9], -1
                                        ; implicit-def: $vgpr4_vgpr5
.LBB8_971:
	s_andn2_b64 vcc, exec, s[8:9]
	s_cbranch_vccnz .LBB8_973
; %bb.972:
	s_waitcnt vmcnt(0)
	global_load_dword v2, v[0:1], off
	s_waitcnt vmcnt(0)
	v_cvt_f64_i32_e32 v[4:5], v2
.LBB8_973:
	s_mov_b64 s[8:9], 0
.LBB8_974:
	s_andn2_b64 vcc, exec, s[8:9]
	s_cbranch_vccnz .LBB8_976
; %bb.975:
	s_waitcnt vmcnt(0)
	global_load_sshort v2, v[0:1], off
	s_waitcnt vmcnt(0)
	v_cvt_f64_i32_e32 v[4:5], v2
.LBB8_976:
	s_cbranch_execnz .LBB8_982
.LBB8_977:
	s_sext_i32_i16 s8, s84
	s_cmp_gt_i32 s8, 0
	s_cbranch_scc0 .LBB8_979
; %bb.978:
	s_waitcnt vmcnt(0)
	global_load_sbyte v2, v[0:1], off
	s_mov_b64 s[8:9], 0
	s_waitcnt vmcnt(0)
	v_cvt_f64_i32_e32 v[4:5], v2
	s_branch .LBB8_980
.LBB8_979:
	s_mov_b64 s[8:9], -1
                                        ; implicit-def: $vgpr4_vgpr5
.LBB8_980:
	s_andn2_b64 vcc, exec, s[8:9]
	s_cbranch_vccnz .LBB8_982
; %bb.981:
	s_waitcnt vmcnt(0)
	global_load_ubyte v0, v[0:1], off
	s_waitcnt vmcnt(0)
	v_cvt_f64_u32_e32 v[4:5], v0
.LBB8_982:
	s_waitcnt vmcnt(0)
	v_mov_b32_e32 v6, 0
	v_mov_b32_e32 v7, 0
.LBB8_983:
	s_or_b64 s[4:5], s[4:5], exec
.LBB8_984:
	s_or_b64 exec, exec, s[6:7]
	s_mov_b64 s[8:9], 0
	s_mov_b64 s[6:7], 0
                                        ; implicit-def: $sgpr14
                                        ; implicit-def: $vgpr8_vgpr9
                                        ; implicit-def: $vgpr2_vgpr3
	s_and_saveexec_b64 s[44:45], s[4:5]
	s_cbranch_execz .LBB8_1002
; %bb.985:
	s_getpc_b64 s[4:5]
	s_add_u32 s4, s4, _ZZZZN2at6native16asin_kernel_cudaERNS_18TensorIteratorBaseEENKUlvE_clEvENKUlvE_clEvENKUlN3c107complexIdEEE_clES7_@rel32@lo+4
	s_addc_u32 s5, s5, _ZZZZN2at6native16asin_kernel_cudaERNS_18TensorIteratorBaseEENKUlvE_clEvENKUlvE_clEvENKUlN3c107complexIdEEE_clES7_@rel32@hi+12
	s_waitcnt vmcnt(0)
	v_mov_b32_e32 v0, v4
	v_mov_b32_e32 v1, v5
	;; [unrolled: 1-line block ×4, first 2 shown]
	s_swappc_b64 s[30:31], s[4:5]
	v_mov_b32_e32 v4, s37
	s_and_b32 s14, s83, 0xff
	v_add_co_u32_e32 v8, vcc, s36, v39
	s_cmp_lt_i32 s14, 11
	v_addc_co_u32_e32 v9, vcc, 0, v4, vcc
	s_cbranch_scc1 .LBB8_1005
; %bb.986:
	s_and_b32 s15, 0xffff, s14
	s_mov_b64 s[8:9], -1
	s_cmp_gt_i32 s15, 25
	s_mov_b64 s[4:5], s[66:67]
	s_cbranch_scc0 .LBB8_1023
; %bb.987:
	s_mov_b64 s[6:7], -1
	s_cmp_gt_i32 s15, 28
	s_mov_b64 s[4:5], s[66:67]
	s_cbranch_scc0 .LBB8_1007
; %bb.988:
	s_cmp_gt_i32 s15, 43
	s_mov_b64 s[4:5], s[66:67]
	s_cbranch_scc0 .LBB8_999
; %bb.989:
	;; [unrolled: 4-line block ×3, first 2 shown]
	s_cmp_eq_u32 s15, 46
	s_mov_b64 s[4:5], -1
	s_cbranch_scc0 .LBB8_992
; %bb.991:
	v_cvt_f32_f64_e32 v5, v[2:3]
	v_cvt_f32_f64_e32 v4, v[0:1]
	s_movk_i32 s4, 0x7fff
	v_mov_b32_e32 v10, 0x7fc00000
	v_bfe_u32 v7, v5, 16, 1
	v_add3_u32 v7, v5, v7, s4
	v_bfe_u32 v6, v4, 16, 1
	v_and_b32_e32 v7, 0xffff0000, v7
	v_cmp_o_f32_e32 vcc, v5, v5
	v_add3_u32 v6, v4, v6, s4
	v_cndmask_b32_e32 v5, v10, v7, vcc
	v_cmp_o_f32_e32 vcc, v4, v4
	v_mov_b32_e32 v4, 0x7fc0
	v_cndmask_b32_sdwa v4, v4, v6, vcc dst_sel:DWORD dst_unused:UNUSED_PAD src0_sel:DWORD src1_sel:WORD_1
	v_or_b32_e32 v4, v5, v4
	global_store_dword v[8:9], v4, off
	s_mov_b64 s[4:5], 0
.LBB8_992:
	s_mov_b64 s[6:7], 0
.LBB8_993:
	s_and_b64 vcc, exec, s[6:7]
	s_cbranch_vccz .LBB8_998
; %bb.994:
	s_cmp_eq_u32 s15, 44
	s_mov_b64 s[4:5], -1
	s_cbranch_scc0 .LBB8_998
; %bb.995:
	v_cvt_f32_f64_e32 v4, v[0:1]
	s_movk_i32 s4, 0xff
	v_mov_b32_e32 v6, 0xff
	v_bfe_u32 v5, v4, 23, 8
	v_cmp_ne_u32_e32 vcc, s4, v5
	s_and_saveexec_b64 s[6:7], vcc
; %bb.996:
	s_mov_b32 s4, 0x3fffff
	v_lshrrev_b32_e32 v6, 23, v4
	v_and_b32_e32 v7, 0x400000, v4
	v_and_or_b32 v4, v4, s4, v5
	v_cmp_ne_u32_e32 vcc, 0, v7
	v_cmp_ne_u32_e64 s[4:5], 0, v4
	s_and_b64 s[4:5], vcc, s[4:5]
	v_cndmask_b32_e64 v4, 0, 1, s[4:5]
	v_add_u32_e32 v6, v6, v4
; %bb.997:
	s_or_b64 exec, exec, s[6:7]
	s_mov_b64 s[4:5], 0
	global_store_byte v[8:9], v6, off
.LBB8_998:
	s_mov_b64 s[6:7], 0
.LBB8_999:
	s_and_b64 vcc, exec, s[6:7]
	s_cbranch_vccz .LBB8_1006
; %bb.1000:
	s_cmp_eq_u32 s15, 29
	s_mov_b64 s[4:5], -1
	s_cbranch_scc0 .LBB8_1006
; %bb.1001:
	v_trunc_f64_e32 v[4:5], v[0:1]
	s_movk_i32 s4, 0xffe0
	s_mov_b64 s[6:7], 0
	v_ldexp_f64 v[6:7], v[4:5], s4
	s_mov_b32 s4, 0
	s_mov_b32 s5, 0xc1f00000
	v_floor_f64_e32 v[6:7], v[6:7]
	v_fma_f64 v[4:5], v[6:7], s[4:5], v[4:5]
	v_cvt_u32_f64_e32 v6, v[6:7]
	s_mov_b64 s[4:5], 0
	v_cvt_u32_f64_e32 v5, v[4:5]
	global_store_dwordx2 v[8:9], v[5:6], off
	s_branch .LBB8_1007
.LBB8_1002:
	s_or_b64 exec, exec, s[44:45]
	s_and_saveexec_b64 s[4:5], s[66:67]
	s_cbranch_execnz .LBB8_1065
.LBB8_1003:
	s_or_b64 exec, exec, s[4:5]
	s_and_saveexec_b64 s[4:5], s[8:9]
	s_xor_b64 s[8:9], exec, s[4:5]
	s_cbranch_execz .LBB8_1066
.LBB8_1004:
	s_waitcnt vmcnt(0)
	v_cmp_neq_f64_e32 vcc, 0, v[0:1]
	v_cmp_neq_f64_e64 s[4:5], 0, v[2:3]
	s_or_b64 s[4:5], vcc, s[4:5]
	v_cndmask_b32_e64 v4, 0, 1, s[4:5]
	global_store_byte v[8:9], v4, off
	s_or_b64 exec, exec, s[8:9]
	s_and_saveexec_b64 s[4:5], s[6:7]
	s_xor_b64 s[4:5], exec, s[4:5]
	s_cbranch_execz .LBB8_1104
	s_branch .LBB8_1067
.LBB8_1005:
	s_mov_b64 s[8:9], 0
	s_mov_b64 s[6:7], -1
	s_mov_b64 s[4:5], s[66:67]
	s_branch .LBB8_1064
.LBB8_1006:
	s_mov_b64 s[6:7], 0
.LBB8_1007:
	s_and_b64 vcc, exec, s[6:7]
	s_cbranch_vccz .LBB8_1022
; %bb.1008:
	s_cmp_lt_i32 s15, 27
	s_mov_b64 s[6:7], -1
	s_cbranch_scc1 .LBB8_1014
; %bb.1009:
	s_cmp_gt_i32 s15, 27
	s_cbranch_scc0 .LBB8_1011
; %bb.1010:
	v_cvt_u32_f64_e32 v4, v[0:1]
	s_mov_b64 s[6:7], 0
	global_store_dword v[8:9], v4, off
.LBB8_1011:
	s_andn2_b64 vcc, exec, s[6:7]
	s_cbranch_vccnz .LBB8_1013
; %bb.1012:
	v_cvt_u32_f64_e32 v4, v[0:1]
	global_store_short v[8:9], v4, off
.LBB8_1013:
	s_mov_b64 s[6:7], 0
.LBB8_1014:
	s_andn2_b64 vcc, exec, s[6:7]
	s_cbranch_vccnz .LBB8_1022
; %bb.1015:
	v_cvt_f32_f64_e32 v4, v[0:1]
	s_mov_b32 s6, 0x43800000
	v_mov_b32_e32 v6, 0x80
	v_and_b32_e32 v5, 0x7fffffff, v4
	v_cmp_gt_u32_e32 vcc, s6, v5
	s_and_saveexec_b64 s[6:7], vcc
	s_cbranch_execz .LBB8_1021
; %bb.1016:
	s_mov_b32 s8, 0x3bffffff
	v_cmp_lt_u32_e32 vcc, s8, v5
	s_mov_b64 s[8:9], 0
                                        ; implicit-def: $vgpr5
	s_and_saveexec_b64 s[10:11], vcc
	s_xor_b64 s[10:11], exec, s[10:11]
	s_cbranch_execz .LBB8_1175
; %bb.1017:
	v_bfe_u32 v5, v4, 20, 1
	s_mov_b32 s12, 0x487ffff
	v_add3_u32 v5, v4, v5, s12
	s_mov_b64 s[8:9], exec
	v_lshrrev_b32_e32 v5, 20, v5
	s_andn2_saveexec_b64 s[10:11], s[10:11]
	s_cbranch_execnz .LBB8_1176
.LBB8_1018:
	s_or_b64 exec, exec, s[10:11]
	v_mov_b32_e32 v6, 0
	s_and_saveexec_b64 s[10:11], s[8:9]
.LBB8_1019:
	v_lshrrev_b32_e32 v4, 24, v4
	s_movk_i32 s8, 0x80
	v_and_or_b32 v6, v4, s8, v5
.LBB8_1020:
	s_or_b64 exec, exec, s[10:11]
.LBB8_1021:
	s_or_b64 exec, exec, s[6:7]
	global_store_byte v[8:9], v6, off
.LBB8_1022:
	s_mov_b64 s[8:9], 0
.LBB8_1023:
	s_mov_b64 s[6:7], 0
	s_and_b64 vcc, exec, s[8:9]
	s_cbranch_vccz .LBB8_1063
; %bb.1024:
	s_cmp_gt_i32 s15, 22
	s_mov_b64 s[8:9], -1
	s_cbranch_scc0 .LBB8_1056
; %bb.1025:
	s_cmp_lt_i32 s15, 24
	s_cbranch_scc1 .LBB8_1045
; %bb.1026:
	s_cmp_gt_i32 s15, 24
	s_cbranch_scc0 .LBB8_1034
; %bb.1027:
	v_cvt_f32_f64_e32 v4, v[0:1]
	s_mov_b32 s8, 0x47800000
	v_mov_b32_e32 v6, 0x80
	v_and_b32_e32 v5, 0x7fffffff, v4
	v_cmp_gt_u32_e32 vcc, s8, v5
	s_and_saveexec_b64 s[8:9], vcc
	s_cbranch_execz .LBB8_1033
; %bb.1028:
	s_mov_b32 s10, 0x37ffffff
	v_cmp_lt_u32_e32 vcc, s10, v5
	s_mov_b64 s[10:11], 0
                                        ; implicit-def: $vgpr5
	s_and_saveexec_b64 s[12:13], vcc
	s_xor_b64 s[12:13], exec, s[12:13]
	s_cbranch_execz .LBB8_1305
; %bb.1029:
	v_bfe_u32 v5, v4, 21, 1
	s_mov_b32 s16, 0x88fffff
	v_add3_u32 v5, v4, v5, s16
	s_mov_b64 s[10:11], exec
	v_lshrrev_b32_e32 v5, 21, v5
	s_andn2_saveexec_b64 s[12:13], s[12:13]
	s_cbranch_execnz .LBB8_1306
.LBB8_1030:
	s_or_b64 exec, exec, s[12:13]
	v_mov_b32_e32 v6, 0
	s_and_saveexec_b64 s[12:13], s[10:11]
.LBB8_1031:
	v_lshrrev_b32_e32 v4, 24, v4
	s_movk_i32 s10, 0x80
	v_and_or_b32 v6, v4, s10, v5
.LBB8_1032:
	s_or_b64 exec, exec, s[12:13]
.LBB8_1033:
	s_or_b64 exec, exec, s[8:9]
	s_mov_b64 s[8:9], 0
	global_store_byte v[8:9], v6, off
.LBB8_1034:
	s_and_b64 vcc, exec, s[8:9]
	s_cbranch_vccz .LBB8_1044
; %bb.1035:
	v_cvt_f32_f64_e32 v4, v[0:1]
	s_mov_b32 s8, 0x43f00000
                                        ; implicit-def: $vgpr5
	v_and_b32_e32 v6, 0x7fffffff, v4
	v_cmp_gt_u32_e32 vcc, s8, v6
	s_and_saveexec_b64 s[8:9], vcc
	s_xor_b64 s[8:9], exec, s[8:9]
	s_cbranch_execz .LBB8_1041
; %bb.1036:
	s_mov_b32 s10, 0x3c7fffff
	v_cmp_lt_u32_e32 vcc, s10, v6
                                        ; implicit-def: $vgpr5
	s_and_saveexec_b64 s[10:11], vcc
	s_xor_b64 s[10:11], exec, s[10:11]
; %bb.1037:
	v_bfe_u32 v5, v4, 20, 1
	s_mov_b32 s12, 0x407ffff
	v_add3_u32 v5, v4, v5, s12
	v_lshrrev_b32_e32 v6, 20, v5
	v_and_b32_e32 v5, 0xff00000, v5
	s_mov_b32 s12, 0x7f00000
	v_mov_b32_e32 v7, 0x7e
	v_cmp_ne_u32_e32 vcc, s12, v5
	v_cndmask_b32_e32 v5, v7, v6, vcc
; %bb.1038:
	s_andn2_saveexec_b64 s[10:11], s[10:11]
; %bb.1039:
	s_mov_b32 s12, 0x46800000
	v_add_f32_e64 v5, |v4|, s12
; %bb.1040:
	s_or_b64 exec, exec, s[10:11]
                                        ; implicit-def: $vgpr6
.LBB8_1041:
	s_andn2_saveexec_b64 s[8:9], s[8:9]
; %bb.1042:
	s_mov_b32 s10, 0x7f800000
	v_mov_b32_e32 v5, 0x7e
	v_mov_b32_e32 v7, 0x7f
	v_cmp_lt_u32_e32 vcc, s10, v6
	v_cndmask_b32_e32 v5, v5, v7, vcc
; %bb.1043:
	s_or_b64 exec, exec, s[8:9]
	v_lshrrev_b32_e32 v4, 24, v4
	s_movk_i32 s8, 0x80
	v_and_or_b32 v4, v4, s8, v5
	global_store_byte v[8:9], v4, off
.LBB8_1044:
	s_mov_b64 s[8:9], 0
.LBB8_1045:
	s_andn2_b64 vcc, exec, s[8:9]
	s_cbranch_vccnz .LBB8_1055
; %bb.1046:
	v_cvt_f32_f64_e32 v4, v[0:1]
	s_mov_b32 s8, 0x47800000
                                        ; implicit-def: $vgpr5
	v_and_b32_e32 v6, 0x7fffffff, v4
	v_cmp_gt_u32_e32 vcc, s8, v6
	s_and_saveexec_b64 s[8:9], vcc
	s_xor_b64 s[8:9], exec, s[8:9]
	s_cbranch_execz .LBB8_1052
; %bb.1047:
	s_mov_b32 s10, 0x387fffff
	v_cmp_lt_u32_e32 vcc, s10, v6
                                        ; implicit-def: $vgpr5
	s_and_saveexec_b64 s[10:11], vcc
	s_xor_b64 s[10:11], exec, s[10:11]
; %bb.1048:
	v_bfe_u32 v5, v4, 21, 1
	s_mov_b32 s12, 0x80fffff
	v_add3_u32 v5, v4, v5, s12
	v_lshrrev_b32_e32 v5, 21, v5
; %bb.1049:
	s_andn2_saveexec_b64 s[10:11], s[10:11]
; %bb.1050:
	s_mov_b32 s12, 0x43000000
	v_add_f32_e64 v5, |v4|, s12
; %bb.1051:
	s_or_b64 exec, exec, s[10:11]
                                        ; implicit-def: $vgpr6
.LBB8_1052:
	s_andn2_saveexec_b64 s[8:9], s[8:9]
; %bb.1053:
	s_mov_b32 s10, 0x7f800000
	v_mov_b32_e32 v5, 0x7c
	v_mov_b32_e32 v7, 0x7f
	v_cmp_lt_u32_e32 vcc, s10, v6
	v_cndmask_b32_e32 v5, v5, v7, vcc
; %bb.1054:
	s_or_b64 exec, exec, s[8:9]
	v_lshrrev_b32_e32 v4, 24, v4
	s_movk_i32 s8, 0x80
	v_and_or_b32 v4, v4, s8, v5
	global_store_byte v[8:9], v4, off
.LBB8_1055:
	s_mov_b64 s[8:9], 0
.LBB8_1056:
	s_andn2_b64 vcc, exec, s[8:9]
	s_mov_b64 s[8:9], 0
	s_cbranch_vccnz .LBB8_1064
; %bb.1057:
	s_cmp_gt_i32 s15, 14
	s_mov_b64 s[10:11], -1
	s_cbranch_scc0 .LBB8_1061
; %bb.1058:
	s_cmp_eq_u32 s15, 15
	s_mov_b64 s[4:5], -1
	s_cbranch_scc0 .LBB8_1060
; %bb.1059:
	v_cvt_f32_f64_e32 v4, v[0:1]
	s_movk_i32 s4, 0x7fff
	v_mov_b32_e32 v5, 0x7fc0
	v_bfe_u32 v6, v4, 16, 1
	v_cmp_o_f32_e32 vcc, v4, v4
	v_add3_u32 v4, v4, v6, s4
	v_cndmask_b32_sdwa v4, v5, v4, vcc dst_sel:DWORD dst_unused:UNUSED_PAD src0_sel:DWORD src1_sel:WORD_1
	global_store_short v[8:9], v4, off
	s_mov_b64 s[4:5], 0
.LBB8_1060:
	s_mov_b64 s[10:11], 0
.LBB8_1061:
	s_and_b64 vcc, exec, s[10:11]
	s_cbranch_vccz .LBB8_1064
; %bb.1062:
	s_cmp_lg_u32 s15, 11
	s_cselect_b64 s[10:11], -1, 0
	s_andn2_b64 s[4:5], s[4:5], exec
	s_and_b64 s[10:11], s[10:11], exec
	s_mov_b64 s[8:9], -1
	s_or_b64 s[4:5], s[4:5], s[10:11]
	s_branch .LBB8_1064
.LBB8_1063:
	s_mov_b64 s[8:9], 0
.LBB8_1064:
	s_andn2_b64 s[10:11], s[66:67], exec
	s_and_b64 s[4:5], s[4:5], exec
	s_and_b64 s[6:7], s[6:7], exec
	;; [unrolled: 1-line block ×3, first 2 shown]
	s_or_b64 s[66:67], s[10:11], s[4:5]
	s_or_b64 exec, exec, s[44:45]
	s_and_saveexec_b64 s[4:5], s[66:67]
	s_cbranch_execz .LBB8_1003
.LBB8_1065:
	s_or_b64 s[38:39], s[38:39], exec
	s_andn2_b64 s[8:9], s[8:9], exec
	s_trap 2
	s_or_b64 exec, exec, s[4:5]
	s_and_saveexec_b64 s[4:5], s[8:9]
	s_xor_b64 s[8:9], exec, s[4:5]
	s_cbranch_execnz .LBB8_1004
.LBB8_1066:
	s_or_b64 exec, exec, s[8:9]
	s_and_saveexec_b64 s[4:5], s[6:7]
	s_xor_b64 s[4:5], exec, s[4:5]
	s_cbranch_execz .LBB8_1104
.LBB8_1067:
	s_sext_i32_i16 s8, s14
	s_cmp_lt_i32 s8, 5
	s_mov_b64 s[6:7], -1
	s_cbranch_scc1 .LBB8_1088
; %bb.1068:
	s_cmp_lt_i32 s8, 8
	s_cbranch_scc1 .LBB8_1078
; %bb.1069:
	s_cmp_lt_i32 s8, 9
	s_cbranch_scc1 .LBB8_1075
; %bb.1070:
	s_cmp_gt_i32 s8, 9
	s_cbranch_scc0 .LBB8_1072
; %bb.1071:
	s_mov_b64 s[6:7], 0
	s_waitcnt vmcnt(0)
	global_store_dwordx4 v[8:9], v[0:3], off
.LBB8_1072:
	s_andn2_b64 vcc, exec, s[6:7]
	s_cbranch_vccnz .LBB8_1074
; %bb.1073:
	s_waitcnt vmcnt(0)
	v_cvt_f32_f64_e32 v4, v[0:1]
	v_cvt_f32_f64_e32 v5, v[2:3]
	global_store_dwordx2 v[8:9], v[4:5], off
.LBB8_1074:
	s_mov_b64 s[6:7], 0
.LBB8_1075:
	s_andn2_b64 vcc, exec, s[6:7]
	s_cbranch_vccnz .LBB8_1077
; %bb.1076:
	s_movk_i32 s6, 0x1ff
	s_waitcnt vmcnt(0)
	v_and_or_b32 v4, v1, s6, v0
	v_cmp_ne_u32_e32 vcc, 0, v4
	v_cndmask_b32_e64 v4, 0, 1, vcc
	v_lshrrev_b32_e32 v5, 8, v1
	s_movk_i32 s7, 0xffe
	v_bfe_u32 v6, v1, 20, 11
	v_and_or_b32 v4, v5, s7, v4
	v_sub_u32_e32 v7, 0x3f1, v6
	v_or_b32_e32 v5, 0x1000, v4
	v_med3_i32 v7, v7, 0, 13
	v_lshrrev_b32_e32 v10, v7, v5
	v_lshlrev_b32_e32 v7, v7, v10
	v_cmp_ne_u32_e32 vcc, v7, v5
	v_cndmask_b32_e64 v5, 0, 1, vcc
	v_add_u32_e32 v6, 0xfffffc10, v6
	v_or_b32_e32 v5, v10, v5
	v_lshl_or_b32 v7, v6, 12, v4
	v_cmp_gt_i32_e32 vcc, 1, v6
	v_cndmask_b32_e32 v5, v7, v5, vcc
	v_and_b32_e32 v7, 7, v5
	v_cmp_lt_i32_e32 vcc, 5, v7
	v_cndmask_b32_e64 v10, 0, 1, vcc
	v_cmp_eq_u32_e32 vcc, 3, v7
	v_cndmask_b32_e64 v7, 0, 1, vcc
	v_or_b32_e32 v7, v7, v10
	v_lshrrev_b32_e32 v5, 2, v5
	v_add_u32_e32 v5, v5, v7
	v_mov_b32_e32 v7, 0x7c00
	v_cmp_gt_i32_e32 vcc, 31, v6
	v_cndmask_b32_e32 v5, v7, v5, vcc
	v_mov_b32_e32 v10, 0x7e00
	v_cmp_ne_u32_e32 vcc, 0, v4
	s_movk_i32 s8, 0x40f
	v_cndmask_b32_e32 v4, v7, v10, vcc
	v_cmp_eq_u32_e32 vcc, s8, v6
	v_and_or_b32 v2, v3, s6, v2
	v_cndmask_b32_e32 v4, v5, v4, vcc
	v_lshrrev_b32_e32 v5, 16, v1
	s_mov_b32 s9, 0x8000
	v_cmp_ne_u32_e32 vcc, 0, v2
	v_and_or_b32 v4, v5, s9, v4
	v_cndmask_b32_e64 v2, 0, 1, vcc
	v_lshrrev_b32_e32 v5, 8, v3
	v_bfe_u32 v6, v3, 20, 11
	v_and_or_b32 v2, v5, s7, v2
	v_sub_u32_e32 v11, 0x3f1, v6
	v_or_b32_e32 v5, 0x1000, v2
	v_med3_i32 v11, v11, 0, 13
	v_lshrrev_b32_e32 v12, v11, v5
	v_lshlrev_b32_e32 v11, v11, v12
	v_cmp_ne_u32_e32 vcc, v11, v5
	v_cndmask_b32_e64 v5, 0, 1, vcc
	v_add_u32_e32 v6, 0xfffffc10, v6
	v_or_b32_e32 v5, v12, v5
	v_lshl_or_b32 v11, v6, 12, v2
	v_cmp_gt_i32_e32 vcc, 1, v6
	v_cndmask_b32_e32 v5, v11, v5, vcc
	v_and_b32_e32 v11, 7, v5
	v_cmp_lt_i32_e32 vcc, 5, v11
	v_cndmask_b32_e64 v12, 0, 1, vcc
	v_cmp_eq_u32_e32 vcc, 3, v11
	v_cndmask_b32_e64 v11, 0, 1, vcc
	v_or_b32_e32 v11, v11, v12
	v_lshrrev_b32_e32 v5, 2, v5
	v_add_u32_e32 v5, v5, v11
	v_cmp_gt_i32_e32 vcc, 31, v6
	v_cndmask_b32_e32 v5, v7, v5, vcc
	v_cmp_ne_u32_e32 vcc, 0, v2
	v_cndmask_b32_e32 v2, v7, v10, vcc
	v_cmp_eq_u32_e32 vcc, s8, v6
	v_cndmask_b32_e32 v2, v5, v2, vcc
	v_lshrrev_b32_e32 v3, 16, v3
	v_and_or_b32 v2, v3, s9, v2
	v_and_b32_e32 v3, 0xffff, v4
	v_lshl_or_b32 v2, v2, 16, v3
	global_store_dword v[8:9], v2, off
.LBB8_1077:
	s_mov_b64 s[6:7], 0
.LBB8_1078:
	s_andn2_b64 vcc, exec, s[6:7]
	s_cbranch_vccnz .LBB8_1087
; %bb.1079:
	s_sext_i32_i16 s8, s14
	s_cmp_lt_i32 s8, 6
	s_mov_b64 s[6:7], -1
	s_cbranch_scc1 .LBB8_1085
; %bb.1080:
	s_cmp_gt_i32 s8, 6
	s_cbranch_scc0 .LBB8_1082
; %bb.1081:
	s_mov_b64 s[6:7], 0
	s_waitcnt vmcnt(0)
	global_store_dwordx2 v[8:9], v[0:1], off
.LBB8_1082:
	s_andn2_b64 vcc, exec, s[6:7]
	s_cbranch_vccnz .LBB8_1084
; %bb.1083:
	s_waitcnt vmcnt(0)
	v_cvt_f32_f64_e32 v2, v[0:1]
	global_store_dword v[8:9], v2, off
.LBB8_1084:
	s_mov_b64 s[6:7], 0
.LBB8_1085:
	s_andn2_b64 vcc, exec, s[6:7]
	s_cbranch_vccnz .LBB8_1087
; %bb.1086:
	s_movk_i32 s6, 0x1ff
	s_waitcnt vmcnt(0)
	v_and_or_b32 v2, v1, s6, v0
	v_cmp_ne_u32_e32 vcc, 0, v2
	v_cndmask_b32_e64 v2, 0, 1, vcc
	v_lshrrev_b32_e32 v3, 8, v1
	s_movk_i32 s6, 0xffe
	v_bfe_u32 v4, v1, 20, 11
	v_and_or_b32 v2, v3, s6, v2
	v_sub_u32_e32 v5, 0x3f1, v4
	v_or_b32_e32 v3, 0x1000, v2
	v_med3_i32 v5, v5, 0, 13
	v_lshrrev_b32_e32 v6, v5, v3
	v_lshlrev_b32_e32 v5, v5, v6
	v_cmp_ne_u32_e32 vcc, v5, v3
	v_cndmask_b32_e64 v3, 0, 1, vcc
	v_add_u32_e32 v4, 0xfffffc10, v4
	v_or_b32_e32 v3, v6, v3
	v_lshl_or_b32 v5, v4, 12, v2
	v_cmp_gt_i32_e32 vcc, 1, v4
	v_cndmask_b32_e32 v3, v5, v3, vcc
	v_and_b32_e32 v5, 7, v3
	v_cmp_lt_i32_e32 vcc, 5, v5
	v_cndmask_b32_e64 v6, 0, 1, vcc
	v_cmp_eq_u32_e32 vcc, 3, v5
	v_cndmask_b32_e64 v5, 0, 1, vcc
	v_or_b32_e32 v5, v5, v6
	v_lshrrev_b32_e32 v3, 2, v3
	v_add_u32_e32 v3, v3, v5
	v_mov_b32_e32 v5, 0x7c00
	v_cmp_gt_i32_e32 vcc, 31, v4
	v_cndmask_b32_e32 v3, v5, v3, vcc
	v_mov_b32_e32 v6, 0x7e00
	v_cmp_ne_u32_e32 vcc, 0, v2
	s_movk_i32 s6, 0x40f
	v_cndmask_b32_e32 v2, v5, v6, vcc
	v_cmp_eq_u32_e32 vcc, s6, v4
	v_cndmask_b32_e32 v2, v3, v2, vcc
	v_lshrrev_b32_e32 v3, 16, v1
	s_mov_b32 s6, 0x8000
	v_and_or_b32 v2, v3, s6, v2
	global_store_short v[8:9], v2, off
.LBB8_1087:
	s_mov_b64 s[6:7], 0
.LBB8_1088:
	s_andn2_b64 vcc, exec, s[6:7]
	s_cbranch_vccnz .LBB8_1104
; %bb.1089:
	s_sext_i32_i16 s8, s14
	s_cmp_lt_i32 s8, 2
	s_mov_b64 s[6:7], -1
	s_cbranch_scc1 .LBB8_1099
; %bb.1090:
	s_cmp_lt_i32 s8, 3
	s_cbranch_scc1 .LBB8_1096
; %bb.1091:
	s_cmp_gt_i32 s8, 3
	s_cbranch_scc0 .LBB8_1093
; %bb.1092:
	s_waitcnt vmcnt(0)
	v_trunc_f64_e32 v[2:3], v[0:1]
	s_movk_i32 s6, 0xffe0
	v_ldexp_f64 v[4:5], v[2:3], s6
	s_mov_b32 s6, 0
	s_mov_b32 s7, 0xc1f00000
	v_floor_f64_e32 v[4:5], v[4:5]
	v_fma_f64 v[2:3], v[4:5], s[6:7], v[2:3]
	v_cvt_i32_f64_e32 v4, v[4:5]
	s_mov_b64 s[6:7], 0
	v_cvt_u32_f64_e32 v3, v[2:3]
	global_store_dwordx2 v[8:9], v[3:4], off
.LBB8_1093:
	s_andn2_b64 vcc, exec, s[6:7]
	s_cbranch_vccnz .LBB8_1095
; %bb.1094:
	s_waitcnt vmcnt(0)
	v_cvt_i32_f64_e32 v2, v[0:1]
	global_store_dword v[8:9], v2, off
.LBB8_1095:
	s_mov_b64 s[6:7], 0
.LBB8_1096:
	s_andn2_b64 vcc, exec, s[6:7]
	s_cbranch_vccnz .LBB8_1098
; %bb.1097:
	s_waitcnt vmcnt(0)
	v_cvt_i32_f64_e32 v2, v[0:1]
	global_store_short v[8:9], v2, off
.LBB8_1098:
	s_mov_b64 s[6:7], 0
.LBB8_1099:
	s_andn2_b64 vcc, exec, s[6:7]
	s_cbranch_vccnz .LBB8_1104
; %bb.1100:
	s_sext_i32_i16 s6, s14
	s_cmp_gt_i32 s6, 0
	s_mov_b64 s[6:7], -1
	s_cbranch_scc0 .LBB8_1102
; %bb.1101:
	s_waitcnt vmcnt(0)
	v_cvt_i32_f64_e32 v2, v[0:1]
	s_mov_b64 s[6:7], 0
	global_store_byte v[8:9], v2, off
.LBB8_1102:
	s_andn2_b64 vcc, exec, s[6:7]
	s_cbranch_vccnz .LBB8_1104
; %bb.1103:
	s_waitcnt vmcnt(0)
	v_trunc_f64_e32 v[0:1], v[0:1]
	s_movk_i32 s6, 0xffe0
	v_ldexp_f64 v[2:3], v[0:1], s6
	s_mov_b32 s6, 0
	s_mov_b32 s7, 0xc1f00000
	v_floor_f64_e32 v[2:3], v[2:3]
	v_fma_f64 v[0:1], v[2:3], s[6:7], v[0:1]
	v_cvt_u32_f64_e32 v0, v[0:1]
	global_store_byte v[8:9], v0, off
.LBB8_1104:
	s_or_b64 exec, exec, s[4:5]
	s_and_b64 s[44:45], s[38:39], exec
                                        ; implicit-def: $vgpr6
                                        ; implicit-def: $vgpr43
.LBB8_1105:
	s_or_saveexec_b64 s[46:47], s[56:57]
	s_mov_b64 s[8:9], 0
                                        ; implicit-def: $vgpr4_vgpr5
                                        ; implicit-def: $sgpr14
                                        ; implicit-def: $vgpr2_vgpr3
	s_xor_b64 exec, exec, s[46:47]
	s_cbranch_execz .LBB8_2129
; %bb.1106:
	s_waitcnt vmcnt(0)
	v_cndmask_b32_e64 v0, 0, 1, s[54:55]
	v_cmp_ne_u32_e64 s[4:5], 1, v0
	s_andn2_b64 vcc, exec, s[54:55]
	s_cbranch_vccnz .LBB8_1112
; %bb.1107:
	s_cmp_lg_u32 s33, 0
	s_mov_b32 s30, 0
	s_cbranch_scc0 .LBB8_1113
; %bb.1108:
	s_min_u32 s31, s82, 15
	s_add_i32 s31, s31, 1
	s_cmp_eq_u32 s82, 2
	s_cbranch_scc1 .LBB8_1114
; %bb.1109:
	s_and_b32 s30, s31, 28
	s_add_u32 s6, s42, 0xc4
	s_addc_u32 s7, s43, 0
	v_mov_b32_e32 v0, 0
	s_mov_b32 s36, 0
	s_mov_b64 s[28:29], s[42:43]
	v_mov_b32_e32 v60, 0
	v_mov_b32_e32 v1, v43
.LBB8_1110:                             ; =>This Inner Loop Header: Depth=1
	s_load_dwordx8 s[16:23], s[28:29], 0x4
	s_load_dwordx4 s[24:27], s[28:29], 0x24
	s_load_dwordx8 s[8:15], s[6:7], 0x0
	s_add_u32 s28, s28, 48
	s_addc_u32 s29, s29, 0
	s_waitcnt lgkmcnt(0)
	v_mul_hi_u32 v2, s17, v1
	s_add_i32 s36, s36, 4
	s_add_u32 s6, s6, 32
	s_addc_u32 s7, s7, 0
	v_add_u32_e32 v2, v1, v2
	v_lshrrev_b32_e32 v2, s18, v2
	v_mul_lo_u32 v3, v2, s16
	v_mul_hi_u32 v4, s20, v2
	s_cmp_lg_u32 s30, s36
	v_sub_u32_e32 v1, v1, v3
	v_add_u32_e32 v3, v2, v4
	v_mul_lo_u32 v4, v1, s8
	v_mul_lo_u32 v5, v1, s9
	v_lshrrev_b32_e32 v1, s21, v3
	v_mul_lo_u32 v3, v1, s19
	v_mul_hi_u32 v7, s23, v1
	v_sub_u32_e32 v2, v2, v3
	v_add_u32_e32 v3, v1, v7
	v_lshrrev_b32_e32 v3, s24, v3
	v_mul_hi_u32 v8, s26, v3
	v_mul_lo_u32 v9, v3, s22
	v_mul_lo_u32 v7, v2, s10
	;; [unrolled: 1-line block ×3, first 2 shown]
	v_sub_u32_e32 v9, v1, v9
	v_add_u32_e32 v1, v3, v8
	v_lshrrev_b32_e32 v1, s27, v1
	v_mul_lo_u32 v8, v1, s25
	v_mul_lo_u32 v10, v9, s12
	;; [unrolled: 1-line block ×3, first 2 shown]
	v_add3_u32 v4, v4, v60, v7
	v_sub_u32_e32 v3, v3, v8
	v_mul_lo_u32 v8, v3, s14
	v_mul_lo_u32 v3, v3, s15
	v_add3_u32 v0, v5, v0, v2
	v_add3_u32 v60, v10, v4, v8
	;; [unrolled: 1-line block ×3, first 2 shown]
	s_cbranch_scc1 .LBB8_1110
; %bb.1111:
	s_and_b32 s10, s31, 3
	s_cmp_eq_u32 s10, 0
	s_cbranch_scc0 .LBB8_1115
	s_branch .LBB8_1117
.LBB8_1112:
                                        ; implicit-def: $vgpr60
                                        ; implicit-def: $vgpr0
	s_branch .LBB8_1118
.LBB8_1113:
	v_mov_b32_e32 v60, 0
	v_mov_b32_e32 v0, 0
	s_branch .LBB8_1117
.LBB8_1114:
	v_mov_b32_e32 v60, 0
	v_mov_b32_e32 v0, 0
	;; [unrolled: 1-line block ×3, first 2 shown]
	s_and_b32 s10, s31, 3
	s_cmp_eq_u32 s10, 0
	s_cbranch_scc1 .LBB8_1117
.LBB8_1115:
	s_lshl_b32 s6, s30, 3
	s_add_u32 s6, s42, s6
	s_addc_u32 s7, s43, 0
	s_add_u32 s6, s6, 0xc4
	s_addc_u32 s7, s7, 0
	s_mul_i32 s8, s30, 12
	s_add_u32 s8, s42, s8
	s_addc_u32 s9, s43, 0
.LBB8_1116:                             ; =>This Inner Loop Header: Depth=1
	s_load_dwordx2 s[12:13], s[8:9], 0x4
	s_load_dword s11, s[8:9], 0xc
	s_load_dwordx2 s[14:15], s[6:7], 0x0
	s_add_u32 s8, s8, 12
	s_addc_u32 s9, s9, 0
	s_waitcnt lgkmcnt(0)
	v_mul_hi_u32 v2, s13, v1
	s_add_u32 s6, s6, 8
	s_addc_u32 s7, s7, 0
	s_add_i32 s10, s10, -1
	v_add_u32_e32 v2, v1, v2
	v_lshrrev_b32_e32 v2, s11, v2
	v_mul_lo_u32 v3, v2, s12
	s_cmp_lg_u32 s10, 0
	v_sub_u32_e32 v1, v1, v3
	v_mad_u64_u32 v[60:61], s[12:13], v1, s14, v[60:61]
	v_mad_u64_u32 v[0:1], s[12:13], v1, s15, v[0:1]
	v_mov_b32_e32 v1, v2
	s_cbranch_scc1 .LBB8_1116
.LBB8_1117:
	s_cbranch_execnz .LBB8_1120
.LBB8_1118:
	s_load_dwordx4 s[8:11], s[42:43], 0x4
	s_load_dwordx2 s[6:7], s[42:43], 0xc4
	s_cmp_lt_u32 s33, 2
	s_waitcnt lgkmcnt(0)
	v_mul_hi_u32 v0, s9, v43
	v_add_u32_e32 v0, v43, v0
	v_lshrrev_b32_e32 v1, s10, v0
	v_mul_lo_u32 v0, v1, s8
	v_sub_u32_e32 v0, v43, v0
	v_mul_lo_u32 v60, v0, s6
	v_mul_lo_u32 v0, v0, s7
	s_cbranch_scc1 .LBB8_1120
; %bb.1119:
	s_load_dwordx4 s[8:11], s[42:43], 0x10
	s_load_dwordx2 s[6:7], s[42:43], 0xcc
	s_waitcnt lgkmcnt(0)
	v_mul_hi_u32 v2, s9, v1
	v_add_u32_e32 v2, v1, v2
	v_lshrrev_b32_e32 v2, s10, v2
	v_mul_lo_u32 v2, v2, s8
	v_sub_u32_e32 v1, v1, v2
	v_mad_u64_u32 v[60:61], s[8:9], v1, s6, v[60:61]
	v_mad_u64_u32 v[0:1], s[6:7], v1, s7, v[0:1]
.LBB8_1120:
	s_and_b64 vcc, exec, s[4:5]
	v_add_u32_e32 v1, 0x80, v43
	s_cbranch_vccnz .LBB8_1126
; %bb.1121:
	s_cmp_lg_u32 s33, 0
	s_mov_b32 s30, 0
	s_cbranch_scc0 .LBB8_1127
; %bb.1122:
	s_min_u32 s31, s82, 15
	s_add_i32 s31, s31, 1
	s_cmp_eq_u32 s82, 2
	s_cbranch_scc1 .LBB8_1128
; %bb.1123:
	s_and_b32 s30, s31, 28
	s_add_u32 s6, s42, 0xc4
	s_addc_u32 s7, s43, 0
	v_mov_b32_e32 v41, 0
	s_mov_b32 s36, 0
	s_mov_b64 s[28:29], s[42:43]
	v_mov_b32_e32 v58, 0
	v_mov_b32_e32 v2, v1
.LBB8_1124:                             ; =>This Inner Loop Header: Depth=1
	s_load_dwordx8 s[16:23], s[28:29], 0x4
	s_load_dwordx4 s[24:27], s[28:29], 0x24
	s_load_dwordx8 s[8:15], s[6:7], 0x0
	s_add_u32 s28, s28, 48
	s_addc_u32 s29, s29, 0
	s_waitcnt lgkmcnt(0)
	v_mul_hi_u32 v3, s17, v2
	s_add_i32 s36, s36, 4
	s_add_u32 s6, s6, 32
	s_addc_u32 s7, s7, 0
	v_add_u32_e32 v3, v2, v3
	v_lshrrev_b32_e32 v3, s18, v3
	v_mul_lo_u32 v4, v3, s16
	v_mul_hi_u32 v5, s20, v3
	s_cmp_lg_u32 s30, s36
	v_sub_u32_e32 v2, v2, v4
	v_add_u32_e32 v4, v3, v5
	v_mul_lo_u32 v5, v2, s8
	v_mul_lo_u32 v7, v2, s9
	v_lshrrev_b32_e32 v2, s21, v4
	v_mul_lo_u32 v4, v2, s19
	v_mul_hi_u32 v8, s23, v2
	v_sub_u32_e32 v3, v3, v4
	v_add_u32_e32 v4, v2, v8
	v_lshrrev_b32_e32 v4, s24, v4
	v_mul_hi_u32 v9, s26, v4
	v_mul_lo_u32 v10, v4, s22
	v_mul_lo_u32 v8, v3, s10
	;; [unrolled: 1-line block ×3, first 2 shown]
	v_sub_u32_e32 v10, v2, v10
	v_add_u32_e32 v2, v4, v9
	v_lshrrev_b32_e32 v2, s27, v2
	v_mul_lo_u32 v9, v2, s25
	v_mul_lo_u32 v11, v10, s12
	;; [unrolled: 1-line block ×3, first 2 shown]
	v_add3_u32 v5, v5, v58, v8
	v_sub_u32_e32 v4, v4, v9
	v_mul_lo_u32 v9, v4, s14
	v_mul_lo_u32 v4, v4, s15
	v_add3_u32 v3, v7, v41, v3
	v_add3_u32 v58, v11, v5, v9
	;; [unrolled: 1-line block ×3, first 2 shown]
	s_cbranch_scc1 .LBB8_1124
; %bb.1125:
	s_and_b32 s10, s31, 3
	s_cmp_eq_u32 s10, 0
	s_cbranch_scc0 .LBB8_1129
	s_branch .LBB8_1131
.LBB8_1126:
                                        ; implicit-def: $vgpr58
                                        ; implicit-def: $vgpr41
	s_branch .LBB8_1132
.LBB8_1127:
	v_mov_b32_e32 v58, 0
	v_mov_b32_e32 v41, 0
	s_branch .LBB8_1131
.LBB8_1128:
	v_mov_b32_e32 v58, 0
	v_mov_b32_e32 v41, 0
	;; [unrolled: 1-line block ×3, first 2 shown]
	s_and_b32 s10, s31, 3
	s_cmp_eq_u32 s10, 0
	s_cbranch_scc1 .LBB8_1131
.LBB8_1129:
	s_lshl_b32 s6, s30, 3
	s_add_u32 s6, s42, s6
	s_addc_u32 s7, s43, 0
	s_add_u32 s6, s6, 0xc4
	s_addc_u32 s7, s7, 0
	s_mul_i32 s8, s30, 12
	s_add_u32 s8, s42, s8
	s_addc_u32 s9, s43, 0
.LBB8_1130:                             ; =>This Inner Loop Header: Depth=1
	s_load_dwordx2 s[12:13], s[8:9], 0x4
	s_load_dword s11, s[8:9], 0xc
	s_load_dwordx2 s[14:15], s[6:7], 0x0
	s_add_u32 s8, s8, 12
	s_addc_u32 s9, s9, 0
	s_waitcnt lgkmcnt(0)
	v_mul_hi_u32 v3, s13, v2
	s_add_u32 s6, s6, 8
	s_addc_u32 s7, s7, 0
	s_add_i32 s10, s10, -1
	v_add_u32_e32 v3, v2, v3
	v_lshrrev_b32_e32 v3, s11, v3
	v_mul_lo_u32 v4, v3, s12
	s_cmp_lg_u32 s10, 0
	v_sub_u32_e32 v2, v2, v4
	v_mad_u64_u32 v[58:59], s[12:13], v2, s14, v[58:59]
	v_mad_u64_u32 v[41:42], s[12:13], v2, s15, v[41:42]
	v_mov_b32_e32 v2, v3
	s_cbranch_scc1 .LBB8_1130
.LBB8_1131:
	s_cbranch_execnz .LBB8_1134
.LBB8_1132:
	s_load_dwordx4 s[8:11], s[42:43], 0x4
	s_load_dwordx2 s[6:7], s[42:43], 0xc4
	s_cmp_lt_u32 s33, 2
	s_waitcnt lgkmcnt(0)
	v_mul_hi_u32 v2, s9, v1
	v_add_u32_e32 v2, v1, v2
	v_lshrrev_b32_e32 v2, s10, v2
	v_mul_lo_u32 v3, v2, s8
	v_sub_u32_e32 v1, v1, v3
	v_mul_lo_u32 v58, v1, s6
	v_mul_lo_u32 v41, v1, s7
	s_cbranch_scc1 .LBB8_1134
; %bb.1133:
	s_load_dwordx4 s[8:11], s[42:43], 0x10
	s_load_dwordx2 s[6:7], s[42:43], 0xcc
	s_waitcnt lgkmcnt(0)
	v_mul_hi_u32 v1, s9, v2
	v_add_u32_e32 v1, v2, v1
	v_lshrrev_b32_e32 v1, s10, v1
	v_mul_lo_u32 v1, v1, s8
	v_sub_u32_e32 v1, v2, v1
	v_mad_u64_u32 v[58:59], s[8:9], v1, s6, v[58:59]
	v_mad_u64_u32 v[41:42], s[6:7], v1, s7, v[41:42]
.LBB8_1134:
	s_and_b64 vcc, exec, s[4:5]
	v_add_u32_e32 v1, 0x100, v43
	s_cbranch_vccnz .LBB8_1140
; %bb.1135:
	s_cmp_lg_u32 s33, 0
	s_mov_b32 s30, 0
	s_cbranch_scc0 .LBB8_1141
; %bb.1136:
	s_min_u32 s31, s82, 15
	s_add_i32 s31, s31, 1
	s_cmp_eq_u32 s82, 2
	s_cbranch_scc1 .LBB8_1142
; %bb.1137:
	s_and_b32 s30, s31, 28
	s_add_u32 s6, s42, 0xc4
	s_addc_u32 s7, s43, 0
	v_mov_b32_e32 v39, 0
	s_mov_b32 s36, 0
	s_mov_b64 s[28:29], s[42:43]
	v_mov_b32_e32 v56, 0
	v_mov_b32_e32 v2, v1
.LBB8_1138:                             ; =>This Inner Loop Header: Depth=1
	s_load_dwordx8 s[16:23], s[28:29], 0x4
	s_load_dwordx4 s[24:27], s[28:29], 0x24
	s_load_dwordx8 s[8:15], s[6:7], 0x0
	s_add_u32 s28, s28, 48
	s_addc_u32 s29, s29, 0
	s_waitcnt lgkmcnt(0)
	v_mul_hi_u32 v3, s17, v2
	s_add_i32 s36, s36, 4
	s_add_u32 s6, s6, 32
	s_addc_u32 s7, s7, 0
	v_add_u32_e32 v3, v2, v3
	v_lshrrev_b32_e32 v3, s18, v3
	v_mul_lo_u32 v4, v3, s16
	v_mul_hi_u32 v5, s20, v3
	s_cmp_lg_u32 s30, s36
	v_sub_u32_e32 v2, v2, v4
	v_add_u32_e32 v4, v3, v5
	v_mul_lo_u32 v5, v2, s8
	v_mul_lo_u32 v7, v2, s9
	v_lshrrev_b32_e32 v2, s21, v4
	v_mul_lo_u32 v4, v2, s19
	v_mul_hi_u32 v8, s23, v2
	v_sub_u32_e32 v3, v3, v4
	v_add_u32_e32 v4, v2, v8
	v_lshrrev_b32_e32 v4, s24, v4
	v_mul_hi_u32 v9, s26, v4
	v_mul_lo_u32 v10, v4, s22
	v_mul_lo_u32 v8, v3, s10
	;; [unrolled: 1-line block ×3, first 2 shown]
	v_sub_u32_e32 v10, v2, v10
	v_add_u32_e32 v2, v4, v9
	v_lshrrev_b32_e32 v2, s27, v2
	v_mul_lo_u32 v9, v2, s25
	v_mul_lo_u32 v11, v10, s12
	;; [unrolled: 1-line block ×3, first 2 shown]
	v_add3_u32 v5, v5, v56, v8
	v_sub_u32_e32 v4, v4, v9
	v_mul_lo_u32 v9, v4, s14
	v_mul_lo_u32 v4, v4, s15
	v_add3_u32 v3, v7, v39, v3
	v_add3_u32 v56, v11, v5, v9
	;; [unrolled: 1-line block ×3, first 2 shown]
	s_cbranch_scc1 .LBB8_1138
; %bb.1139:
	s_and_b32 s10, s31, 3
	s_cmp_eq_u32 s10, 0
	s_cbranch_scc0 .LBB8_1143
	s_branch .LBB8_1145
.LBB8_1140:
                                        ; implicit-def: $vgpr56
                                        ; implicit-def: $vgpr39
	s_branch .LBB8_1146
.LBB8_1141:
	v_mov_b32_e32 v56, 0
	v_mov_b32_e32 v39, 0
	s_branch .LBB8_1145
.LBB8_1142:
	v_mov_b32_e32 v56, 0
	v_mov_b32_e32 v39, 0
	;; [unrolled: 1-line block ×3, first 2 shown]
	s_and_b32 s10, s31, 3
	s_cmp_eq_u32 s10, 0
	s_cbranch_scc1 .LBB8_1145
.LBB8_1143:
	s_lshl_b32 s6, s30, 3
	s_add_u32 s6, s42, s6
	s_addc_u32 s7, s43, 0
	s_add_u32 s6, s6, 0xc4
	s_addc_u32 s7, s7, 0
	s_mul_i32 s8, s30, 12
	s_add_u32 s8, s42, s8
	s_addc_u32 s9, s43, 0
.LBB8_1144:                             ; =>This Inner Loop Header: Depth=1
	s_load_dwordx2 s[12:13], s[8:9], 0x4
	s_load_dword s11, s[8:9], 0xc
	s_load_dwordx2 s[14:15], s[6:7], 0x0
	s_add_u32 s8, s8, 12
	s_addc_u32 s9, s9, 0
	s_waitcnt lgkmcnt(0)
	v_mul_hi_u32 v3, s13, v2
	s_add_u32 s6, s6, 8
	s_addc_u32 s7, s7, 0
	s_add_i32 s10, s10, -1
	v_add_u32_e32 v3, v2, v3
	v_lshrrev_b32_e32 v3, s11, v3
	v_mul_lo_u32 v4, v3, s12
	s_cmp_lg_u32 s10, 0
	v_sub_u32_e32 v2, v2, v4
	v_mad_u64_u32 v[56:57], s[12:13], v2, s14, v[56:57]
	v_mad_u64_u32 v[39:40], s[12:13], v2, s15, v[39:40]
	v_mov_b32_e32 v2, v3
	s_cbranch_scc1 .LBB8_1144
.LBB8_1145:
	s_cbranch_execnz .LBB8_1148
.LBB8_1146:
	s_load_dwordx4 s[8:11], s[42:43], 0x4
	s_load_dwordx2 s[6:7], s[42:43], 0xc4
	s_cmp_lt_u32 s33, 2
	s_waitcnt lgkmcnt(0)
	v_mul_hi_u32 v2, s9, v1
	v_add_u32_e32 v2, v1, v2
	v_lshrrev_b32_e32 v2, s10, v2
	v_mul_lo_u32 v3, v2, s8
	v_sub_u32_e32 v1, v1, v3
	v_mul_lo_u32 v56, v1, s6
	v_mul_lo_u32 v39, v1, s7
	s_cbranch_scc1 .LBB8_1148
; %bb.1147:
	s_load_dwordx4 s[8:11], s[42:43], 0x10
	s_load_dwordx2 s[6:7], s[42:43], 0xcc
	s_waitcnt lgkmcnt(0)
	v_mul_hi_u32 v1, s9, v2
	v_add_u32_e32 v1, v2, v1
	v_lshrrev_b32_e32 v1, s10, v1
	v_mul_lo_u32 v1, v1, s8
	v_sub_u32_e32 v1, v2, v1
	v_mad_u64_u32 v[56:57], s[8:9], v1, s6, v[56:57]
	v_mad_u64_u32 v[39:40], s[6:7], v1, s7, v[39:40]
.LBB8_1148:
	s_and_b64 vcc, exec, s[4:5]
	s_cbranch_vccnz .LBB8_1154
; %bb.1149:
	s_cmp_lg_u32 s33, 0
	s_mov_b32 s28, 0
	s_cbranch_scc0 .LBB8_1155
; %bb.1150:
	s_min_u32 s29, s82, 15
	s_add_i32 s29, s29, 1
	s_cmp_eq_u32 s82, 2
	s_cbranch_scc1 .LBB8_1156
; %bb.1151:
	s_and_b32 s28, s29, 28
	s_add_u32 s24, s42, 0xc4
	s_addc_u32 s25, s43, 0
	v_mov_b32_e32 v61, 0
	s_mov_b32 s30, 0
	s_mov_b64 s[26:27], s[42:43]
	v_mov_b32_e32 v54, 0
	v_mov_b32_e32 v1, v6
.LBB8_1152:                             ; =>This Inner Loop Header: Depth=1
	s_load_dwordx8 s[12:19], s[26:27], 0x4
	s_load_dwordx4 s[20:23], s[26:27], 0x24
	s_load_dwordx8 s[4:11], s[24:25], 0x0
	s_add_u32 s26, s26, 48
	s_addc_u32 s27, s27, 0
	s_waitcnt lgkmcnt(0)
	v_mul_hi_u32 v2, s13, v1
	s_add_i32 s30, s30, 4
	s_add_u32 s24, s24, 32
	s_addc_u32 s25, s25, 0
	v_add_u32_e32 v2, v1, v2
	v_lshrrev_b32_e32 v2, s14, v2
	v_mul_lo_u32 v3, v2, s12
	v_mul_hi_u32 v4, s16, v2
	s_cmp_lg_u32 s28, s30
	v_sub_u32_e32 v1, v1, v3
	v_add_u32_e32 v3, v2, v4
	v_mul_lo_u32 v4, v1, s4
	v_mul_lo_u32 v5, v1, s5
	v_lshrrev_b32_e32 v1, s17, v3
	v_mul_lo_u32 v3, v1, s15
	v_mul_hi_u32 v7, s19, v1
	v_sub_u32_e32 v2, v2, v3
	v_add_u32_e32 v3, v1, v7
	v_lshrrev_b32_e32 v3, s20, v3
	v_mul_hi_u32 v8, s22, v3
	v_mul_lo_u32 v9, v3, s18
	v_mul_lo_u32 v7, v2, s6
	;; [unrolled: 1-line block ×3, first 2 shown]
	v_sub_u32_e32 v9, v1, v9
	v_add_u32_e32 v1, v3, v8
	v_lshrrev_b32_e32 v1, s23, v1
	v_mul_lo_u32 v8, v1, s21
	v_mul_lo_u32 v10, v9, s8
	;; [unrolled: 1-line block ×3, first 2 shown]
	v_add3_u32 v4, v4, v54, v7
	v_sub_u32_e32 v3, v3, v8
	v_mul_lo_u32 v8, v3, s10
	v_mul_lo_u32 v3, v3, s11
	v_add3_u32 v2, v5, v61, v2
	v_add3_u32 v54, v10, v4, v8
	v_add3_u32 v61, v9, v2, v3
	s_cbranch_scc1 .LBB8_1152
; %bb.1153:
	s_and_b32 s8, s29, 3
	s_cmp_eq_u32 s8, 0
	s_cbranch_scc0 .LBB8_1157
	s_branch .LBB8_1159
.LBB8_1154:
                                        ; implicit-def: $vgpr54
                                        ; implicit-def: $vgpr61
	s_branch .LBB8_1160
.LBB8_1155:
	v_mov_b32_e32 v54, 0
	v_mov_b32_e32 v61, 0
	s_branch .LBB8_1159
.LBB8_1156:
	v_mov_b32_e32 v54, 0
	v_mov_b32_e32 v61, 0
	;; [unrolled: 1-line block ×3, first 2 shown]
	s_and_b32 s8, s29, 3
	s_cmp_eq_u32 s8, 0
	s_cbranch_scc1 .LBB8_1159
.LBB8_1157:
	s_lshl_b32 s4, s28, 3
	s_add_u32 s4, s42, s4
	s_addc_u32 s5, s43, 0
	s_add_u32 s4, s4, 0xc4
	s_addc_u32 s5, s5, 0
	s_mul_i32 s6, s28, 12
	s_add_u32 s6, s42, s6
	s_addc_u32 s7, s43, 0
.LBB8_1158:                             ; =>This Inner Loop Header: Depth=1
	s_load_dwordx2 s[10:11], s[6:7], 0x4
	s_load_dword s9, s[6:7], 0xc
	s_load_dwordx2 s[12:13], s[4:5], 0x0
	s_add_u32 s6, s6, 12
	s_addc_u32 s7, s7, 0
	s_waitcnt lgkmcnt(0)
	v_mul_hi_u32 v2, s11, v1
	s_add_u32 s4, s4, 8
	s_addc_u32 s5, s5, 0
	s_add_i32 s8, s8, -1
	v_add_u32_e32 v2, v1, v2
	v_lshrrev_b32_e32 v2, s9, v2
	v_mul_lo_u32 v3, v2, s10
	s_cmp_lg_u32 s8, 0
	v_sub_u32_e32 v1, v1, v3
	v_mad_u64_u32 v[54:55], s[10:11], v1, s12, v[54:55]
	v_mad_u64_u32 v[61:62], s[10:11], v1, s13, v[61:62]
	v_mov_b32_e32 v1, v2
	s_cbranch_scc1 .LBB8_1158
.LBB8_1159:
	s_cbranch_execnz .LBB8_1162
.LBB8_1160:
	s_load_dwordx4 s[4:7], s[42:43], 0x4
	s_load_dwordx2 s[8:9], s[42:43], 0xc4
	s_cmp_lt_u32 s33, 2
	s_waitcnt lgkmcnt(0)
	v_mul_hi_u32 v1, s5, v6
	v_add_u32_e32 v1, v6, v1
	v_lshrrev_b32_e32 v1, s6, v1
	v_mul_lo_u32 v2, v1, s4
	v_sub_u32_e32 v2, v6, v2
	v_mul_lo_u32 v54, v2, s8
	v_mul_lo_u32 v61, v2, s9
	s_cbranch_scc1 .LBB8_1162
; %bb.1161:
	s_load_dwordx4 s[4:7], s[42:43], 0x10
	s_load_dwordx2 s[8:9], s[42:43], 0xcc
	s_waitcnt lgkmcnt(0)
	v_mul_hi_u32 v2, s5, v1
	v_add_u32_e32 v2, v1, v2
	v_lshrrev_b32_e32 v2, s6, v2
	v_mul_lo_u32 v2, v2, s4
	v_sub_u32_e32 v1, v1, v2
	v_mad_u64_u32 v[54:55], s[4:5], v1, s8, v[54:55]
	v_mad_u64_u32 v[61:62], s[4:5], v1, s9, v[61:62]
.LBB8_1162:
	s_load_dwordx4 s[36:39], s[42:43], 0x148
	s_load_dword s27, s[34:35], 0x160
	s_waitcnt lgkmcnt(0)
	v_mov_b32_e32 v1, s39
	s_bfe_u32 s14, s27, 0x80010
	v_add_co_u32_e32 v4, vcc, s38, v0
	s_cmp_lt_i32 s14, 11
	v_addc_co_u32_e32 v5, vcc, 0, v1, vcc
	s_cbranch_scc1 .LBB8_1169
; %bb.1163:
	s_and_b32 s15, 0xffff, s14
	s_cmp_gt_i32 s15, 25
	s_mov_b64 s[6:7], 0
	s_cbranch_scc0 .LBB8_1171
; %bb.1164:
	s_cmp_gt_i32 s15, 28
	s_cbranch_scc0 .LBB8_1172
; %bb.1165:
	s_cmp_gt_i32 s15, 43
	;; [unrolled: 3-line block ×3, first 2 shown]
	s_cbranch_scc0 .LBB8_1174
; %bb.1167:
	s_cmp_eq_u32 s15, 46
	s_mov_b64 s[10:11], 0
	s_cbranch_scc0 .LBB8_1177
; %bb.1168:
	global_load_dword v0, v[4:5], off
	s_mov_b64 s[4:5], 0
	s_mov_b64 s[8:9], -1
	s_waitcnt vmcnt(0)
	v_and_b32_e32 v2, 0xffff0000, v0
	v_lshlrev_b32_e32 v0, 16, v0
	v_cvt_f64_f32_e32 v[0:1], v0
	v_cvt_f64_f32_e32 v[2:3], v2
	s_branch .LBB8_1178
.LBB8_1169:
	s_mov_b64 s[8:9], 0
                                        ; implicit-def: $vgpr2_vgpr3
	s_mov_b64 s[34:35], s[44:45]
	s_cbranch_execnz .LBB8_1244
.LBB8_1170:
	s_andn2_b64 vcc, exec, s[8:9]
	s_cbranch_vccz .LBB8_1291
	s_branch .LBB8_2127
.LBB8_1171:
	s_mov_b64 s[8:9], 0
	s_mov_b64 s[4:5], 0
                                        ; implicit-def: $vgpr2_vgpr3
	s_cbranch_execnz .LBB8_1210
	s_branch .LBB8_1240
.LBB8_1172:
	s_mov_b64 s[8:9], 0
	s_mov_b64 s[4:5], 0
                                        ; implicit-def: $vgpr2_vgpr3
	s_cbranch_execnz .LBB8_1190
	s_branch .LBB8_1209
.LBB8_1173:
	s_mov_b64 s[10:11], -1
	s_mov_b64 s[8:9], 0
	s_mov_b64 s[4:5], 0
                                        ; implicit-def: $vgpr2_vgpr3
	s_branch .LBB8_1184
.LBB8_1174:
	s_mov_b64 s[10:11], -1
	s_mov_b64 s[8:9], 0
	s_mov_b64 s[4:5], 0
                                        ; implicit-def: $vgpr2_vgpr3
	s_branch .LBB8_1178
.LBB8_1175:
	s_andn2_saveexec_b64 s[10:11], s[10:11]
	s_cbranch_execz .LBB8_1018
.LBB8_1176:
	s_mov_b32 s12, 0x46000000
	v_add_f32_e64 v5, |v4|, s12
	v_and_b32_e32 v5, 0xff, v5
	v_cmp_ne_u32_e32 vcc, 0, v5
	s_andn2_b64 s[8:9], s[8:9], exec
	s_and_b64 s[12:13], vcc, exec
	s_or_b64 s[8:9], s[8:9], s[12:13]
	s_or_b64 exec, exec, s[10:11]
	v_mov_b32_e32 v6, 0
	s_and_saveexec_b64 s[10:11], s[8:9]
	s_cbranch_execnz .LBB8_1019
	s_branch .LBB8_1020
.LBB8_1177:
	s_mov_b64 s[4:5], -1
                                        ; implicit-def: $vgpr2_vgpr3
	s_mov_b64 s[8:9], 0
.LBB8_1178:
	s_and_b64 vcc, exec, s[10:11]
	s_cbranch_vccz .LBB8_1183
; %bb.1179:
	s_cmp_eq_u32 s15, 44
	s_cbranch_scc0 .LBB8_1181
; %bb.1180:
	global_load_ubyte v2, v[4:5], off
	s_movk_i32 s8, 0xff
	v_bfrev_b32_e32 v3, 4
	v_mov_b32_e32 v6, 0x7ff80000
	v_bfrev_b32_e32 v7, 28
	s_mov_b64 s[4:5], 0
	s_waitcnt vmcnt(0)
	v_lshlrev_b32_e32 v0, 23, v2
	v_cvt_f64_f32_e32 v[0:1], v0
	v_cmp_ne_u32_e32 vcc, s8, v2
	s_mov_b64 s[8:9], -1
	v_cndmask_b32_e32 v0, v3, v0, vcc
	v_cndmask_b32_e32 v1, v6, v1, vcc
	v_cmp_ne_u32_e32 vcc, 0, v2
	v_cndmask_b32_e32 v1, v7, v1, vcc
	v_cndmask_b32_e32 v0, 0, v0, vcc
	s_branch .LBB8_1182
.LBB8_1181:
	s_mov_b64 s[4:5], -1
                                        ; implicit-def: $vgpr0_vgpr1
.LBB8_1182:
	v_mov_b32_e32 v2, 0
	v_mov_b32_e32 v3, 0
.LBB8_1183:
	s_mov_b64 s[10:11], 0
.LBB8_1184:
	s_and_b64 vcc, exec, s[10:11]
	s_cbranch_vccz .LBB8_1189
; %bb.1185:
	s_cmp_eq_u32 s15, 29
	s_cbranch_scc0 .LBB8_1187
; %bb.1186:
	global_load_dwordx2 v[0:1], v[4:5], off
	s_mov_b64 s[4:5], 0
	s_mov_b64 s[8:9], -1
	s_waitcnt vmcnt(0)
	v_cvt_f64_u32_e32 v[1:2], v1
	v_cvt_f64_u32_e32 v[6:7], v0
	v_ldexp_f64 v[1:2], v[1:2], 32
	v_add_f64 v[0:1], v[1:2], v[6:7]
	s_branch .LBB8_1188
.LBB8_1187:
	s_mov_b64 s[4:5], -1
                                        ; implicit-def: $vgpr0_vgpr1
.LBB8_1188:
	v_mov_b32_e32 v2, 0
	v_mov_b32_e32 v3, 0
.LBB8_1189:
	s_branch .LBB8_1209
.LBB8_1190:
	s_cmp_lt_i32 s15, 27
	s_cbranch_scc1 .LBB8_1193
; %bb.1191:
	s_cmp_gt_i32 s15, 27
	s_cbranch_scc0 .LBB8_1194
; %bb.1192:
	global_load_dword v0, v[4:5], off
	s_mov_b64 s[8:9], 0
	s_waitcnt vmcnt(0)
	v_cvt_f64_u32_e32 v[0:1], v0
	s_branch .LBB8_1195
.LBB8_1193:
	s_mov_b64 s[8:9], -1
                                        ; implicit-def: $vgpr0_vgpr1
	s_branch .LBB8_1198
.LBB8_1194:
	s_mov_b64 s[8:9], -1
                                        ; implicit-def: $vgpr0_vgpr1
.LBB8_1195:
	s_andn2_b64 vcc, exec, s[8:9]
	s_cbranch_vccnz .LBB8_1197
; %bb.1196:
	global_load_ushort v0, v[4:5], off
	s_waitcnt vmcnt(0)
	v_cvt_f64_u32_e32 v[0:1], v0
.LBB8_1197:
	s_mov_b64 s[8:9], 0
.LBB8_1198:
	s_andn2_b64 vcc, exec, s[8:9]
	s_cbranch_vccnz .LBB8_1208
; %bb.1199:
	global_load_ubyte v2, v[4:5], off
	s_movk_i32 s8, 0x7f
	s_waitcnt vmcnt(0)
	v_cmp_lt_i16_e32 vcc, s8, v2
	s_mov_b64 s[8:9], 0
	s_and_saveexec_b64 s[10:11], vcc
	s_xor_b64 s[10:11], exec, s[10:11]
	s_cbranch_execz .LBB8_1203
; %bb.1200:
	s_movk_i32 s8, 0x80
	v_cmp_eq_u16_e32 vcc, s8, v2
	s_mov_b64 s[8:9], -1
	s_and_saveexec_b64 s[12:13], vcc
; %bb.1201:
	s_xor_b64 s[8:9], exec, -1
; %bb.1202:
	s_or_b64 exec, exec, s[12:13]
	s_and_b64 s[8:9], s[8:9], exec
.LBB8_1203:
	s_or_saveexec_b64 s[10:11], s[10:11]
	v_bfrev_b32_e32 v0, 4
	v_mov_b32_e32 v1, 0x7ff80000
	s_xor_b64 exec, exec, s[10:11]
; %bb.1204:
	v_cmp_ne_u16_e32 vcc, 0, v2
	v_mov_b32_e32 v0, 0
	s_andn2_b64 s[8:9], s[8:9], exec
	s_and_b64 s[12:13], vcc, exec
	v_mov_b32_e32 v1, 0
	s_or_b64 s[8:9], s[8:9], s[12:13]
; %bb.1205:
	s_or_b64 exec, exec, s[10:11]
	s_and_saveexec_b64 s[10:11], s[8:9]
	s_cbranch_execz .LBB8_1207
; %bb.1206:
	v_and_b32_e32 v1, 0xffff, v2
	v_lshlrev_b32_e32 v0, 24, v2
	v_and_b32_e32 v2, 7, v1
	v_ffbh_u32_e32 v6, v2
	v_min_u32_e32 v6, 32, v6
	v_subrev_u32_e32 v7, 28, v6
	v_bfe_u32 v3, v1, 3, 4
	v_lshlrev_b32_e32 v1, v7, v1
	v_sub_u32_e32 v6, 29, v6
	v_and_b32_e32 v1, 7, v1
	v_cmp_eq_u32_e32 vcc, 0, v3
	v_cndmask_b32_e32 v3, v3, v6, vcc
	v_cndmask_b32_e32 v1, v2, v1, vcc
	v_mov_b32_e32 v2, 0x3b800000
	v_lshlrev_b32_e32 v1, 20, v1
	v_and_b32_e32 v0, 0x80000000, v0
	v_lshl_add_u32 v2, v3, 23, v2
	v_or3_b32 v0, v0, v2, v1
	v_cvt_f64_f32_e32 v[0:1], v0
.LBB8_1207:
	s_or_b64 exec, exec, s[10:11]
.LBB8_1208:
	v_mov_b32_e32 v2, 0
	v_mov_b32_e32 v3, 0
	s_mov_b64 s[8:9], -1
.LBB8_1209:
	s_branch .LBB8_1240
.LBB8_1210:
	s_cmp_gt_i32 s15, 22
	s_cbranch_scc0 .LBB8_1222
; %bb.1211:
	s_cmp_lt_i32 s15, 24
	s_cbranch_scc1 .LBB8_1223
; %bb.1212:
	s_cmp_gt_i32 s15, 24
	s_cbranch_scc0 .LBB8_1224
; %bb.1213:
	global_load_ubyte v2, v[4:5], off
	s_movk_i32 s6, 0x7f
	s_waitcnt vmcnt(0)
	v_cmp_lt_i16_e32 vcc, s6, v2
	s_mov_b64 s[6:7], 0
	s_and_saveexec_b64 s[8:9], vcc
	s_xor_b64 s[8:9], exec, s[8:9]
	s_cbranch_execz .LBB8_1217
; %bb.1214:
	s_movk_i32 s6, 0x80
	v_cmp_eq_u16_e32 vcc, s6, v2
	s_mov_b64 s[6:7], -1
	s_and_saveexec_b64 s[10:11], vcc
; %bb.1215:
	s_xor_b64 s[6:7], exec, -1
; %bb.1216:
	s_or_b64 exec, exec, s[10:11]
	s_and_b64 s[6:7], s[6:7], exec
.LBB8_1217:
	s_or_saveexec_b64 s[8:9], s[8:9]
	v_bfrev_b32_e32 v0, 4
	v_mov_b32_e32 v1, 0x7ff80000
	s_xor_b64 exec, exec, s[8:9]
; %bb.1218:
	v_cmp_ne_u16_e32 vcc, 0, v2
	v_mov_b32_e32 v0, 0
	s_andn2_b64 s[6:7], s[6:7], exec
	s_and_b64 s[10:11], vcc, exec
	v_mov_b32_e32 v1, 0
	s_or_b64 s[6:7], s[6:7], s[10:11]
; %bb.1219:
	s_or_b64 exec, exec, s[8:9]
	s_and_saveexec_b64 s[8:9], s[6:7]
	s_cbranch_execz .LBB8_1221
; %bb.1220:
	v_and_b32_e32 v1, 0xffff, v2
	v_lshlrev_b32_e32 v0, 24, v2
	v_and_b32_e32 v2, 3, v1
	v_ffbh_u32_e32 v6, v2
	v_min_u32_e32 v6, 32, v6
	v_subrev_u32_e32 v7, 29, v6
	v_bfe_u32 v3, v1, 2, 5
	v_lshlrev_b32_e32 v1, v7, v1
	v_sub_u32_e32 v6, 30, v6
	v_and_b32_e32 v1, 3, v1
	v_cmp_eq_u32_e32 vcc, 0, v3
	v_cndmask_b32_e32 v3, v3, v6, vcc
	v_cndmask_b32_e32 v1, v2, v1, vcc
	v_mov_b32_e32 v2, 0x37800000
	v_lshlrev_b32_e32 v1, 21, v1
	v_and_b32_e32 v0, 0x80000000, v0
	v_lshl_add_u32 v2, v3, 23, v2
	v_or3_b32 v0, v0, v2, v1
	v_cvt_f64_f32_e32 v[0:1], v0
.LBB8_1221:
	s_or_b64 exec, exec, s[8:9]
	s_mov_b64 s[6:7], 0
	s_branch .LBB8_1225
.LBB8_1222:
                                        ; implicit-def: $vgpr0_vgpr1
	s_mov_b64 s[6:7], 0
	s_branch .LBB8_1231
.LBB8_1223:
	s_mov_b64 s[6:7], -1
                                        ; implicit-def: $vgpr0_vgpr1
	s_branch .LBB8_1228
.LBB8_1224:
	s_mov_b64 s[6:7], -1
                                        ; implicit-def: $vgpr0_vgpr1
.LBB8_1225:
	s_and_b64 vcc, exec, s[6:7]
	s_cbranch_vccz .LBB8_1227
; %bb.1226:
	global_load_ubyte v0, v[4:5], off
	s_mov_b32 s6, 0x7f800000
	s_waitcnt vmcnt(0)
	v_lshlrev_b32_e32 v0, 24, v0
	v_and_b32_e32 v1, 0x7f000000, v0
	v_ffbh_u32_e32 v2, v1
	v_min_u32_e32 v2, 32, v2
	v_sub_u32_e64 v2, v2, 4 clamp
	v_lshlrev_b32_e32 v6, v2, v1
	v_lshlrev_b32_e32 v2, 23, v2
	v_lshrrev_b32_e32 v6, 4, v6
	v_add_u32_e32 v3, 0x1000000, v1
	v_sub_u32_e32 v2, v6, v2
	v_ashrrev_i32_e32 v3, 8, v3
	v_add_u32_e32 v2, 0x3c000000, v2
	v_and_or_b32 v2, v3, s6, v2
	v_cmp_ne_u32_e32 vcc, 0, v1
	v_cndmask_b32_e32 v1, 0, v2, vcc
	s_brev_b32 s6, 1
	v_and_or_b32 v0, v0, s6, v1
	v_cvt_f64_f32_e32 v[0:1], v0
.LBB8_1227:
	s_mov_b64 s[6:7], 0
.LBB8_1228:
	s_andn2_b64 vcc, exec, s[6:7]
	s_cbranch_vccnz .LBB8_1230
; %bb.1229:
	global_load_ubyte v0, v[4:5], off
	s_movk_i32 s6, 0x7f00
	s_brev_b32 s7, 16
	s_waitcnt vmcnt(0)
	v_lshlrev_b16_e32 v1, 8, v0
	v_lshlrev_b32_e32 v0, 25, v0
	v_lshrrev_b32_e32 v2, 4, v0
	v_and_or_b32 v3, v1, s6, 0.5
	v_or_b32_e32 v2, 0x70000000, v2
	v_add_f32_e32 v3, -0.5, v3
	v_mul_f32_e32 v2, 0x7800000, v2
	v_cmp_gt_u32_e32 vcc, s7, v0
	v_bfe_i32 v1, v1, 0, 16
	v_cndmask_b32_e32 v0, v2, v3, vcc
	s_brev_b32 s6, 1
	v_and_or_b32 v0, v1, s6, v0
	v_cvt_f64_f32_e32 v[0:1], v0
.LBB8_1230:
	s_mov_b64 s[8:9], -1
	s_mov_b64 s[6:7], 0
	s_cbranch_execnz .LBB8_1239
.LBB8_1231:
	s_cmp_gt_i32 s15, 14
	s_cbranch_scc0 .LBB8_1234
; %bb.1232:
	s_cmp_eq_u32 s15, 15
	s_cbranch_scc0 .LBB8_1235
; %bb.1233:
	global_load_ushort v0, v[4:5], off
	s_mov_b64 s[4:5], 0
	s_mov_b64 s[8:9], -1
	s_waitcnt vmcnt(0)
	v_lshlrev_b32_e32 v0, 16, v0
	v_cvt_f64_f32_e32 v[0:1], v0
	s_branch .LBB8_1236
.LBB8_1234:
	s_mov_b64 s[10:11], -1
                                        ; implicit-def: $vgpr0_vgpr1
	s_branch .LBB8_1237
.LBB8_1235:
	s_mov_b64 s[4:5], -1
                                        ; implicit-def: $vgpr0_vgpr1
.LBB8_1236:
	s_mov_b64 s[10:11], 0
.LBB8_1237:
	s_and_b64 vcc, exec, s[10:11]
	s_cbranch_vccz .LBB8_1239
; %bb.1238:
	s_cmp_lg_u32 s15, 11
	s_mov_b64 s[6:7], -1
	s_cselect_b64 s[4:5], -1, 0
.LBB8_1239:
	v_mov_b32_e32 v2, 0
	v_mov_b32_e32 v3, 0
.LBB8_1240:
	s_and_b64 vcc, exec, s[4:5]
	s_mov_b64 s[34:35], s[44:45]
	s_cbranch_vccnz .LBB8_1303
; %bb.1241:
	s_andn2_b64 vcc, exec, s[6:7]
	s_cbranch_vccnz .LBB8_1243
.LBB8_1242:
	global_load_ubyte v1, v[4:5], off
	v_mov_b32_e32 v6, 0x3ff00000
	v_mov_b32_e32 v2, 0
	;; [unrolled: 1-line block ×4, first 2 shown]
	s_mov_b64 s[8:9], -1
	s_waitcnt vmcnt(0)
	v_cmp_ne_u16_e32 vcc, 0, v1
	v_cndmask_b32_e32 v1, 0, v6, vcc
.LBB8_1243:
	s_branch .LBB8_1170
.LBB8_1244:
	s_and_b32 s6, 0xffff, s14
	s_cmp_lt_i32 s6, 5
	s_cbranch_scc1 .LBB8_1249
; %bb.1245:
	s_cmp_lt_i32 s6, 8
	s_cbranch_scc1 .LBB8_1251
; %bb.1246:
	;; [unrolled: 3-line block ×3, first 2 shown]
	s_cmp_gt_i32 s6, 9
	s_cbranch_scc0 .LBB8_1253
; %bb.1248:
	global_load_dwordx4 v[0:3], v[4:5], off
	s_mov_b64 s[4:5], 0
	s_branch .LBB8_1254
.LBB8_1249:
                                        ; implicit-def: $vgpr2_vgpr3
	s_branch .LBB8_1272
.LBB8_1250:
	s_branch .LBB8_1291
.LBB8_1251:
                                        ; implicit-def: $vgpr2_vgpr3
	s_branch .LBB8_1260
.LBB8_1252:
	s_mov_b64 s[4:5], -1
                                        ; implicit-def: $vgpr2_vgpr3
	s_branch .LBB8_1257
.LBB8_1253:
	s_mov_b64 s[4:5], -1
                                        ; implicit-def: $vgpr2_vgpr3
.LBB8_1254:
	s_andn2_b64 vcc, exec, s[4:5]
	s_cbranch_vccnz .LBB8_1256
; %bb.1255:
	global_load_dwordx2 v[1:2], v[4:5], off
	s_waitcnt vmcnt(0)
	v_cvt_f64_f32_e32 v[0:1], v1
	v_cvt_f64_f32_e32 v[2:3], v2
.LBB8_1256:
	s_mov_b64 s[4:5], 0
.LBB8_1257:
	s_andn2_b64 vcc, exec, s[4:5]
	s_cbranch_vccnz .LBB8_1259
; %bb.1258:
	global_load_dword v0, v[4:5], off
	s_waitcnt vmcnt(0)
	v_cvt_f32_f16_e32 v1, v0
	v_cvt_f32_f16_sdwa v2, v0 dst_sel:DWORD dst_unused:UNUSED_PAD src0_sel:WORD_1
	v_cvt_f64_f32_e32 v[0:1], v1
	v_cvt_f64_f32_e32 v[2:3], v2
.LBB8_1259:
	s_cbranch_execnz .LBB8_1271
.LBB8_1260:
	s_cmp_lt_i32 s6, 6
	s_cbranch_scc1 .LBB8_1263
; %bb.1261:
	s_cmp_gt_i32 s6, 6
	s_cbranch_scc0 .LBB8_1264
; %bb.1262:
	global_load_dwordx2 v[0:1], v[4:5], off
	s_mov_b64 s[4:5], 0
	s_branch .LBB8_1265
.LBB8_1263:
	s_mov_b64 s[4:5], -1
                                        ; implicit-def: $vgpr0_vgpr1
	s_branch .LBB8_1268
.LBB8_1264:
	s_mov_b64 s[4:5], -1
                                        ; implicit-def: $vgpr0_vgpr1
.LBB8_1265:
	s_andn2_b64 vcc, exec, s[4:5]
	s_cbranch_vccnz .LBB8_1267
; %bb.1266:
	global_load_dword v0, v[4:5], off
	s_waitcnt vmcnt(0)
	v_cvt_f64_f32_e32 v[0:1], v0
.LBB8_1267:
	s_mov_b64 s[4:5], 0
.LBB8_1268:
	s_andn2_b64 vcc, exec, s[4:5]
	s_cbranch_vccnz .LBB8_1270
; %bb.1269:
	global_load_ushort v0, v[4:5], off
	s_waitcnt vmcnt(0)
	v_cvt_f32_f16_e32 v0, v0
	v_cvt_f64_f32_e32 v[0:1], v0
.LBB8_1270:
	s_waitcnt vmcnt(0)
	v_mov_b32_e32 v2, 0
	v_mov_b32_e32 v3, 0
.LBB8_1271:
	s_cbranch_execnz .LBB8_1250
.LBB8_1272:
	s_cmp_lt_i32 s6, 2
	s_cbranch_scc1 .LBB8_1276
; %bb.1273:
	s_cmp_lt_i32 s6, 3
	s_cbranch_scc1 .LBB8_1277
; %bb.1274:
	s_cmp_gt_i32 s6, 3
	s_cbranch_scc0 .LBB8_1278
; %bb.1275:
	global_load_dwordx2 v[0:1], v[4:5], off
	s_mov_b64 s[4:5], 0
	s_waitcnt vmcnt(0)
	v_cvt_f64_i32_e32 v[1:2], v1
	v_cvt_f64_u32_e32 v[6:7], v0
	v_ldexp_f64 v[1:2], v[1:2], 32
	v_add_f64 v[0:1], v[1:2], v[6:7]
	s_branch .LBB8_1279
.LBB8_1276:
                                        ; implicit-def: $vgpr0_vgpr1
	s_branch .LBB8_1285
.LBB8_1277:
	s_mov_b64 s[4:5], -1
                                        ; implicit-def: $vgpr0_vgpr1
	s_branch .LBB8_1282
.LBB8_1278:
	s_mov_b64 s[4:5], -1
                                        ; implicit-def: $vgpr0_vgpr1
.LBB8_1279:
	s_andn2_b64 vcc, exec, s[4:5]
	s_cbranch_vccnz .LBB8_1281
; %bb.1280:
	global_load_dword v0, v[4:5], off
	s_waitcnt vmcnt(0)
	v_cvt_f64_i32_e32 v[0:1], v0
.LBB8_1281:
	s_mov_b64 s[4:5], 0
.LBB8_1282:
	s_andn2_b64 vcc, exec, s[4:5]
	s_cbranch_vccnz .LBB8_1284
; %bb.1283:
	global_load_sshort v0, v[4:5], off
	s_waitcnt vmcnt(0)
	v_cvt_f64_i32_e32 v[0:1], v0
.LBB8_1284:
	s_cbranch_execnz .LBB8_1290
.LBB8_1285:
	s_cmp_gt_i32 s6, 0
	s_cbranch_scc0 .LBB8_1287
; %bb.1286:
	global_load_sbyte v0, v[4:5], off
	s_mov_b64 s[4:5], 0
	s_waitcnt vmcnt(0)
	v_cvt_f64_i32_e32 v[0:1], v0
	s_branch .LBB8_1288
.LBB8_1287:
	s_mov_b64 s[4:5], -1
                                        ; implicit-def: $vgpr0_vgpr1
.LBB8_1288:
	s_andn2_b64 vcc, exec, s[4:5]
	s_cbranch_vccnz .LBB8_1290
; %bb.1289:
	global_load_ubyte v0, v[4:5], off
	s_waitcnt vmcnt(0)
	v_cvt_f64_u32_e32 v[0:1], v0
.LBB8_1290:
	s_waitcnt vmcnt(0)
	v_mov_b32_e32 v2, 0
	v_mov_b32_e32 v3, 0
.LBB8_1291:
	s_lshr_b32 s33, s27, 16
	s_getpc_b64 s[4:5]
	s_add_u32 s4, s4, _ZZZZN2at6native16asin_kernel_cudaERNS_18TensorIteratorBaseEENKUlvE_clEvENKUlvE_clEvENKUlN3c107complexIdEEE_clES7_@rel32@lo+4
	s_addc_u32 s5, s5, _ZZZZN2at6native16asin_kernel_cudaERNS_18TensorIteratorBaseEENKUlvE_clEvENKUlvE_clEvENKUlN3c107complexIdEEE_clES7_@rel32@hi+12
	s_swappc_b64 s[30:31], s[4:5]
	v_mov_b32_e32 v50, v0
	v_mov_b32_e32 v0, s39
	s_and_b32 s33, s33, 0xff
	v_add_co_u32_e32 v4, vcc, s38, v41
	v_mov_b32_e32 v51, v1
	v_mov_b32_e32 v52, v2
	;; [unrolled: 1-line block ×3, first 2 shown]
	s_cmp_lt_i32 s33, 11
	v_addc_co_u32_e32 v5, vcc, 0, v0, vcc
	s_cbranch_scc1 .LBB8_1298
; %bb.1292:
	s_and_b32 s14, 0xffff, s33
	s_cmp_gt_i32 s14, 25
	s_mov_b64 s[6:7], 0
	s_cbranch_scc0 .LBB8_1300
; %bb.1293:
	s_cmp_gt_i32 s14, 28
	s_cbranch_scc0 .LBB8_1301
; %bb.1294:
	s_cmp_gt_i32 s14, 43
	;; [unrolled: 3-line block ×3, first 2 shown]
	s_cbranch_scc0 .LBB8_1304
; %bb.1296:
	s_cmp_eq_u32 s14, 46
	s_mov_b64 s[10:11], 0
	s_cbranch_scc0 .LBB8_1307
; %bb.1297:
	global_load_dword v0, v[4:5], off
	s_mov_b64 s[4:5], 0
	s_mov_b64 s[8:9], -1
	s_waitcnt vmcnt(0)
	v_and_b32_e32 v2, 0xffff0000, v0
	v_lshlrev_b32_e32 v0, 16, v0
	v_cvt_f64_f32_e32 v[0:1], v0
	v_cvt_f64_f32_e32 v[2:3], v2
	s_branch .LBB8_1308
.LBB8_1298:
	s_mov_b64 s[8:9], 0
                                        ; implicit-def: $vgpr2_vgpr3
	s_cbranch_execnz .LBB8_1376
.LBB8_1299:
	s_andn2_b64 vcc, exec, s[8:9]
	s_cbranch_vccnz .LBB8_2127
	s_branch .LBB8_1425
.LBB8_1300:
	s_mov_b64 s[8:9], 0
	s_mov_b64 s[4:5], 0
                                        ; implicit-def: $vgpr2_vgpr3
	s_cbranch_execnz .LBB8_1341
	s_branch .LBB8_1372
.LBB8_1301:
	s_mov_b64 s[10:11], -1
	s_mov_b64 s[8:9], 0
	s_mov_b64 s[4:5], 0
                                        ; implicit-def: $vgpr2_vgpr3
	s_branch .LBB8_1320
.LBB8_1302:
	s_mov_b64 s[10:11], -1
	s_mov_b64 s[8:9], 0
	s_mov_b64 s[4:5], 0
                                        ; implicit-def: $vgpr2_vgpr3
	s_branch .LBB8_1314
.LBB8_1303:
	s_trap 2
	s_or_b64 s[34:35], s[44:45], exec
	s_cbranch_execz .LBB8_1242
	s_branch .LBB8_1243
.LBB8_1304:
	s_mov_b64 s[10:11], -1
	s_mov_b64 s[8:9], 0
	s_mov_b64 s[4:5], 0
                                        ; implicit-def: $vgpr2_vgpr3
	s_branch .LBB8_1308
.LBB8_1305:
	s_andn2_saveexec_b64 s[12:13], s[12:13]
	s_cbranch_execz .LBB8_1030
.LBB8_1306:
	s_mov_b32 s16, 0x42800000
	v_add_f32_e64 v5, |v4|, s16
	v_and_b32_e32 v5, 0xff, v5
	v_cmp_ne_u32_e32 vcc, 0, v5
	s_andn2_b64 s[10:11], s[10:11], exec
	s_and_b64 s[16:17], vcc, exec
	s_or_b64 s[10:11], s[10:11], s[16:17]
	s_or_b64 exec, exec, s[12:13]
	v_mov_b32_e32 v6, 0
	s_and_saveexec_b64 s[12:13], s[10:11]
	s_cbranch_execnz .LBB8_1031
	s_branch .LBB8_1032
.LBB8_1307:
	s_mov_b64 s[4:5], -1
                                        ; implicit-def: $vgpr2_vgpr3
	s_mov_b64 s[8:9], 0
.LBB8_1308:
	s_and_b64 vcc, exec, s[10:11]
	s_cbranch_vccz .LBB8_1313
; %bb.1309:
	s_cmp_eq_u32 s14, 44
	s_cbranch_scc0 .LBB8_1311
; %bb.1310:
	global_load_ubyte v2, v[4:5], off
	s_movk_i32 s8, 0xff
	v_bfrev_b32_e32 v3, 4
	v_mov_b32_e32 v6, 0x7ff80000
	v_bfrev_b32_e32 v7, 28
	s_mov_b64 s[4:5], 0
	s_waitcnt vmcnt(0)
	v_lshlrev_b32_e32 v0, 23, v2
	v_cvt_f64_f32_e32 v[0:1], v0
	v_cmp_ne_u32_e32 vcc, s8, v2
	s_mov_b64 s[8:9], -1
	v_cndmask_b32_e32 v0, v3, v0, vcc
	v_cndmask_b32_e32 v1, v6, v1, vcc
	v_cmp_ne_u32_e32 vcc, 0, v2
	v_cndmask_b32_e32 v1, v7, v1, vcc
	v_cndmask_b32_e32 v0, 0, v0, vcc
	s_branch .LBB8_1312
.LBB8_1311:
	s_mov_b64 s[4:5], -1
                                        ; implicit-def: $vgpr0_vgpr1
.LBB8_1312:
	v_mov_b32_e32 v2, 0
	v_mov_b32_e32 v3, 0
.LBB8_1313:
	s_mov_b64 s[10:11], 0
.LBB8_1314:
	s_and_b64 vcc, exec, s[10:11]
	s_cbranch_vccz .LBB8_1319
; %bb.1315:
	s_cmp_eq_u32 s14, 29
	s_cbranch_scc0 .LBB8_1317
; %bb.1316:
	global_load_dwordx2 v[0:1], v[4:5], off
	s_mov_b64 s[4:5], 0
	s_mov_b64 s[8:9], -1
	s_waitcnt vmcnt(0)
	v_cvt_f64_u32_e32 v[1:2], v1
	v_cvt_f64_u32_e32 v[6:7], v0
	v_ldexp_f64 v[1:2], v[1:2], 32
	v_add_f64 v[0:1], v[1:2], v[6:7]
	s_branch .LBB8_1318
.LBB8_1317:
	s_mov_b64 s[4:5], -1
                                        ; implicit-def: $vgpr0_vgpr1
.LBB8_1318:
	v_mov_b32_e32 v2, 0
	v_mov_b32_e32 v3, 0
.LBB8_1319:
	s_mov_b64 s[10:11], 0
.LBB8_1320:
	s_and_b64 vcc, exec, s[10:11]
	s_cbranch_vccz .LBB8_1340
; %bb.1321:
	s_cmp_lt_i32 s14, 27
	s_cbranch_scc1 .LBB8_1324
; %bb.1322:
	s_cmp_gt_i32 s14, 27
	s_cbranch_scc0 .LBB8_1325
; %bb.1323:
	global_load_dword v0, v[4:5], off
	s_mov_b64 s[8:9], 0
	s_waitcnt vmcnt(0)
	v_cvt_f64_u32_e32 v[0:1], v0
	s_branch .LBB8_1326
.LBB8_1324:
	s_mov_b64 s[8:9], -1
                                        ; implicit-def: $vgpr0_vgpr1
	s_branch .LBB8_1329
.LBB8_1325:
	s_mov_b64 s[8:9], -1
                                        ; implicit-def: $vgpr0_vgpr1
.LBB8_1326:
	s_andn2_b64 vcc, exec, s[8:9]
	s_cbranch_vccnz .LBB8_1328
; %bb.1327:
	global_load_ushort v0, v[4:5], off
	s_waitcnt vmcnt(0)
	v_cvt_f64_u32_e32 v[0:1], v0
.LBB8_1328:
	s_mov_b64 s[8:9], 0
.LBB8_1329:
	s_andn2_b64 vcc, exec, s[8:9]
	s_cbranch_vccnz .LBB8_1339
; %bb.1330:
	global_load_ubyte v2, v[4:5], off
	s_movk_i32 s8, 0x7f
	s_waitcnt vmcnt(0)
	v_cmp_lt_i16_e32 vcc, s8, v2
	s_mov_b64 s[8:9], 0
	s_and_saveexec_b64 s[10:11], vcc
	s_xor_b64 s[10:11], exec, s[10:11]
	s_cbranch_execz .LBB8_1334
; %bb.1331:
	s_movk_i32 s8, 0x80
	v_cmp_eq_u16_e32 vcc, s8, v2
	s_mov_b64 s[8:9], -1
	s_and_saveexec_b64 s[12:13], vcc
; %bb.1332:
	s_xor_b64 s[8:9], exec, -1
; %bb.1333:
	s_or_b64 exec, exec, s[12:13]
	s_and_b64 s[8:9], s[8:9], exec
.LBB8_1334:
	s_or_saveexec_b64 s[10:11], s[10:11]
	v_bfrev_b32_e32 v0, 4
	v_mov_b32_e32 v1, 0x7ff80000
	s_xor_b64 exec, exec, s[10:11]
; %bb.1335:
	v_cmp_ne_u16_e32 vcc, 0, v2
	v_mov_b32_e32 v0, 0
	s_andn2_b64 s[8:9], s[8:9], exec
	s_and_b64 s[12:13], vcc, exec
	v_mov_b32_e32 v1, 0
	s_or_b64 s[8:9], s[8:9], s[12:13]
; %bb.1336:
	s_or_b64 exec, exec, s[10:11]
	s_and_saveexec_b64 s[10:11], s[8:9]
	s_cbranch_execz .LBB8_1338
; %bb.1337:
	v_and_b32_e32 v1, 0xffff, v2
	v_lshlrev_b32_e32 v0, 24, v2
	v_and_b32_e32 v2, 7, v1
	v_ffbh_u32_e32 v6, v2
	v_min_u32_e32 v6, 32, v6
	v_subrev_u32_e32 v7, 28, v6
	v_bfe_u32 v3, v1, 3, 4
	v_lshlrev_b32_e32 v1, v7, v1
	v_sub_u32_e32 v6, 29, v6
	v_and_b32_e32 v1, 7, v1
	v_cmp_eq_u32_e32 vcc, 0, v3
	v_cndmask_b32_e32 v3, v3, v6, vcc
	v_cndmask_b32_e32 v1, v2, v1, vcc
	v_mov_b32_e32 v2, 0x3b800000
	v_lshlrev_b32_e32 v1, 20, v1
	v_and_b32_e32 v0, 0x80000000, v0
	v_lshl_add_u32 v2, v3, 23, v2
	v_or3_b32 v0, v0, v2, v1
	v_cvt_f64_f32_e32 v[0:1], v0
.LBB8_1338:
	s_or_b64 exec, exec, s[10:11]
.LBB8_1339:
	v_mov_b32_e32 v2, 0
	v_mov_b32_e32 v3, 0
	s_mov_b64 s[8:9], -1
.LBB8_1340:
	s_branch .LBB8_1372
.LBB8_1341:
	s_cmp_gt_i32 s14, 22
	s_cbranch_scc0 .LBB8_1353
; %bb.1342:
	s_cmp_lt_i32 s14, 24
	s_cbranch_scc1 .LBB8_1354
; %bb.1343:
	s_cmp_gt_i32 s14, 24
	s_cbranch_scc0 .LBB8_1355
; %bb.1344:
	global_load_ubyte v2, v[4:5], off
	s_movk_i32 s6, 0x7f
	s_waitcnt vmcnt(0)
	v_cmp_lt_i16_e32 vcc, s6, v2
	s_mov_b64 s[6:7], 0
	s_and_saveexec_b64 s[8:9], vcc
	s_xor_b64 s[8:9], exec, s[8:9]
	s_cbranch_execz .LBB8_1348
; %bb.1345:
	s_movk_i32 s6, 0x80
	v_cmp_eq_u16_e32 vcc, s6, v2
	s_mov_b64 s[6:7], -1
	s_and_saveexec_b64 s[10:11], vcc
; %bb.1346:
	s_xor_b64 s[6:7], exec, -1
; %bb.1347:
	s_or_b64 exec, exec, s[10:11]
	s_and_b64 s[6:7], s[6:7], exec
.LBB8_1348:
	s_or_saveexec_b64 s[8:9], s[8:9]
	v_bfrev_b32_e32 v0, 4
	v_mov_b32_e32 v1, 0x7ff80000
	s_xor_b64 exec, exec, s[8:9]
; %bb.1349:
	v_cmp_ne_u16_e32 vcc, 0, v2
	v_mov_b32_e32 v0, 0
	s_andn2_b64 s[6:7], s[6:7], exec
	s_and_b64 s[10:11], vcc, exec
	v_mov_b32_e32 v1, 0
	s_or_b64 s[6:7], s[6:7], s[10:11]
; %bb.1350:
	s_or_b64 exec, exec, s[8:9]
	s_and_saveexec_b64 s[8:9], s[6:7]
	s_cbranch_execz .LBB8_1352
; %bb.1351:
	v_and_b32_e32 v1, 0xffff, v2
	v_lshlrev_b32_e32 v0, 24, v2
	v_and_b32_e32 v2, 3, v1
	v_ffbh_u32_e32 v6, v2
	v_min_u32_e32 v6, 32, v6
	v_subrev_u32_e32 v7, 29, v6
	v_bfe_u32 v3, v1, 2, 5
	v_lshlrev_b32_e32 v1, v7, v1
	v_sub_u32_e32 v6, 30, v6
	v_and_b32_e32 v1, 3, v1
	v_cmp_eq_u32_e32 vcc, 0, v3
	v_cndmask_b32_e32 v3, v3, v6, vcc
	v_cndmask_b32_e32 v1, v2, v1, vcc
	v_mov_b32_e32 v2, 0x37800000
	v_lshlrev_b32_e32 v1, 21, v1
	v_and_b32_e32 v0, 0x80000000, v0
	v_lshl_add_u32 v2, v3, 23, v2
	v_or3_b32 v0, v0, v2, v1
	v_cvt_f64_f32_e32 v[0:1], v0
.LBB8_1352:
	s_or_b64 exec, exec, s[8:9]
	s_mov_b64 s[6:7], 0
	s_branch .LBB8_1356
.LBB8_1353:
	s_mov_b64 s[6:7], -1
                                        ; implicit-def: $vgpr0_vgpr1
	s_branch .LBB8_1362
.LBB8_1354:
	s_mov_b64 s[6:7], -1
                                        ; implicit-def: $vgpr0_vgpr1
	s_branch .LBB8_1359
.LBB8_1355:
	s_mov_b64 s[6:7], -1
                                        ; implicit-def: $vgpr0_vgpr1
.LBB8_1356:
	s_and_b64 vcc, exec, s[6:7]
	s_cbranch_vccz .LBB8_1358
; %bb.1357:
	global_load_ubyte v0, v[4:5], off
	s_mov_b32 s6, 0x7f800000
	s_waitcnt vmcnt(0)
	v_lshlrev_b32_e32 v0, 24, v0
	v_and_b32_e32 v1, 0x7f000000, v0
	v_ffbh_u32_e32 v2, v1
	v_min_u32_e32 v2, 32, v2
	v_sub_u32_e64 v2, v2, 4 clamp
	v_lshlrev_b32_e32 v6, v2, v1
	v_lshlrev_b32_e32 v2, 23, v2
	v_lshrrev_b32_e32 v6, 4, v6
	v_add_u32_e32 v3, 0x1000000, v1
	v_sub_u32_e32 v2, v6, v2
	v_ashrrev_i32_e32 v3, 8, v3
	v_add_u32_e32 v2, 0x3c000000, v2
	v_and_or_b32 v2, v3, s6, v2
	v_cmp_ne_u32_e32 vcc, 0, v1
	v_cndmask_b32_e32 v1, 0, v2, vcc
	s_brev_b32 s6, 1
	v_and_or_b32 v0, v0, s6, v1
	v_cvt_f64_f32_e32 v[0:1], v0
.LBB8_1358:
	s_mov_b64 s[6:7], 0
.LBB8_1359:
	s_andn2_b64 vcc, exec, s[6:7]
	s_cbranch_vccnz .LBB8_1361
; %bb.1360:
	global_load_ubyte v0, v[4:5], off
	s_movk_i32 s6, 0x7f00
	s_brev_b32 s7, 16
	s_waitcnt vmcnt(0)
	v_lshlrev_b16_e32 v1, 8, v0
	v_lshlrev_b32_e32 v0, 25, v0
	v_lshrrev_b32_e32 v2, 4, v0
	v_and_or_b32 v3, v1, s6, 0.5
	v_or_b32_e32 v2, 0x70000000, v2
	v_add_f32_e32 v3, -0.5, v3
	v_mul_f32_e32 v2, 0x7800000, v2
	v_cmp_gt_u32_e32 vcc, s7, v0
	v_bfe_i32 v1, v1, 0, 16
	v_cndmask_b32_e32 v0, v2, v3, vcc
	s_brev_b32 s6, 1
	v_and_or_b32 v0, v1, s6, v0
	v_cvt_f64_f32_e32 v[0:1], v0
.LBB8_1361:
	s_mov_b64 s[6:7], 0
	s_mov_b64 s[8:9], -1
.LBB8_1362:
	s_andn2_b64 vcc, exec, s[6:7]
	s_mov_b64 s[6:7], 0
	s_cbranch_vccnz .LBB8_1371
; %bb.1363:
	s_cmp_gt_i32 s14, 14
	s_cbranch_scc0 .LBB8_1366
; %bb.1364:
	s_cmp_eq_u32 s14, 15
	s_cbranch_scc0 .LBB8_1367
; %bb.1365:
	global_load_ushort v0, v[4:5], off
	s_mov_b64 s[4:5], 0
	s_mov_b64 s[8:9], -1
	s_waitcnt vmcnt(0)
	v_lshlrev_b32_e32 v0, 16, v0
	v_cvt_f64_f32_e32 v[0:1], v0
	s_branch .LBB8_1368
.LBB8_1366:
	s_mov_b64 s[10:11], -1
                                        ; implicit-def: $vgpr0_vgpr1
	s_branch .LBB8_1369
.LBB8_1367:
	s_mov_b64 s[4:5], -1
                                        ; implicit-def: $vgpr0_vgpr1
.LBB8_1368:
	s_mov_b64 s[10:11], 0
.LBB8_1369:
	s_and_b64 vcc, exec, s[10:11]
	s_cbranch_vccz .LBB8_1371
; %bb.1370:
	s_cmp_lg_u32 s14, 11
	s_mov_b64 s[6:7], -1
	s_cselect_b64 s[4:5], -1, 0
.LBB8_1371:
	v_mov_b32_e32 v2, 0
	v_mov_b32_e32 v3, 0
.LBB8_1372:
	s_and_b64 vcc, exec, s[4:5]
	s_cbranch_vccnz .LBB8_1449
; %bb.1373:
	s_andn2_b64 vcc, exec, s[6:7]
	s_cbranch_vccnz .LBB8_1375
.LBB8_1374:
	global_load_ubyte v1, v[4:5], off
	v_mov_b32_e32 v6, 0x3ff00000
	v_mov_b32_e32 v2, 0
	;; [unrolled: 1-line block ×4, first 2 shown]
	s_mov_b64 s[8:9], -1
	s_waitcnt vmcnt(0)
	v_cmp_ne_u16_e32 vcc, 0, v1
	v_cndmask_b32_e32 v1, 0, v6, vcc
.LBB8_1375:
	s_branch .LBB8_1299
.LBB8_1376:
	s_and_b32 s6, 0xffff, s33
	s_cmp_lt_i32 s6, 5
	s_cbranch_scc1 .LBB8_1381
; %bb.1377:
	s_cmp_lt_i32 s6, 8
	s_cbranch_scc1 .LBB8_1383
; %bb.1378:
	;; [unrolled: 3-line block ×3, first 2 shown]
	s_cmp_gt_i32 s6, 9
	s_cbranch_scc0 .LBB8_1385
; %bb.1380:
	global_load_dwordx4 v[0:3], v[4:5], off
	s_mov_b64 s[4:5], 0
	s_branch .LBB8_1386
.LBB8_1381:
                                        ; implicit-def: $vgpr2_vgpr3
	s_branch .LBB8_1405
.LBB8_1382:
	s_branch .LBB8_1425
.LBB8_1383:
	s_mov_b64 s[4:5], -1
                                        ; implicit-def: $vgpr2_vgpr3
	s_branch .LBB8_1392
.LBB8_1384:
	s_mov_b64 s[4:5], -1
                                        ; implicit-def: $vgpr2_vgpr3
	s_branch .LBB8_1389
.LBB8_1385:
	s_mov_b64 s[4:5], -1
                                        ; implicit-def: $vgpr2_vgpr3
.LBB8_1386:
	s_andn2_b64 vcc, exec, s[4:5]
	s_cbranch_vccnz .LBB8_1388
; %bb.1387:
	global_load_dwordx2 v[1:2], v[4:5], off
	s_waitcnt vmcnt(0)
	v_cvt_f64_f32_e32 v[0:1], v1
	v_cvt_f64_f32_e32 v[2:3], v2
.LBB8_1388:
	s_mov_b64 s[4:5], 0
.LBB8_1389:
	s_andn2_b64 vcc, exec, s[4:5]
	s_cbranch_vccnz .LBB8_1391
; %bb.1390:
	global_load_dword v0, v[4:5], off
	s_waitcnt vmcnt(0)
	v_cvt_f32_f16_e32 v1, v0
	v_cvt_f32_f16_sdwa v2, v0 dst_sel:DWORD dst_unused:UNUSED_PAD src0_sel:WORD_1
	v_cvt_f64_f32_e32 v[0:1], v1
	v_cvt_f64_f32_e32 v[2:3], v2
.LBB8_1391:
	s_mov_b64 s[4:5], 0
.LBB8_1392:
	s_andn2_b64 vcc, exec, s[4:5]
	s_cbranch_vccnz .LBB8_1404
; %bb.1393:
	s_cmp_lt_i32 s6, 6
	s_cbranch_scc1 .LBB8_1396
; %bb.1394:
	s_cmp_gt_i32 s6, 6
	s_cbranch_scc0 .LBB8_1397
; %bb.1395:
	global_load_dwordx2 v[0:1], v[4:5], off
	s_mov_b64 s[4:5], 0
	s_branch .LBB8_1398
.LBB8_1396:
	s_mov_b64 s[4:5], -1
                                        ; implicit-def: $vgpr0_vgpr1
	s_branch .LBB8_1401
.LBB8_1397:
	s_mov_b64 s[4:5], -1
                                        ; implicit-def: $vgpr0_vgpr1
.LBB8_1398:
	s_andn2_b64 vcc, exec, s[4:5]
	s_cbranch_vccnz .LBB8_1400
; %bb.1399:
	global_load_dword v0, v[4:5], off
	s_waitcnt vmcnt(0)
	v_cvt_f64_f32_e32 v[0:1], v0
.LBB8_1400:
	s_mov_b64 s[4:5], 0
.LBB8_1401:
	s_andn2_b64 vcc, exec, s[4:5]
	s_cbranch_vccnz .LBB8_1403
; %bb.1402:
	global_load_ushort v0, v[4:5], off
	s_waitcnt vmcnt(0)
	v_cvt_f32_f16_e32 v0, v0
	v_cvt_f64_f32_e32 v[0:1], v0
.LBB8_1403:
	s_waitcnt vmcnt(0)
	v_mov_b32_e32 v2, 0
	v_mov_b32_e32 v3, 0
.LBB8_1404:
	s_cbranch_execnz .LBB8_1382
.LBB8_1405:
	s_cmp_lt_i32 s6, 2
	s_cbranch_scc1 .LBB8_1409
; %bb.1406:
	s_cmp_lt_i32 s6, 3
	s_cbranch_scc1 .LBB8_1410
; %bb.1407:
	s_cmp_gt_i32 s6, 3
	s_cbranch_scc0 .LBB8_1411
; %bb.1408:
	global_load_dwordx2 v[0:1], v[4:5], off
	s_mov_b64 s[4:5], 0
	s_waitcnt vmcnt(0)
	v_cvt_f64_i32_e32 v[1:2], v1
	v_cvt_f64_u32_e32 v[6:7], v0
	v_ldexp_f64 v[1:2], v[1:2], 32
	v_add_f64 v[0:1], v[1:2], v[6:7]
	s_branch .LBB8_1412
.LBB8_1409:
	s_mov_b64 s[4:5], -1
                                        ; implicit-def: $vgpr0_vgpr1
	s_branch .LBB8_1418
.LBB8_1410:
	s_mov_b64 s[4:5], -1
                                        ; implicit-def: $vgpr0_vgpr1
	s_branch .LBB8_1415
.LBB8_1411:
	s_mov_b64 s[4:5], -1
                                        ; implicit-def: $vgpr0_vgpr1
.LBB8_1412:
	s_andn2_b64 vcc, exec, s[4:5]
	s_cbranch_vccnz .LBB8_1414
; %bb.1413:
	global_load_dword v0, v[4:5], off
	s_waitcnt vmcnt(0)
	v_cvt_f64_i32_e32 v[0:1], v0
.LBB8_1414:
	s_mov_b64 s[4:5], 0
.LBB8_1415:
	s_andn2_b64 vcc, exec, s[4:5]
	s_cbranch_vccnz .LBB8_1417
; %bb.1416:
	global_load_sshort v0, v[4:5], off
	s_waitcnt vmcnt(0)
	v_cvt_f64_i32_e32 v[0:1], v0
.LBB8_1417:
	s_mov_b64 s[4:5], 0
.LBB8_1418:
	s_andn2_b64 vcc, exec, s[4:5]
	s_cbranch_vccnz .LBB8_1424
; %bb.1419:
	s_cmp_gt_i32 s6, 0
	s_cbranch_scc0 .LBB8_1421
; %bb.1420:
	global_load_sbyte v0, v[4:5], off
	s_mov_b64 s[4:5], 0
	s_waitcnt vmcnt(0)
	v_cvt_f64_i32_e32 v[0:1], v0
	s_branch .LBB8_1422
.LBB8_1421:
	s_mov_b64 s[4:5], -1
                                        ; implicit-def: $vgpr0_vgpr1
.LBB8_1422:
	s_andn2_b64 vcc, exec, s[4:5]
	s_cbranch_vccnz .LBB8_1424
; %bb.1423:
	global_load_ubyte v0, v[4:5], off
	s_waitcnt vmcnt(0)
	v_cvt_f64_u32_e32 v[0:1], v0
.LBB8_1424:
	s_waitcnt vmcnt(0)
	v_mov_b32_e32 v2, 0
	v_mov_b32_e32 v3, 0
.LBB8_1425:
	s_getpc_b64 s[4:5]
	s_add_u32 s4, s4, _ZZZZN2at6native16asin_kernel_cudaERNS_18TensorIteratorBaseEENKUlvE_clEvENKUlvE_clEvENKUlN3c107complexIdEEE_clES7_@rel32@lo+4
	s_addc_u32 s5, s5, _ZZZZN2at6native16asin_kernel_cudaERNS_18TensorIteratorBaseEENKUlvE_clEvENKUlvE_clEvENKUlN3c107complexIdEEE_clES7_@rel32@hi+12
	s_swappc_b64 s[30:31], s[4:5]
	v_mov_b32_e32 v43, v0
	v_mov_b32_e32 v0, s39
	v_add_co_u32_e32 v4, vcc, s38, v39
	v_mov_b32_e32 v44, v1
	v_mov_b32_e32 v45, v2
	;; [unrolled: 1-line block ×3, first 2 shown]
	s_cmp_lt_i32 s33, 11
	v_addc_co_u32_e32 v5, vcc, 0, v0, vcc
	s_cbranch_scc1 .LBB8_1432
; %bb.1426:
	s_and_b32 s14, 0xffff, s33
	s_cmp_gt_i32 s14, 25
	s_mov_b64 s[6:7], 0
	s_cbranch_scc0 .LBB8_1434
; %bb.1427:
	s_cmp_gt_i32 s14, 28
	s_cbranch_scc0 .LBB8_1445
; %bb.1428:
	s_cmp_gt_i32 s14, 43
	;; [unrolled: 3-line block ×3, first 2 shown]
	s_cbranch_scc0 .LBB8_1450
; %bb.1430:
	s_cmp_eq_u32 s14, 46
	s_mov_b64 s[10:11], 0
	s_cbranch_scc0 .LBB8_1504
; %bb.1431:
	global_load_dword v0, v[4:5], off
	s_mov_b64 s[4:5], 0
	s_mov_b64 s[8:9], -1
	s_waitcnt vmcnt(0)
	v_and_b32_e32 v2, 0xffff0000, v0
	v_lshlrev_b32_e32 v0, 16, v0
	v_cvt_f64_f32_e32 v[0:1], v0
	v_cvt_f64_f32_e32 v[2:3], v2
	s_branch .LBB8_1505
.LBB8_1432:
	s_mov_b64 s[8:9], 0
                                        ; implicit-def: $vgpr2_vgpr3
	s_cbranch_execnz .LBB8_1439
.LBB8_1433:
	s_andn2_b64 vcc, exec, s[8:9]
	s_cbranch_vccnz .LBB8_2127
	s_branch .LBB8_1493
.LBB8_1434:
	s_mov_b64 s[8:9], 0
	s_mov_b64 s[4:5], 0
                                        ; implicit-def: $vgpr2_vgpr3
	s_cbranch_execnz .LBB8_1539
.LBB8_1435:
	s_and_b64 vcc, exec, s[4:5]
	s_cbranch_vccnz .LBB8_1570
.LBB8_1436:
	s_andn2_b64 vcc, exec, s[6:7]
	s_cbranch_vccnz .LBB8_1438
.LBB8_1437:
	global_load_ubyte v1, v[4:5], off
	v_mov_b32_e32 v6, 0x3ff00000
	v_mov_b32_e32 v2, 0
	;; [unrolled: 1-line block ×4, first 2 shown]
	s_mov_b64 s[8:9], -1
	s_waitcnt vmcnt(0)
	v_cmp_ne_u16_e32 vcc, 0, v1
	v_cndmask_b32_e32 v1, 0, v6, vcc
.LBB8_1438:
	s_branch .LBB8_1433
.LBB8_1439:
	s_and_b32 s6, 0xffff, s33
	s_cmp_lt_i32 s6, 5
	s_cbranch_scc1 .LBB8_1444
; %bb.1440:
	s_cmp_lt_i32 s6, 8
	s_cbranch_scc1 .LBB8_1446
; %bb.1441:
	;; [unrolled: 3-line block ×3, first 2 shown]
	s_cmp_gt_i32 s6, 9
	s_cbranch_scc0 .LBB8_1451
; %bb.1443:
	global_load_dwordx4 v[0:3], v[4:5], off
	s_mov_b64 s[4:5], 0
	s_branch .LBB8_1452
.LBB8_1444:
	s_mov_b64 s[4:5], -1
                                        ; implicit-def: $vgpr2_vgpr3
	s_branch .LBB8_1471
.LBB8_1445:
	s_mov_b64 s[10:11], -1
	s_mov_b64 s[8:9], 0
	s_mov_b64 s[4:5], 0
                                        ; implicit-def: $vgpr2_vgpr3
	s_branch .LBB8_1518
.LBB8_1446:
	s_mov_b64 s[4:5], -1
                                        ; implicit-def: $vgpr2_vgpr3
	s_branch .LBB8_1458
.LBB8_1447:
	s_mov_b64 s[10:11], -1
	s_mov_b64 s[8:9], 0
	s_mov_b64 s[4:5], 0
                                        ; implicit-def: $vgpr2_vgpr3
	s_branch .LBB8_1512
.LBB8_1448:
	s_mov_b64 s[4:5], -1
                                        ; implicit-def: $vgpr2_vgpr3
	s_branch .LBB8_1455
.LBB8_1449:
	s_trap 2
	s_or_b64 s[34:35], s[34:35], exec
	s_cbranch_execz .LBB8_1374
	s_branch .LBB8_1375
.LBB8_1450:
	s_mov_b64 s[10:11], -1
	s_mov_b64 s[8:9], 0
	s_mov_b64 s[4:5], 0
                                        ; implicit-def: $vgpr2_vgpr3
	s_branch .LBB8_1505
.LBB8_1451:
	s_mov_b64 s[4:5], -1
                                        ; implicit-def: $vgpr2_vgpr3
.LBB8_1452:
	s_andn2_b64 vcc, exec, s[4:5]
	s_cbranch_vccnz .LBB8_1454
; %bb.1453:
	global_load_dwordx2 v[1:2], v[4:5], off
	s_waitcnt vmcnt(0)
	v_cvt_f64_f32_e32 v[0:1], v1
	v_cvt_f64_f32_e32 v[2:3], v2
.LBB8_1454:
	s_mov_b64 s[4:5], 0
.LBB8_1455:
	s_andn2_b64 vcc, exec, s[4:5]
	s_cbranch_vccnz .LBB8_1457
; %bb.1456:
	global_load_dword v0, v[4:5], off
	s_waitcnt vmcnt(0)
	v_cvt_f32_f16_e32 v1, v0
	v_cvt_f32_f16_sdwa v2, v0 dst_sel:DWORD dst_unused:UNUSED_PAD src0_sel:WORD_1
	v_cvt_f64_f32_e32 v[0:1], v1
	v_cvt_f64_f32_e32 v[2:3], v2
.LBB8_1457:
	s_mov_b64 s[4:5], 0
.LBB8_1458:
	s_andn2_b64 vcc, exec, s[4:5]
	s_cbranch_vccnz .LBB8_1470
; %bb.1459:
	s_cmp_lt_i32 s6, 6
	s_cbranch_scc1 .LBB8_1462
; %bb.1460:
	s_cmp_gt_i32 s6, 6
	s_cbranch_scc0 .LBB8_1463
; %bb.1461:
	global_load_dwordx2 v[0:1], v[4:5], off
	s_mov_b64 s[4:5], 0
	s_branch .LBB8_1464
.LBB8_1462:
	s_mov_b64 s[4:5], -1
                                        ; implicit-def: $vgpr0_vgpr1
	s_branch .LBB8_1467
.LBB8_1463:
	s_mov_b64 s[4:5], -1
                                        ; implicit-def: $vgpr0_vgpr1
.LBB8_1464:
	s_andn2_b64 vcc, exec, s[4:5]
	s_cbranch_vccnz .LBB8_1466
; %bb.1465:
	global_load_dword v0, v[4:5], off
	s_waitcnt vmcnt(0)
	v_cvt_f64_f32_e32 v[0:1], v0
.LBB8_1466:
	s_mov_b64 s[4:5], 0
.LBB8_1467:
	s_andn2_b64 vcc, exec, s[4:5]
	s_cbranch_vccnz .LBB8_1469
; %bb.1468:
	global_load_ushort v0, v[4:5], off
	s_waitcnt vmcnt(0)
	v_cvt_f32_f16_e32 v0, v0
	v_cvt_f64_f32_e32 v[0:1], v0
.LBB8_1469:
	s_waitcnt vmcnt(0)
	v_mov_b32_e32 v2, 0
	v_mov_b32_e32 v3, 0
.LBB8_1470:
	s_mov_b64 s[4:5], 0
.LBB8_1471:
	s_andn2_b64 vcc, exec, s[4:5]
	s_cbranch_vccnz .LBB8_1492
; %bb.1472:
	s_cmp_lt_i32 s6, 2
	s_cbranch_scc1 .LBB8_1476
; %bb.1473:
	s_cmp_lt_i32 s6, 3
	s_cbranch_scc1 .LBB8_1477
; %bb.1474:
	s_cmp_gt_i32 s6, 3
	s_cbranch_scc0 .LBB8_1478
; %bb.1475:
	global_load_dwordx2 v[0:1], v[4:5], off
	s_mov_b64 s[4:5], 0
	s_waitcnt vmcnt(0)
	v_cvt_f64_i32_e32 v[1:2], v1
	v_cvt_f64_u32_e32 v[6:7], v0
	v_ldexp_f64 v[1:2], v[1:2], 32
	v_add_f64 v[0:1], v[1:2], v[6:7]
	s_branch .LBB8_1479
.LBB8_1476:
	s_mov_b64 s[4:5], -1
                                        ; implicit-def: $vgpr0_vgpr1
	s_branch .LBB8_1485
.LBB8_1477:
	s_mov_b64 s[4:5], -1
                                        ; implicit-def: $vgpr0_vgpr1
	s_branch .LBB8_1482
.LBB8_1478:
	s_mov_b64 s[4:5], -1
                                        ; implicit-def: $vgpr0_vgpr1
.LBB8_1479:
	s_andn2_b64 vcc, exec, s[4:5]
	s_cbranch_vccnz .LBB8_1481
; %bb.1480:
	global_load_dword v0, v[4:5], off
	s_waitcnt vmcnt(0)
	v_cvt_f64_i32_e32 v[0:1], v0
.LBB8_1481:
	s_mov_b64 s[4:5], 0
.LBB8_1482:
	s_andn2_b64 vcc, exec, s[4:5]
	s_cbranch_vccnz .LBB8_1484
; %bb.1483:
	global_load_sshort v0, v[4:5], off
	s_waitcnt vmcnt(0)
	v_cvt_f64_i32_e32 v[0:1], v0
.LBB8_1484:
	s_mov_b64 s[4:5], 0
.LBB8_1485:
	s_andn2_b64 vcc, exec, s[4:5]
	s_cbranch_vccnz .LBB8_1491
; %bb.1486:
	s_cmp_gt_i32 s6, 0
	s_cbranch_scc0 .LBB8_1488
; %bb.1487:
	global_load_sbyte v0, v[4:5], off
	s_mov_b64 s[4:5], 0
	s_waitcnt vmcnt(0)
	v_cvt_f64_i32_e32 v[0:1], v0
	s_branch .LBB8_1489
.LBB8_1488:
	s_mov_b64 s[4:5], -1
                                        ; implicit-def: $vgpr0_vgpr1
.LBB8_1489:
	s_andn2_b64 vcc, exec, s[4:5]
	s_cbranch_vccnz .LBB8_1491
; %bb.1490:
	global_load_ubyte v0, v[4:5], off
	s_waitcnt vmcnt(0)
	v_cvt_f64_u32_e32 v[0:1], v0
.LBB8_1491:
	s_waitcnt vmcnt(0)
	v_mov_b32_e32 v2, 0
	v_mov_b32_e32 v3, 0
.LBB8_1492:
.LBB8_1493:
	s_getpc_b64 s[4:5]
	s_add_u32 s4, s4, _ZZZZN2at6native16asin_kernel_cudaERNS_18TensorIteratorBaseEENKUlvE_clEvENKUlvE_clEvENKUlN3c107complexIdEEE_clES7_@rel32@lo+4
	s_addc_u32 s5, s5, _ZZZZN2at6native16asin_kernel_cudaERNS_18TensorIteratorBaseEENKUlvE_clEvENKUlvE_clEvENKUlN3c107complexIdEEE_clES7_@rel32@hi+12
	s_swappc_b64 s[30:31], s[4:5]
	v_mov_b32_e32 v39, v0
	v_mov_b32_e32 v0, s39
	v_add_co_u32_e32 v4, vcc, s38, v61
	v_mov_b32_e32 v40, v1
	v_mov_b32_e32 v41, v2
	;; [unrolled: 1-line block ×3, first 2 shown]
	s_cmp_lt_i32 s33, 11
	v_addc_co_u32_e32 v5, vcc, 0, v0, vcc
	s_cbranch_scc1 .LBB8_1500
; %bb.1494:
	s_and_b32 s14, 0xffff, s33
	s_cmp_gt_i32 s14, 25
	s_mov_b64 s[6:7], 0
	s_cbranch_scc0 .LBB8_1501
; %bb.1495:
	s_cmp_gt_i32 s14, 28
	s_cbranch_scc0 .LBB8_1502
; %bb.1496:
	s_cmp_gt_i32 s14, 43
	;; [unrolled: 3-line block ×3, first 2 shown]
	s_cbranch_scc0 .LBB8_1508
; %bb.1498:
	s_cmp_eq_u32 s14, 46
	s_mov_b64 s[10:11], 0
	s_cbranch_scc0 .LBB8_1571
; %bb.1499:
	global_load_dword v0, v[4:5], off
	s_mov_b64 s[4:5], 0
	s_mov_b64 s[8:9], -1
	s_waitcnt vmcnt(0)
	v_and_b32_e32 v2, 0xffff0000, v0
	v_lshlrev_b32_e32 v0, 16, v0
	v_cvt_f64_f32_e32 v[0:1], v0
	v_cvt_f64_f32_e32 v[2:3], v2
	s_branch .LBB8_1572
.LBB8_1500:
	s_mov_b64 s[4:5], -1
	s_mov_b64 s[8:9], 0
                                        ; implicit-def: $vgpr2_vgpr3
	s_branch .LBB8_1622
.LBB8_1501:
	s_mov_b64 s[10:11], -1
	s_mov_b64 s[8:9], 0
	s_mov_b64 s[4:5], 0
                                        ; implicit-def: $vgpr2_vgpr3
	s_branch .LBB8_1605
.LBB8_1502:
	s_mov_b64 s[10:11], -1
	s_mov_b64 s[8:9], 0
	s_mov_b64 s[4:5], 0
                                        ; implicit-def: $vgpr2_vgpr3
	s_branch .LBB8_1584
.LBB8_1503:
	s_mov_b64 s[10:11], -1
	s_mov_b64 s[8:9], 0
	s_mov_b64 s[4:5], 0
                                        ; implicit-def: $vgpr2_vgpr3
	s_branch .LBB8_1578
.LBB8_1504:
	s_mov_b64 s[4:5], -1
                                        ; implicit-def: $vgpr2_vgpr3
	s_mov_b64 s[8:9], 0
.LBB8_1505:
	s_and_b64 vcc, exec, s[10:11]
	s_cbranch_vccz .LBB8_1511
; %bb.1506:
	s_cmp_eq_u32 s14, 44
	s_cbranch_scc0 .LBB8_1509
; %bb.1507:
	global_load_ubyte v2, v[4:5], off
	s_movk_i32 s8, 0xff
	v_bfrev_b32_e32 v3, 4
	v_mov_b32_e32 v6, 0x7ff80000
	v_bfrev_b32_e32 v7, 28
	s_mov_b64 s[4:5], 0
	s_waitcnt vmcnt(0)
	v_lshlrev_b32_e32 v0, 23, v2
	v_cvt_f64_f32_e32 v[0:1], v0
	v_cmp_ne_u32_e32 vcc, s8, v2
	s_mov_b64 s[8:9], -1
	v_cndmask_b32_e32 v0, v3, v0, vcc
	v_cndmask_b32_e32 v1, v6, v1, vcc
	v_cmp_ne_u32_e32 vcc, 0, v2
	v_cndmask_b32_e32 v1, v7, v1, vcc
	v_cndmask_b32_e32 v0, 0, v0, vcc
	s_branch .LBB8_1510
.LBB8_1508:
	s_mov_b64 s[10:11], -1
	s_mov_b64 s[8:9], 0
	s_mov_b64 s[4:5], 0
                                        ; implicit-def: $vgpr2_vgpr3
	s_branch .LBB8_1572
.LBB8_1509:
	s_mov_b64 s[4:5], -1
                                        ; implicit-def: $vgpr0_vgpr1
.LBB8_1510:
	v_mov_b32_e32 v2, 0
	v_mov_b32_e32 v3, 0
.LBB8_1511:
	s_mov_b64 s[10:11], 0
.LBB8_1512:
	s_and_b64 vcc, exec, s[10:11]
	s_cbranch_vccz .LBB8_1517
; %bb.1513:
	s_cmp_eq_u32 s14, 29
	s_cbranch_scc0 .LBB8_1515
; %bb.1514:
	global_load_dwordx2 v[0:1], v[4:5], off
	s_mov_b64 s[4:5], 0
	s_mov_b64 s[8:9], -1
	s_waitcnt vmcnt(0)
	v_cvt_f64_u32_e32 v[1:2], v1
	v_cvt_f64_u32_e32 v[6:7], v0
	v_ldexp_f64 v[1:2], v[1:2], 32
	v_add_f64 v[0:1], v[1:2], v[6:7]
	s_branch .LBB8_1516
.LBB8_1515:
	s_mov_b64 s[4:5], -1
                                        ; implicit-def: $vgpr0_vgpr1
.LBB8_1516:
	v_mov_b32_e32 v2, 0
	v_mov_b32_e32 v3, 0
.LBB8_1517:
	s_mov_b64 s[10:11], 0
.LBB8_1518:
	s_and_b64 vcc, exec, s[10:11]
	s_cbranch_vccz .LBB8_1538
; %bb.1519:
	s_cmp_lt_i32 s14, 27
	s_cbranch_scc1 .LBB8_1522
; %bb.1520:
	s_cmp_gt_i32 s14, 27
	s_cbranch_scc0 .LBB8_1523
; %bb.1521:
	global_load_dword v0, v[4:5], off
	s_mov_b64 s[8:9], 0
	s_waitcnt vmcnt(0)
	v_cvt_f64_u32_e32 v[0:1], v0
	s_branch .LBB8_1524
.LBB8_1522:
	s_mov_b64 s[8:9], -1
                                        ; implicit-def: $vgpr0_vgpr1
	s_branch .LBB8_1527
.LBB8_1523:
	s_mov_b64 s[8:9], -1
                                        ; implicit-def: $vgpr0_vgpr1
.LBB8_1524:
	s_andn2_b64 vcc, exec, s[8:9]
	s_cbranch_vccnz .LBB8_1526
; %bb.1525:
	global_load_ushort v0, v[4:5], off
	s_waitcnt vmcnt(0)
	v_cvt_f64_u32_e32 v[0:1], v0
.LBB8_1526:
	s_mov_b64 s[8:9], 0
.LBB8_1527:
	s_andn2_b64 vcc, exec, s[8:9]
	s_cbranch_vccnz .LBB8_1537
; %bb.1528:
	global_load_ubyte v2, v[4:5], off
	s_movk_i32 s8, 0x7f
	s_waitcnt vmcnt(0)
	v_cmp_lt_i16_e32 vcc, s8, v2
	s_mov_b64 s[8:9], 0
	s_and_saveexec_b64 s[10:11], vcc
	s_xor_b64 s[10:11], exec, s[10:11]
	s_cbranch_execz .LBB8_1532
; %bb.1529:
	s_movk_i32 s8, 0x80
	v_cmp_eq_u16_e32 vcc, s8, v2
	s_mov_b64 s[8:9], -1
	s_and_saveexec_b64 s[12:13], vcc
; %bb.1530:
	s_xor_b64 s[8:9], exec, -1
; %bb.1531:
	s_or_b64 exec, exec, s[12:13]
	s_and_b64 s[8:9], s[8:9], exec
.LBB8_1532:
	s_or_saveexec_b64 s[10:11], s[10:11]
	v_bfrev_b32_e32 v0, 4
	v_mov_b32_e32 v1, 0x7ff80000
	s_xor_b64 exec, exec, s[10:11]
; %bb.1533:
	v_cmp_ne_u16_e32 vcc, 0, v2
	v_mov_b32_e32 v0, 0
	s_andn2_b64 s[8:9], s[8:9], exec
	s_and_b64 s[12:13], vcc, exec
	v_mov_b32_e32 v1, 0
	s_or_b64 s[8:9], s[8:9], s[12:13]
; %bb.1534:
	s_or_b64 exec, exec, s[10:11]
	s_and_saveexec_b64 s[10:11], s[8:9]
	s_cbranch_execz .LBB8_1536
; %bb.1535:
	v_and_b32_e32 v1, 0xffff, v2
	v_lshlrev_b32_e32 v0, 24, v2
	v_and_b32_e32 v2, 7, v1
	v_ffbh_u32_e32 v6, v2
	v_min_u32_e32 v6, 32, v6
	v_subrev_u32_e32 v7, 28, v6
	v_bfe_u32 v3, v1, 3, 4
	v_lshlrev_b32_e32 v1, v7, v1
	v_sub_u32_e32 v6, 29, v6
	v_and_b32_e32 v1, 7, v1
	v_cmp_eq_u32_e32 vcc, 0, v3
	v_cndmask_b32_e32 v3, v3, v6, vcc
	v_cndmask_b32_e32 v1, v2, v1, vcc
	v_mov_b32_e32 v2, 0x3b800000
	v_lshlrev_b32_e32 v1, 20, v1
	v_and_b32_e32 v0, 0x80000000, v0
	v_lshl_add_u32 v2, v3, 23, v2
	v_or3_b32 v0, v0, v2, v1
	v_cvt_f64_f32_e32 v[0:1], v0
.LBB8_1536:
	s_or_b64 exec, exec, s[10:11]
.LBB8_1537:
	v_mov_b32_e32 v2, 0
	v_mov_b32_e32 v3, 0
	s_mov_b64 s[8:9], -1
.LBB8_1538:
	s_branch .LBB8_1435
.LBB8_1539:
	s_cmp_gt_i32 s14, 22
	s_cbranch_scc0 .LBB8_1551
; %bb.1540:
	s_cmp_lt_i32 s14, 24
	s_cbranch_scc1 .LBB8_1552
; %bb.1541:
	s_cmp_gt_i32 s14, 24
	s_cbranch_scc0 .LBB8_1553
; %bb.1542:
	global_load_ubyte v2, v[4:5], off
	s_movk_i32 s6, 0x7f
	s_waitcnt vmcnt(0)
	v_cmp_lt_i16_e32 vcc, s6, v2
	s_mov_b64 s[6:7], 0
	s_and_saveexec_b64 s[8:9], vcc
	s_xor_b64 s[8:9], exec, s[8:9]
	s_cbranch_execz .LBB8_1546
; %bb.1543:
	s_movk_i32 s6, 0x80
	v_cmp_eq_u16_e32 vcc, s6, v2
	s_mov_b64 s[6:7], -1
	s_and_saveexec_b64 s[10:11], vcc
; %bb.1544:
	s_xor_b64 s[6:7], exec, -1
; %bb.1545:
	s_or_b64 exec, exec, s[10:11]
	s_and_b64 s[6:7], s[6:7], exec
.LBB8_1546:
	s_or_saveexec_b64 s[8:9], s[8:9]
	v_bfrev_b32_e32 v0, 4
	v_mov_b32_e32 v1, 0x7ff80000
	s_xor_b64 exec, exec, s[8:9]
; %bb.1547:
	v_cmp_ne_u16_e32 vcc, 0, v2
	v_mov_b32_e32 v0, 0
	s_andn2_b64 s[6:7], s[6:7], exec
	s_and_b64 s[10:11], vcc, exec
	v_mov_b32_e32 v1, 0
	s_or_b64 s[6:7], s[6:7], s[10:11]
; %bb.1548:
	s_or_b64 exec, exec, s[8:9]
	s_and_saveexec_b64 s[8:9], s[6:7]
	s_cbranch_execz .LBB8_1550
; %bb.1549:
	v_and_b32_e32 v1, 0xffff, v2
	v_lshlrev_b32_e32 v0, 24, v2
	v_and_b32_e32 v2, 3, v1
	v_ffbh_u32_e32 v6, v2
	v_min_u32_e32 v6, 32, v6
	v_subrev_u32_e32 v7, 29, v6
	v_bfe_u32 v3, v1, 2, 5
	v_lshlrev_b32_e32 v1, v7, v1
	v_sub_u32_e32 v6, 30, v6
	v_and_b32_e32 v1, 3, v1
	v_cmp_eq_u32_e32 vcc, 0, v3
	v_cndmask_b32_e32 v3, v3, v6, vcc
	v_cndmask_b32_e32 v1, v2, v1, vcc
	v_mov_b32_e32 v2, 0x37800000
	v_lshlrev_b32_e32 v1, 21, v1
	v_and_b32_e32 v0, 0x80000000, v0
	v_lshl_add_u32 v2, v3, 23, v2
	v_or3_b32 v0, v0, v2, v1
	v_cvt_f64_f32_e32 v[0:1], v0
.LBB8_1550:
	s_or_b64 exec, exec, s[8:9]
	s_mov_b64 s[6:7], 0
	s_branch .LBB8_1554
.LBB8_1551:
	s_mov_b64 s[6:7], -1
                                        ; implicit-def: $vgpr0_vgpr1
	s_branch .LBB8_1560
.LBB8_1552:
	s_mov_b64 s[6:7], -1
                                        ; implicit-def: $vgpr0_vgpr1
	s_branch .LBB8_1557
.LBB8_1553:
	s_mov_b64 s[6:7], -1
                                        ; implicit-def: $vgpr0_vgpr1
.LBB8_1554:
	s_and_b64 vcc, exec, s[6:7]
	s_cbranch_vccz .LBB8_1556
; %bb.1555:
	global_load_ubyte v0, v[4:5], off
	s_mov_b32 s6, 0x7f800000
	s_waitcnt vmcnt(0)
	v_lshlrev_b32_e32 v0, 24, v0
	v_and_b32_e32 v1, 0x7f000000, v0
	v_ffbh_u32_e32 v2, v1
	v_min_u32_e32 v2, 32, v2
	v_sub_u32_e64 v2, v2, 4 clamp
	v_lshlrev_b32_e32 v6, v2, v1
	v_lshlrev_b32_e32 v2, 23, v2
	v_lshrrev_b32_e32 v6, 4, v6
	v_add_u32_e32 v3, 0x1000000, v1
	v_sub_u32_e32 v2, v6, v2
	v_ashrrev_i32_e32 v3, 8, v3
	v_add_u32_e32 v2, 0x3c000000, v2
	v_and_or_b32 v2, v3, s6, v2
	v_cmp_ne_u32_e32 vcc, 0, v1
	v_cndmask_b32_e32 v1, 0, v2, vcc
	s_brev_b32 s6, 1
	v_and_or_b32 v0, v0, s6, v1
	v_cvt_f64_f32_e32 v[0:1], v0
.LBB8_1556:
	s_mov_b64 s[6:7], 0
.LBB8_1557:
	s_andn2_b64 vcc, exec, s[6:7]
	s_cbranch_vccnz .LBB8_1559
; %bb.1558:
	global_load_ubyte v0, v[4:5], off
	s_movk_i32 s6, 0x7f00
	s_brev_b32 s7, 16
	s_waitcnt vmcnt(0)
	v_lshlrev_b16_e32 v1, 8, v0
	v_lshlrev_b32_e32 v0, 25, v0
	v_lshrrev_b32_e32 v2, 4, v0
	v_and_or_b32 v3, v1, s6, 0.5
	v_or_b32_e32 v2, 0x70000000, v2
	v_add_f32_e32 v3, -0.5, v3
	v_mul_f32_e32 v2, 0x7800000, v2
	v_cmp_gt_u32_e32 vcc, s7, v0
	v_bfe_i32 v1, v1, 0, 16
	v_cndmask_b32_e32 v0, v2, v3, vcc
	s_brev_b32 s6, 1
	v_and_or_b32 v0, v1, s6, v0
	v_cvt_f64_f32_e32 v[0:1], v0
.LBB8_1559:
	s_mov_b64 s[6:7], 0
	s_mov_b64 s[8:9], -1
.LBB8_1560:
	s_andn2_b64 vcc, exec, s[6:7]
	s_mov_b64 s[6:7], 0
	s_cbranch_vccnz .LBB8_1569
; %bb.1561:
	s_cmp_gt_i32 s14, 14
	s_cbranch_scc0 .LBB8_1564
; %bb.1562:
	s_cmp_eq_u32 s14, 15
	s_cbranch_scc0 .LBB8_1565
; %bb.1563:
	global_load_ushort v0, v[4:5], off
	s_mov_b64 s[4:5], 0
	s_mov_b64 s[8:9], -1
	s_waitcnt vmcnt(0)
	v_lshlrev_b32_e32 v0, 16, v0
	v_cvt_f64_f32_e32 v[0:1], v0
	s_branch .LBB8_1566
.LBB8_1564:
	s_mov_b64 s[10:11], -1
                                        ; implicit-def: $vgpr0_vgpr1
	s_branch .LBB8_1567
.LBB8_1565:
	s_mov_b64 s[4:5], -1
                                        ; implicit-def: $vgpr0_vgpr1
.LBB8_1566:
	s_mov_b64 s[10:11], 0
.LBB8_1567:
	s_and_b64 vcc, exec, s[10:11]
	s_cbranch_vccz .LBB8_1569
; %bb.1568:
	s_cmp_lg_u32 s14, 11
	s_mov_b64 s[6:7], -1
	s_cselect_b64 s[4:5], -1, 0
.LBB8_1569:
	v_mov_b32_e32 v2, 0
	v_mov_b32_e32 v3, 0
	s_and_b64 vcc, exec, s[4:5]
	s_cbranch_vccz .LBB8_1436
.LBB8_1570:
	s_trap 2
	s_or_b64 s[34:35], s[34:35], exec
	s_cbranch_execz .LBB8_1437
	s_branch .LBB8_1438
.LBB8_1571:
	s_mov_b64 s[4:5], -1
                                        ; implicit-def: $vgpr2_vgpr3
	s_mov_b64 s[8:9], 0
.LBB8_1572:
	s_and_b64 vcc, exec, s[10:11]
	s_cbranch_vccz .LBB8_1577
; %bb.1573:
	s_cmp_eq_u32 s14, 44
	s_cbranch_scc0 .LBB8_1575
; %bb.1574:
	global_load_ubyte v2, v[4:5], off
	s_movk_i32 s8, 0xff
	v_bfrev_b32_e32 v3, 4
	v_mov_b32_e32 v6, 0x7ff80000
	v_bfrev_b32_e32 v7, 28
	s_mov_b64 s[4:5], 0
	s_waitcnt vmcnt(0)
	v_lshlrev_b32_e32 v0, 23, v2
	v_cvt_f64_f32_e32 v[0:1], v0
	v_cmp_ne_u32_e32 vcc, s8, v2
	s_mov_b64 s[8:9], -1
	v_cndmask_b32_e32 v0, v3, v0, vcc
	v_cndmask_b32_e32 v1, v6, v1, vcc
	v_cmp_ne_u32_e32 vcc, 0, v2
	v_cndmask_b32_e32 v1, v7, v1, vcc
	v_cndmask_b32_e32 v0, 0, v0, vcc
	s_branch .LBB8_1576
.LBB8_1575:
	s_mov_b64 s[4:5], -1
                                        ; implicit-def: $vgpr0_vgpr1
.LBB8_1576:
	v_mov_b32_e32 v2, 0
	v_mov_b32_e32 v3, 0
.LBB8_1577:
	s_mov_b64 s[10:11], 0
.LBB8_1578:
	s_and_b64 vcc, exec, s[10:11]
	s_cbranch_vccz .LBB8_1583
; %bb.1579:
	s_cmp_eq_u32 s14, 29
	s_cbranch_scc0 .LBB8_1581
; %bb.1580:
	global_load_dwordx2 v[0:1], v[4:5], off
	s_mov_b64 s[4:5], 0
	s_mov_b64 s[8:9], -1
	s_waitcnt vmcnt(0)
	v_cvt_f64_u32_e32 v[1:2], v1
	v_cvt_f64_u32_e32 v[6:7], v0
	v_ldexp_f64 v[1:2], v[1:2], 32
	v_add_f64 v[0:1], v[1:2], v[6:7]
	s_branch .LBB8_1582
.LBB8_1581:
	s_mov_b64 s[4:5], -1
                                        ; implicit-def: $vgpr0_vgpr1
.LBB8_1582:
	v_mov_b32_e32 v2, 0
	v_mov_b32_e32 v3, 0
.LBB8_1583:
	s_mov_b64 s[10:11], 0
.LBB8_1584:
	s_and_b64 vcc, exec, s[10:11]
	s_cbranch_vccz .LBB8_1604
; %bb.1585:
	s_cmp_lt_i32 s14, 27
	s_cbranch_scc1 .LBB8_1588
; %bb.1586:
	s_cmp_gt_i32 s14, 27
	s_cbranch_scc0 .LBB8_1589
; %bb.1587:
	global_load_dword v0, v[4:5], off
	s_mov_b64 s[8:9], 0
	s_waitcnt vmcnt(0)
	v_cvt_f64_u32_e32 v[0:1], v0
	s_branch .LBB8_1590
.LBB8_1588:
	s_mov_b64 s[8:9], -1
                                        ; implicit-def: $vgpr0_vgpr1
	s_branch .LBB8_1593
.LBB8_1589:
	s_mov_b64 s[8:9], -1
                                        ; implicit-def: $vgpr0_vgpr1
.LBB8_1590:
	s_andn2_b64 vcc, exec, s[8:9]
	s_cbranch_vccnz .LBB8_1592
; %bb.1591:
	global_load_ushort v0, v[4:5], off
	s_waitcnt vmcnt(0)
	v_cvt_f64_u32_e32 v[0:1], v0
.LBB8_1592:
	s_mov_b64 s[8:9], 0
.LBB8_1593:
	s_andn2_b64 vcc, exec, s[8:9]
	s_cbranch_vccnz .LBB8_1603
; %bb.1594:
	global_load_ubyte v2, v[4:5], off
	s_movk_i32 s8, 0x7f
	s_waitcnt vmcnt(0)
	v_cmp_lt_i16_e32 vcc, s8, v2
	s_mov_b64 s[8:9], 0
	s_and_saveexec_b64 s[10:11], vcc
	s_xor_b64 s[10:11], exec, s[10:11]
	s_cbranch_execz .LBB8_1598
; %bb.1595:
	s_movk_i32 s8, 0x80
	v_cmp_eq_u16_e32 vcc, s8, v2
	s_mov_b64 s[8:9], -1
	s_and_saveexec_b64 s[12:13], vcc
; %bb.1596:
	s_xor_b64 s[8:9], exec, -1
; %bb.1597:
	s_or_b64 exec, exec, s[12:13]
	s_and_b64 s[8:9], s[8:9], exec
.LBB8_1598:
	s_or_saveexec_b64 s[10:11], s[10:11]
	v_bfrev_b32_e32 v0, 4
	v_mov_b32_e32 v1, 0x7ff80000
	s_xor_b64 exec, exec, s[10:11]
; %bb.1599:
	v_cmp_ne_u16_e32 vcc, 0, v2
	v_mov_b32_e32 v0, 0
	s_andn2_b64 s[8:9], s[8:9], exec
	s_and_b64 s[12:13], vcc, exec
	v_mov_b32_e32 v1, 0
	s_or_b64 s[8:9], s[8:9], s[12:13]
; %bb.1600:
	s_or_b64 exec, exec, s[10:11]
	s_and_saveexec_b64 s[10:11], s[8:9]
	s_cbranch_execz .LBB8_1602
; %bb.1601:
	v_and_b32_e32 v1, 0xffff, v2
	v_lshlrev_b32_e32 v0, 24, v2
	v_and_b32_e32 v2, 7, v1
	v_ffbh_u32_e32 v6, v2
	v_min_u32_e32 v6, 32, v6
	v_subrev_u32_e32 v7, 28, v6
	v_bfe_u32 v3, v1, 3, 4
	v_lshlrev_b32_e32 v1, v7, v1
	v_sub_u32_e32 v6, 29, v6
	v_and_b32_e32 v1, 7, v1
	v_cmp_eq_u32_e32 vcc, 0, v3
	v_cndmask_b32_e32 v3, v3, v6, vcc
	v_cndmask_b32_e32 v1, v2, v1, vcc
	v_mov_b32_e32 v2, 0x3b800000
	v_lshlrev_b32_e32 v1, 20, v1
	v_and_b32_e32 v0, 0x80000000, v0
	v_lshl_add_u32 v2, v3, 23, v2
	v_or3_b32 v0, v0, v2, v1
	v_cvt_f64_f32_e32 v[0:1], v0
.LBB8_1602:
	s_or_b64 exec, exec, s[10:11]
.LBB8_1603:
	v_mov_b32_e32 v2, 0
	v_mov_b32_e32 v3, 0
	s_mov_b64 s[8:9], -1
.LBB8_1604:
	s_mov_b64 s[10:11], 0
.LBB8_1605:
	s_and_b64 vcc, exec, s[10:11]
	s_cbranch_vccz .LBB8_1618
; %bb.1606:
	s_cmp_gt_i32 s14, 22
	s_cbranch_scc0 .LBB8_1629
; %bb.1607:
	s_cmp_lt_i32 s14, 24
	s_cbranch_scc1 .LBB8_1631
; %bb.1608:
	s_cmp_gt_i32 s14, 24
	s_cbranch_scc0 .LBB8_1633
; %bb.1609:
	global_load_ubyte v2, v[4:5], off
	s_movk_i32 s6, 0x7f
	s_waitcnt vmcnt(0)
	v_cmp_lt_i16_e32 vcc, s6, v2
	s_mov_b64 s[6:7], 0
	s_and_saveexec_b64 s[8:9], vcc
	s_xor_b64 s[8:9], exec, s[8:9]
	s_cbranch_execz .LBB8_1613
; %bb.1610:
	s_movk_i32 s6, 0x80
	v_cmp_eq_u16_e32 vcc, s6, v2
	s_mov_b64 s[6:7], -1
	s_and_saveexec_b64 s[10:11], vcc
; %bb.1611:
	s_xor_b64 s[6:7], exec, -1
; %bb.1612:
	s_or_b64 exec, exec, s[10:11]
	s_and_b64 s[6:7], s[6:7], exec
.LBB8_1613:
	s_or_saveexec_b64 s[8:9], s[8:9]
	v_bfrev_b32_e32 v0, 4
	v_mov_b32_e32 v1, 0x7ff80000
	s_xor_b64 exec, exec, s[8:9]
; %bb.1614:
	v_cmp_ne_u16_e32 vcc, 0, v2
	v_mov_b32_e32 v0, 0
	s_andn2_b64 s[6:7], s[6:7], exec
	s_and_b64 s[10:11], vcc, exec
	v_mov_b32_e32 v1, 0
	s_or_b64 s[6:7], s[6:7], s[10:11]
; %bb.1615:
	s_or_b64 exec, exec, s[8:9]
	s_and_saveexec_b64 s[8:9], s[6:7]
	s_cbranch_execz .LBB8_1617
; %bb.1616:
	v_and_b32_e32 v1, 0xffff, v2
	v_lshlrev_b32_e32 v0, 24, v2
	v_and_b32_e32 v2, 3, v1
	v_ffbh_u32_e32 v6, v2
	v_min_u32_e32 v6, 32, v6
	v_subrev_u32_e32 v7, 29, v6
	v_bfe_u32 v3, v1, 2, 5
	v_lshlrev_b32_e32 v1, v7, v1
	v_sub_u32_e32 v6, 30, v6
	v_and_b32_e32 v1, 3, v1
	v_cmp_eq_u32_e32 vcc, 0, v3
	v_cndmask_b32_e32 v3, v3, v6, vcc
	v_cndmask_b32_e32 v1, v2, v1, vcc
	v_mov_b32_e32 v2, 0x37800000
	v_lshlrev_b32_e32 v1, 21, v1
	v_and_b32_e32 v0, 0x80000000, v0
	v_lshl_add_u32 v2, v3, 23, v2
	v_or3_b32 v0, v0, v2, v1
	v_cvt_f64_f32_e32 v[0:1], v0
.LBB8_1617:
	s_or_b64 exec, exec, s[8:9]
	s_mov_b64 s[6:7], 0
	s_branch .LBB8_1634
.LBB8_1618:
	s_and_b64 vcc, exec, s[4:5]
	s_cbranch_vccnz .LBB8_1662
.LBB8_1619:
	s_andn2_b64 vcc, exec, s[6:7]
	s_cbranch_vccnz .LBB8_1621
.LBB8_1620:
	global_load_ubyte v1, v[4:5], off
	v_mov_b32_e32 v6, 0x3ff00000
	v_mov_b32_e32 v2, 0
	;; [unrolled: 1-line block ×4, first 2 shown]
	s_mov_b64 s[8:9], -1
	s_waitcnt vmcnt(0)
	v_cmp_ne_u16_e32 vcc, 0, v1
	v_cndmask_b32_e32 v1, 0, v6, vcc
.LBB8_1621:
	s_mov_b64 s[4:5], 0
.LBB8_1622:
	s_and_b64 vcc, exec, s[4:5]
	s_cbranch_vccz .LBB8_1693
; %bb.1623:
	s_and_b32 s6, 0xffff, s33
	s_cmp_lt_i32 s6, 5
	s_cbranch_scc1 .LBB8_1628
; %bb.1624:
	s_cmp_lt_i32 s6, 8
	s_cbranch_scc1 .LBB8_1630
; %bb.1625:
	;; [unrolled: 3-line block ×3, first 2 shown]
	s_cmp_gt_i32 s6, 9
	s_cbranch_scc0 .LBB8_1645
; %bb.1627:
	global_load_dwordx4 v[0:3], v[4:5], off
	s_mov_b64 s[4:5], 0
	s_branch .LBB8_1646
.LBB8_1628:
	s_mov_b64 s[4:5], -1
                                        ; implicit-def: $vgpr2_vgpr3
	s_branch .LBB8_1671
.LBB8_1629:
	s_mov_b64 s[6:7], -1
                                        ; implicit-def: $vgpr0_vgpr1
	s_branch .LBB8_1640
.LBB8_1630:
	s_mov_b64 s[4:5], -1
                                        ; implicit-def: $vgpr2_vgpr3
	s_branch .LBB8_1652
.LBB8_1631:
	s_mov_b64 s[6:7], -1
                                        ; implicit-def: $vgpr0_vgpr1
	s_branch .LBB8_1637
.LBB8_1632:
	s_mov_b64 s[4:5], -1
                                        ; implicit-def: $vgpr2_vgpr3
	s_branch .LBB8_1649
.LBB8_1633:
	s_mov_b64 s[6:7], -1
                                        ; implicit-def: $vgpr0_vgpr1
.LBB8_1634:
	s_and_b64 vcc, exec, s[6:7]
	s_cbranch_vccz .LBB8_1636
; %bb.1635:
	global_load_ubyte v0, v[4:5], off
	s_mov_b32 s6, 0x7f800000
	s_waitcnt vmcnt(0)
	v_lshlrev_b32_e32 v0, 24, v0
	v_and_b32_e32 v1, 0x7f000000, v0
	v_ffbh_u32_e32 v2, v1
	v_min_u32_e32 v2, 32, v2
	v_sub_u32_e64 v2, v2, 4 clamp
	v_lshlrev_b32_e32 v6, v2, v1
	v_lshlrev_b32_e32 v2, 23, v2
	v_lshrrev_b32_e32 v6, 4, v6
	v_add_u32_e32 v3, 0x1000000, v1
	v_sub_u32_e32 v2, v6, v2
	v_ashrrev_i32_e32 v3, 8, v3
	v_add_u32_e32 v2, 0x3c000000, v2
	v_and_or_b32 v2, v3, s6, v2
	v_cmp_ne_u32_e32 vcc, 0, v1
	v_cndmask_b32_e32 v1, 0, v2, vcc
	s_brev_b32 s6, 1
	v_and_or_b32 v0, v0, s6, v1
	v_cvt_f64_f32_e32 v[0:1], v0
.LBB8_1636:
	s_mov_b64 s[6:7], 0
.LBB8_1637:
	s_andn2_b64 vcc, exec, s[6:7]
	s_cbranch_vccnz .LBB8_1639
; %bb.1638:
	global_load_ubyte v0, v[4:5], off
	s_movk_i32 s6, 0x7f00
	s_brev_b32 s7, 16
	s_waitcnt vmcnt(0)
	v_lshlrev_b16_e32 v1, 8, v0
	v_lshlrev_b32_e32 v0, 25, v0
	v_lshrrev_b32_e32 v2, 4, v0
	v_and_or_b32 v3, v1, s6, 0.5
	v_or_b32_e32 v2, 0x70000000, v2
	v_add_f32_e32 v3, -0.5, v3
	v_mul_f32_e32 v2, 0x7800000, v2
	v_cmp_gt_u32_e32 vcc, s7, v0
	v_bfe_i32 v1, v1, 0, 16
	v_cndmask_b32_e32 v0, v2, v3, vcc
	s_brev_b32 s6, 1
	v_and_or_b32 v0, v1, s6, v0
	v_cvt_f64_f32_e32 v[0:1], v0
.LBB8_1639:
	s_mov_b64 s[6:7], 0
	s_mov_b64 s[8:9], -1
.LBB8_1640:
	s_andn2_b64 vcc, exec, s[6:7]
	s_mov_b64 s[6:7], 0
	s_cbranch_vccnz .LBB8_1661
; %bb.1641:
	s_cmp_gt_i32 s14, 14
	s_cbranch_scc0 .LBB8_1644
; %bb.1642:
	s_cmp_eq_u32 s14, 15
	s_cbranch_scc0 .LBB8_1657
; %bb.1643:
	global_load_ushort v0, v[4:5], off
	s_mov_b64 s[4:5], 0
	s_mov_b64 s[8:9], -1
	s_waitcnt vmcnt(0)
	v_lshlrev_b32_e32 v0, 16, v0
	v_cvt_f64_f32_e32 v[0:1], v0
	s_branch .LBB8_1658
.LBB8_1644:
	s_mov_b64 s[10:11], -1
                                        ; implicit-def: $vgpr0_vgpr1
	s_branch .LBB8_1659
.LBB8_1645:
	s_mov_b64 s[4:5], -1
                                        ; implicit-def: $vgpr2_vgpr3
.LBB8_1646:
	s_andn2_b64 vcc, exec, s[4:5]
	s_cbranch_vccnz .LBB8_1648
; %bb.1647:
	global_load_dwordx2 v[1:2], v[4:5], off
	s_waitcnt vmcnt(0)
	v_cvt_f64_f32_e32 v[0:1], v1
	v_cvt_f64_f32_e32 v[2:3], v2
.LBB8_1648:
	s_mov_b64 s[4:5], 0
.LBB8_1649:
	s_andn2_b64 vcc, exec, s[4:5]
	s_cbranch_vccnz .LBB8_1651
; %bb.1650:
	global_load_dword v0, v[4:5], off
	s_waitcnt vmcnt(0)
	v_cvt_f32_f16_e32 v1, v0
	v_cvt_f32_f16_sdwa v2, v0 dst_sel:DWORD dst_unused:UNUSED_PAD src0_sel:WORD_1
	v_cvt_f64_f32_e32 v[0:1], v1
	v_cvt_f64_f32_e32 v[2:3], v2
.LBB8_1651:
	s_mov_b64 s[4:5], 0
.LBB8_1652:
	s_andn2_b64 vcc, exec, s[4:5]
	s_cbranch_vccnz .LBB8_1670
; %bb.1653:
	s_cmp_lt_i32 s6, 6
	s_cbranch_scc1 .LBB8_1656
; %bb.1654:
	s_cmp_gt_i32 s6, 6
	s_cbranch_scc0 .LBB8_1663
; %bb.1655:
	global_load_dwordx2 v[0:1], v[4:5], off
	s_mov_b64 s[4:5], 0
	s_branch .LBB8_1664
.LBB8_1656:
	s_mov_b64 s[4:5], -1
                                        ; implicit-def: $vgpr0_vgpr1
	s_branch .LBB8_1667
.LBB8_1657:
	s_mov_b64 s[4:5], -1
                                        ; implicit-def: $vgpr0_vgpr1
.LBB8_1658:
	s_mov_b64 s[10:11], 0
.LBB8_1659:
	s_and_b64 vcc, exec, s[10:11]
	s_cbranch_vccz .LBB8_1661
; %bb.1660:
	s_cmp_lg_u32 s14, 11
	s_mov_b64 s[6:7], -1
	s_cselect_b64 s[4:5], -1, 0
.LBB8_1661:
	v_mov_b32_e32 v2, 0
	v_mov_b32_e32 v3, 0
	s_and_b64 vcc, exec, s[4:5]
	s_cbranch_vccz .LBB8_1619
.LBB8_1662:
	s_trap 2
	s_or_b64 s[34:35], s[34:35], exec
	s_cbranch_execz .LBB8_1620
	s_branch .LBB8_1621
.LBB8_1663:
	s_mov_b64 s[4:5], -1
                                        ; implicit-def: $vgpr0_vgpr1
.LBB8_1664:
	s_andn2_b64 vcc, exec, s[4:5]
	s_cbranch_vccnz .LBB8_1666
; %bb.1665:
	global_load_dword v0, v[4:5], off
	s_waitcnt vmcnt(0)
	v_cvt_f64_f32_e32 v[0:1], v0
.LBB8_1666:
	s_mov_b64 s[4:5], 0
.LBB8_1667:
	s_andn2_b64 vcc, exec, s[4:5]
	s_cbranch_vccnz .LBB8_1669
; %bb.1668:
	global_load_ushort v0, v[4:5], off
	s_waitcnt vmcnt(0)
	v_cvt_f32_f16_e32 v0, v0
	v_cvt_f64_f32_e32 v[0:1], v0
.LBB8_1669:
	s_waitcnt vmcnt(0)
	v_mov_b32_e32 v2, 0
	v_mov_b32_e32 v3, 0
.LBB8_1670:
	s_mov_b64 s[4:5], 0
.LBB8_1671:
	s_andn2_b64 vcc, exec, s[4:5]
	s_cbranch_vccnz .LBB8_1692
; %bb.1672:
	s_cmp_lt_i32 s6, 2
	s_cbranch_scc1 .LBB8_1676
; %bb.1673:
	s_cmp_lt_i32 s6, 3
	s_cbranch_scc1 .LBB8_1677
; %bb.1674:
	s_cmp_gt_i32 s6, 3
	s_cbranch_scc0 .LBB8_1678
; %bb.1675:
	global_load_dwordx2 v[0:1], v[4:5], off
	s_mov_b64 s[4:5], 0
	s_waitcnt vmcnt(0)
	v_cvt_f64_i32_e32 v[1:2], v1
	v_cvt_f64_u32_e32 v[6:7], v0
	v_ldexp_f64 v[1:2], v[1:2], 32
	v_add_f64 v[0:1], v[1:2], v[6:7]
	s_branch .LBB8_1679
.LBB8_1676:
	s_mov_b64 s[4:5], -1
                                        ; implicit-def: $vgpr0_vgpr1
	s_branch .LBB8_1685
.LBB8_1677:
	s_mov_b64 s[4:5], -1
                                        ; implicit-def: $vgpr0_vgpr1
	s_branch .LBB8_1682
.LBB8_1678:
	s_mov_b64 s[4:5], -1
                                        ; implicit-def: $vgpr0_vgpr1
.LBB8_1679:
	s_andn2_b64 vcc, exec, s[4:5]
	s_cbranch_vccnz .LBB8_1681
; %bb.1680:
	global_load_dword v0, v[4:5], off
	s_waitcnt vmcnt(0)
	v_cvt_f64_i32_e32 v[0:1], v0
.LBB8_1681:
	s_mov_b64 s[4:5], 0
.LBB8_1682:
	s_andn2_b64 vcc, exec, s[4:5]
	s_cbranch_vccnz .LBB8_1684
; %bb.1683:
	global_load_sshort v0, v[4:5], off
	s_waitcnt vmcnt(0)
	v_cvt_f64_i32_e32 v[0:1], v0
.LBB8_1684:
	s_mov_b64 s[4:5], 0
.LBB8_1685:
	s_andn2_b64 vcc, exec, s[4:5]
	s_cbranch_vccnz .LBB8_1691
; %bb.1686:
	s_cmp_gt_i32 s6, 0
	s_cbranch_scc0 .LBB8_1688
; %bb.1687:
	global_load_sbyte v0, v[4:5], off
	s_mov_b64 s[4:5], 0
	s_waitcnt vmcnt(0)
	v_cvt_f64_i32_e32 v[0:1], v0
	s_branch .LBB8_1689
.LBB8_1688:
	s_mov_b64 s[4:5], -1
                                        ; implicit-def: $vgpr0_vgpr1
.LBB8_1689:
	s_andn2_b64 vcc, exec, s[4:5]
	s_cbranch_vccnz .LBB8_1691
; %bb.1690:
	global_load_ubyte v0, v[4:5], off
	s_waitcnt vmcnt(0)
	v_cvt_f64_u32_e32 v[0:1], v0
.LBB8_1691:
	s_waitcnt vmcnt(0)
	v_mov_b32_e32 v2, 0
	v_mov_b32_e32 v3, 0
.LBB8_1692:
	s_mov_b64 s[8:9], -1
.LBB8_1693:
	s_andn2_b64 vcc, exec, s[8:9]
	s_cbranch_vccnz .LBB8_2127
; %bb.1694:
	s_getpc_b64 s[4:5]
	s_add_u32 s4, s4, _ZZZZN2at6native16asin_kernel_cudaERNS_18TensorIteratorBaseEENKUlvE_clEvENKUlvE_clEvENKUlN3c107complexIdEEE_clES7_@rel32@lo+4
	s_addc_u32 s5, s5, _ZZZZN2at6native16asin_kernel_cudaERNS_18TensorIteratorBaseEENKUlvE_clEvENKUlvE_clEvENKUlN3c107complexIdEEE_clES7_@rel32@hi+12
	s_swappc_b64 s[30:31], s[4:5]
	s_bfe_u32 s14, s27, 0x80008
	v_mov_b32_e32 v5, s37
	v_add_co_u32_e32 v4, vcc, s36, v60
	s_cmp_lt_i32 s14, 11
	v_addc_co_u32_e32 v5, vcc, 0, v5, vcc
	s_cbranch_scc1 .LBB8_1772
; %bb.1695:
	s_and_b32 s15, 0xffff, s14
	s_mov_b64 s[10:11], -1
	s_mov_b64 s[6:7], 0
	s_cmp_gt_i32 s15, 25
	s_mov_b64 s[8:9], 0
	s_mov_b64 s[4:5], 0
	s_cbranch_scc0 .LBB8_1728
; %bb.1696:
	s_cmp_gt_i32 s15, 28
	s_cbranch_scc0 .LBB8_1711
; %bb.1697:
	s_cmp_gt_i32 s15, 43
	;; [unrolled: 3-line block ×3, first 2 shown]
	s_cbranch_scc0 .LBB8_1701
; %bb.1699:
	s_mov_b64 s[4:5], -1
	s_mov_b64 s[10:11], 0
	s_cmp_eq_u32 s15, 46
	s_cbranch_scc0 .LBB8_1701
; %bb.1700:
	v_cvt_f32_f64_e32 v7, v[52:53]
	v_cvt_f32_f64_e32 v6, v[50:51]
	s_movk_i32 s4, 0x7fff
	v_mov_b32_e32 v10, 0x7fc00000
	v_bfe_u32 v9, v7, 16, 1
	v_add3_u32 v9, v7, v9, s4
	v_bfe_u32 v8, v6, 16, 1
	v_and_b32_e32 v9, 0xffff0000, v9
	v_cmp_o_f32_e32 vcc, v7, v7
	v_add3_u32 v8, v6, v8, s4
	v_cndmask_b32_e32 v7, v10, v9, vcc
	v_cmp_o_f32_e32 vcc, v6, v6
	v_mov_b32_e32 v6, 0x7fc0
	v_cndmask_b32_sdwa v6, v6, v8, vcc dst_sel:DWORD dst_unused:UNUSED_PAD src0_sel:DWORD src1_sel:WORD_1
	v_or_b32_e32 v6, v7, v6
	global_store_dword v[4:5], v6, off
	s_mov_b64 s[4:5], 0
	s_mov_b64 s[8:9], -1
.LBB8_1701:
	s_and_b64 vcc, exec, s[10:11]
	s_cbranch_vccz .LBB8_1706
; %bb.1702:
	s_cmp_eq_u32 s15, 44
	s_mov_b64 s[4:5], -1
	s_cbranch_scc0 .LBB8_1706
; %bb.1703:
	v_cvt_f32_f64_e32 v6, v[50:51]
	s_movk_i32 s4, 0xff
	v_mov_b32_e32 v8, 0xff
	v_bfe_u32 v7, v6, 23, 8
	v_cmp_ne_u32_e32 vcc, s4, v7
	s_and_saveexec_b64 s[8:9], vcc
; %bb.1704:
	s_mov_b32 s4, 0x3fffff
	v_lshrrev_b32_e32 v8, 23, v6
	v_and_b32_e32 v9, 0x400000, v6
	v_and_or_b32 v6, v6, s4, v7
	v_cmp_ne_u32_e32 vcc, 0, v9
	v_cmp_ne_u32_e64 s[4:5], 0, v6
	s_and_b64 s[4:5], vcc, s[4:5]
	v_cndmask_b32_e64 v6, 0, 1, s[4:5]
	v_add_u32_e32 v8, v8, v6
; %bb.1705:
	s_or_b64 exec, exec, s[8:9]
	s_mov_b64 s[4:5], 0
	s_mov_b64 s[8:9], -1
	global_store_byte v[4:5], v8, off
.LBB8_1706:
	s_mov_b64 s[10:11], 0
.LBB8_1707:
	s_and_b64 vcc, exec, s[10:11]
	s_cbranch_vccz .LBB8_1710
; %bb.1708:
	s_cmp_eq_u32 s15, 29
	s_mov_b64 s[4:5], -1
	s_cbranch_scc0 .LBB8_1710
; %bb.1709:
	v_trunc_f64_e32 v[6:7], v[50:51]
	s_movk_i32 s4, 0xffe0
	s_mov_b64 s[8:9], -1
	v_ldexp_f64 v[8:9], v[6:7], s4
	s_mov_b32 s4, 0
	s_mov_b32 s5, 0xc1f00000
	v_floor_f64_e32 v[8:9], v[8:9]
	v_fma_f64 v[6:7], v[8:9], s[4:5], v[6:7]
	v_cvt_u32_f64_e32 v8, v[8:9]
	s_mov_b64 s[4:5], 0
	v_cvt_u32_f64_e32 v7, v[6:7]
	global_store_dwordx2 v[4:5], v[7:8], off
.LBB8_1710:
	s_mov_b64 s[10:11], 0
.LBB8_1711:
	s_and_b64 vcc, exec, s[10:11]
	s_cbranch_vccz .LBB8_1727
; %bb.1712:
	s_cmp_lt_i32 s15, 27
	s_mov_b64 s[8:9], -1
	s_cbranch_scc1 .LBB8_1718
; %bb.1713:
	v_cvt_u32_f64_e32 v6, v[50:51]
	s_cmp_gt_i32 s15, 27
	s_cbranch_scc0 .LBB8_1715
; %bb.1714:
	s_mov_b64 s[8:9], 0
	global_store_dword v[4:5], v6, off
.LBB8_1715:
	s_andn2_b64 vcc, exec, s[8:9]
	s_cbranch_vccnz .LBB8_1717
; %bb.1716:
	global_store_short v[4:5], v6, off
.LBB8_1717:
	s_mov_b64 s[8:9], 0
.LBB8_1718:
	s_andn2_b64 vcc, exec, s[8:9]
	s_cbranch_vccnz .LBB8_1726
; %bb.1719:
	v_cvt_f32_f64_e32 v6, v[50:51]
	s_mov_b32 s8, 0x43800000
	v_mov_b32_e32 v8, 0x80
	v_and_b32_e32 v7, 0x7fffffff, v6
	v_cmp_gt_u32_e32 vcc, s8, v7
	s_and_saveexec_b64 s[8:9], vcc
	s_cbranch_execz .LBB8_1725
; %bb.1720:
	s_mov_b32 s10, 0x3bffffff
	v_cmp_lt_u32_e32 vcc, s10, v7
	s_mov_b64 s[10:11], 0
                                        ; implicit-def: $vgpr7
	s_and_saveexec_b64 s[12:13], vcc
	s_xor_b64 s[12:13], exec, s[12:13]
	s_cbranch_execz .LBB8_2173
; %bb.1721:
	v_bfe_u32 v7, v6, 20, 1
	s_mov_b32 s16, 0x487ffff
	v_add3_u32 v7, v6, v7, s16
	s_mov_b64 s[10:11], exec
	v_lshrrev_b32_e32 v7, 20, v7
	s_andn2_saveexec_b64 s[12:13], s[12:13]
	s_cbranch_execnz .LBB8_2174
.LBB8_1722:
	s_or_b64 exec, exec, s[12:13]
	v_mov_b32_e32 v8, 0
	s_and_saveexec_b64 s[12:13], s[10:11]
.LBB8_1723:
	v_lshrrev_b32_e32 v6, 24, v6
	s_movk_i32 s10, 0x80
	v_and_or_b32 v8, v6, s10, v7
.LBB8_1724:
	s_or_b64 exec, exec, s[12:13]
.LBB8_1725:
	s_or_b64 exec, exec, s[8:9]
	global_store_byte v[4:5], v8, off
.LBB8_1726:
	s_mov_b64 s[8:9], -1
.LBB8_1727:
	s_mov_b64 s[10:11], 0
.LBB8_1728:
	s_and_b64 vcc, exec, s[10:11]
	s_cbranch_vccz .LBB8_1768
; %bb.1729:
	s_cmp_gt_i32 s15, 22
	s_mov_b64 s[6:7], -1
	s_cbranch_scc0 .LBB8_1761
; %bb.1730:
	s_cmp_lt_i32 s15, 24
	s_cbranch_scc1 .LBB8_1750
; %bb.1731:
	s_cmp_gt_i32 s15, 24
	s_cbranch_scc0 .LBB8_1739
; %bb.1732:
	v_cvt_f32_f64_e32 v6, v[50:51]
	s_mov_b32 s6, 0x47800000
	v_mov_b32_e32 v8, 0x80
	v_and_b32_e32 v7, 0x7fffffff, v6
	v_cmp_gt_u32_e32 vcc, s6, v7
	s_and_saveexec_b64 s[6:7], vcc
	s_cbranch_execz .LBB8_1738
; %bb.1733:
	s_mov_b32 s8, 0x37ffffff
	v_cmp_lt_u32_e32 vcc, s8, v7
	s_mov_b64 s[8:9], 0
                                        ; implicit-def: $vgpr7
	s_and_saveexec_b64 s[10:11], vcc
	s_xor_b64 s[10:11], exec, s[10:11]
	s_cbranch_execz .LBB8_2176
; %bb.1734:
	v_bfe_u32 v7, v6, 21, 1
	s_mov_b32 s12, 0x88fffff
	v_add3_u32 v7, v6, v7, s12
	s_mov_b64 s[8:9], exec
	v_lshrrev_b32_e32 v7, 21, v7
	s_andn2_saveexec_b64 s[10:11], s[10:11]
	s_cbranch_execnz .LBB8_2177
.LBB8_1735:
	s_or_b64 exec, exec, s[10:11]
	v_mov_b32_e32 v8, 0
	s_and_saveexec_b64 s[10:11], s[8:9]
.LBB8_1736:
	v_lshrrev_b32_e32 v6, 24, v6
	s_movk_i32 s8, 0x80
	v_and_or_b32 v8, v6, s8, v7
.LBB8_1737:
	s_or_b64 exec, exec, s[10:11]
.LBB8_1738:
	s_or_b64 exec, exec, s[6:7]
	s_mov_b64 s[6:7], 0
	global_store_byte v[4:5], v8, off
.LBB8_1739:
	s_and_b64 vcc, exec, s[6:7]
	s_cbranch_vccz .LBB8_1749
; %bb.1740:
	v_cvt_f32_f64_e32 v6, v[50:51]
	s_mov_b32 s6, 0x43f00000
                                        ; implicit-def: $vgpr7
	v_and_b32_e32 v8, 0x7fffffff, v6
	v_cmp_gt_u32_e32 vcc, s6, v8
	s_and_saveexec_b64 s[6:7], vcc
	s_xor_b64 s[6:7], exec, s[6:7]
	s_cbranch_execz .LBB8_1746
; %bb.1741:
	s_mov_b32 s8, 0x3c7fffff
	v_cmp_lt_u32_e32 vcc, s8, v8
                                        ; implicit-def: $vgpr7
	s_and_saveexec_b64 s[8:9], vcc
	s_xor_b64 s[8:9], exec, s[8:9]
; %bb.1742:
	v_bfe_u32 v7, v6, 20, 1
	s_mov_b32 s10, 0x407ffff
	v_add3_u32 v7, v6, v7, s10
	v_lshrrev_b32_e32 v8, 20, v7
	v_and_b32_e32 v7, 0xff00000, v7
	s_mov_b32 s10, 0x7f00000
	v_mov_b32_e32 v9, 0x7e
	v_cmp_ne_u32_e32 vcc, s10, v7
	v_cndmask_b32_e32 v7, v9, v8, vcc
; %bb.1743:
	s_andn2_saveexec_b64 s[8:9], s[8:9]
; %bb.1744:
	s_mov_b32 s10, 0x46800000
	v_add_f32_e64 v7, |v6|, s10
; %bb.1745:
	s_or_b64 exec, exec, s[8:9]
                                        ; implicit-def: $vgpr8
.LBB8_1746:
	s_andn2_saveexec_b64 s[6:7], s[6:7]
; %bb.1747:
	s_mov_b32 s8, 0x7f800000
	v_mov_b32_e32 v7, 0x7e
	v_mov_b32_e32 v9, 0x7f
	v_cmp_lt_u32_e32 vcc, s8, v8
	v_cndmask_b32_e32 v7, v7, v9, vcc
; %bb.1748:
	s_or_b64 exec, exec, s[6:7]
	v_lshrrev_b32_e32 v6, 24, v6
	s_movk_i32 s6, 0x80
	v_and_or_b32 v6, v6, s6, v7
	global_store_byte v[4:5], v6, off
.LBB8_1749:
	s_mov_b64 s[6:7], 0
.LBB8_1750:
	s_andn2_b64 vcc, exec, s[6:7]
	s_cbranch_vccnz .LBB8_1760
; %bb.1751:
	v_cvt_f32_f64_e32 v6, v[50:51]
	s_mov_b32 s6, 0x47800000
                                        ; implicit-def: $vgpr7
	v_and_b32_e32 v8, 0x7fffffff, v6
	v_cmp_gt_u32_e32 vcc, s6, v8
	s_and_saveexec_b64 s[6:7], vcc
	s_xor_b64 s[6:7], exec, s[6:7]
	s_cbranch_execz .LBB8_1757
; %bb.1752:
	s_mov_b32 s8, 0x387fffff
	v_cmp_lt_u32_e32 vcc, s8, v8
                                        ; implicit-def: $vgpr7
	s_and_saveexec_b64 s[8:9], vcc
	s_xor_b64 s[8:9], exec, s[8:9]
; %bb.1753:
	v_bfe_u32 v7, v6, 21, 1
	s_mov_b32 s10, 0x80fffff
	v_add3_u32 v7, v6, v7, s10
	v_lshrrev_b32_e32 v7, 21, v7
; %bb.1754:
	s_andn2_saveexec_b64 s[8:9], s[8:9]
; %bb.1755:
	s_mov_b32 s10, 0x43000000
	v_add_f32_e64 v7, |v6|, s10
; %bb.1756:
	s_or_b64 exec, exec, s[8:9]
                                        ; implicit-def: $vgpr8
.LBB8_1757:
	s_andn2_saveexec_b64 s[6:7], s[6:7]
; %bb.1758:
	s_mov_b32 s8, 0x7f800000
	v_mov_b32_e32 v7, 0x7c
	v_mov_b32_e32 v9, 0x7f
	v_cmp_lt_u32_e32 vcc, s8, v8
	v_cndmask_b32_e32 v7, v7, v9, vcc
; %bb.1759:
	s_or_b64 exec, exec, s[6:7]
	v_lshrrev_b32_e32 v6, 24, v6
	s_movk_i32 s6, 0x80
	v_and_or_b32 v6, v6, s6, v7
	global_store_byte v[4:5], v6, off
.LBB8_1760:
	s_mov_b64 s[6:7], 0
	s_mov_b64 s[8:9], -1
.LBB8_1761:
	s_andn2_b64 vcc, exec, s[6:7]
	s_mov_b64 s[6:7], 0
	s_cbranch_vccnz .LBB8_1768
; %bb.1762:
	s_cmp_gt_i32 s15, 14
	s_mov_b64 s[10:11], -1
	s_cbranch_scc0 .LBB8_1766
; %bb.1763:
	s_cmp_eq_u32 s15, 15
	s_mov_b64 s[4:5], -1
	s_cbranch_scc0 .LBB8_1765
; %bb.1764:
	v_cvt_f32_f64_e32 v6, v[50:51]
	s_movk_i32 s4, 0x7fff
	v_mov_b32_e32 v7, 0x7fc0
	s_mov_b64 s[8:9], -1
	v_bfe_u32 v8, v6, 16, 1
	v_cmp_o_f32_e32 vcc, v6, v6
	v_add3_u32 v6, v6, v8, s4
	v_cndmask_b32_sdwa v6, v7, v6, vcc dst_sel:DWORD dst_unused:UNUSED_PAD src0_sel:DWORD src1_sel:WORD_1
	global_store_short v[4:5], v6, off
	s_mov_b64 s[4:5], 0
.LBB8_1765:
	s_mov_b64 s[10:11], 0
.LBB8_1766:
	s_and_b64 vcc, exec, s[10:11]
	s_cbranch_vccz .LBB8_1768
; %bb.1767:
	s_cmp_lg_u32 s15, 11
	s_mov_b64 s[6:7], -1
	s_cselect_b64 s[4:5], -1, 0
.LBB8_1768:
	s_and_b64 vcc, exec, s[4:5]
	s_cbranch_vccnz .LBB8_2175
; %bb.1769:
	s_andn2_b64 vcc, exec, s[6:7]
	s_cbranch_vccnz .LBB8_1771
.LBB8_1770:
	v_cmp_neq_f64_e32 vcc, 0, v[50:51]
	v_cmp_neq_f64_e64 s[4:5], 0, v[52:53]
	s_mov_b64 s[8:9], -1
	s_or_b64 s[4:5], vcc, s[4:5]
	v_cndmask_b32_e64 v6, 0, 1, s[4:5]
	global_store_byte v[4:5], v6, off
.LBB8_1771:
	s_mov_b64 s[4:5], 0
	s_branch .LBB8_1773
.LBB8_1772:
	s_mov_b64 s[4:5], -1
	s_mov_b64 s[8:9], 0
.LBB8_1773:
	s_and_b64 vcc, exec, s[4:5]
	s_cbranch_vccz .LBB8_1812
; %bb.1774:
	s_and_b32 s6, 0xffff, s14
	s_cmp_lt_i32 s6, 5
	s_mov_b64 s[4:5], -1
	s_cbranch_scc1 .LBB8_1795
; %bb.1775:
	s_cmp_lt_i32 s6, 8
	s_cbranch_scc1 .LBB8_1785
; %bb.1776:
	s_cmp_lt_i32 s6, 9
	s_cbranch_scc1 .LBB8_1782
; %bb.1777:
	s_cmp_gt_i32 s6, 9
	s_cbranch_scc0 .LBB8_1779
; %bb.1778:
	global_store_dwordx4 v[4:5], v[50:53], off
	s_mov_b64 s[4:5], 0
.LBB8_1779:
	s_andn2_b64 vcc, exec, s[4:5]
	s_cbranch_vccnz .LBB8_1781
; %bb.1780:
	v_cvt_f32_f64_e32 v6, v[50:51]
	v_cvt_f32_f64_e32 v7, v[52:53]
	global_store_dwordx2 v[4:5], v[6:7], off
.LBB8_1781:
	s_mov_b64 s[4:5], 0
.LBB8_1782:
	s_andn2_b64 vcc, exec, s[4:5]
	s_cbranch_vccnz .LBB8_1784
; %bb.1783:
	s_movk_i32 s4, 0x1ff
	v_and_or_b32 v6, v51, s4, v50
	v_cmp_ne_u32_e32 vcc, 0, v6
	v_cndmask_b32_e64 v6, 0, 1, vcc
	v_lshrrev_b32_e32 v7, 8, v51
	s_movk_i32 s5, 0xffe
	v_bfe_u32 v8, v51, 20, 11
	v_and_or_b32 v6, v7, s5, v6
	v_sub_u32_e32 v9, 0x3f1, v8
	v_or_b32_e32 v7, 0x1000, v6
	v_med3_i32 v9, v9, 0, 13
	v_lshrrev_b32_e32 v10, v9, v7
	v_lshlrev_b32_e32 v9, v9, v10
	v_cmp_ne_u32_e32 vcc, v9, v7
	v_cndmask_b32_e64 v7, 0, 1, vcc
	v_add_u32_e32 v8, 0xfffffc10, v8
	v_or_b32_e32 v7, v10, v7
	v_lshl_or_b32 v9, v8, 12, v6
	v_cmp_gt_i32_e32 vcc, 1, v8
	v_cndmask_b32_e32 v7, v9, v7, vcc
	v_and_b32_e32 v9, 7, v7
	v_cmp_lt_i32_e32 vcc, 5, v9
	v_cndmask_b32_e64 v10, 0, 1, vcc
	v_cmp_eq_u32_e32 vcc, 3, v9
	v_cndmask_b32_e64 v9, 0, 1, vcc
	v_or_b32_e32 v9, v9, v10
	v_lshrrev_b32_e32 v7, 2, v7
	v_add_u32_e32 v7, v7, v9
	v_mov_b32_e32 v9, 0x7c00
	v_cmp_gt_i32_e32 vcc, 31, v8
	v_cndmask_b32_e32 v7, v9, v7, vcc
	v_mov_b32_e32 v10, 0x7e00
	v_cmp_ne_u32_e32 vcc, 0, v6
	s_movk_i32 s7, 0x40f
	v_cndmask_b32_e32 v6, v9, v10, vcc
	v_cmp_eq_u32_e32 vcc, s7, v8
	v_cndmask_b32_e32 v6, v7, v6, vcc
	v_lshrrev_b32_e32 v7, 16, v51
	s_mov_b32 s8, 0x8000
	v_and_or_b32 v6, v7, s8, v6
	v_and_or_b32 v7, v53, s4, v52
	v_cmp_ne_u32_e32 vcc, 0, v7
	v_cndmask_b32_e64 v7, 0, 1, vcc
	v_lshrrev_b32_e32 v8, 8, v53
	v_bfe_u32 v11, v53, 20, 11
	v_and_or_b32 v7, v8, s5, v7
	v_sub_u32_e32 v12, 0x3f1, v11
	v_or_b32_e32 v8, 0x1000, v7
	v_med3_i32 v12, v12, 0, 13
	v_lshrrev_b32_e32 v13, v12, v8
	v_lshlrev_b32_e32 v12, v12, v13
	v_cmp_ne_u32_e32 vcc, v12, v8
	v_cndmask_b32_e64 v8, 0, 1, vcc
	v_add_u32_e32 v11, 0xfffffc10, v11
	v_or_b32_e32 v8, v13, v8
	v_lshl_or_b32 v12, v11, 12, v7
	v_cmp_gt_i32_e32 vcc, 1, v11
	v_cndmask_b32_e32 v8, v12, v8, vcc
	v_and_b32_e32 v12, 7, v8
	v_cmp_lt_i32_e32 vcc, 5, v12
	v_cndmask_b32_e64 v13, 0, 1, vcc
	v_cmp_eq_u32_e32 vcc, 3, v12
	v_cndmask_b32_e64 v12, 0, 1, vcc
	v_or_b32_e32 v12, v12, v13
	v_lshrrev_b32_e32 v8, 2, v8
	v_add_u32_e32 v8, v8, v12
	v_cmp_gt_i32_e32 vcc, 31, v11
	v_cndmask_b32_e32 v8, v9, v8, vcc
	v_cmp_ne_u32_e32 vcc, 0, v7
	v_cndmask_b32_e32 v7, v9, v10, vcc
	v_cmp_eq_u32_e32 vcc, s7, v11
	v_cndmask_b32_e32 v7, v8, v7, vcc
	v_lshrrev_b32_e32 v8, 16, v53
	v_and_or_b32 v7, v8, s8, v7
	v_and_b32_e32 v6, 0xffff, v6
	v_lshl_or_b32 v6, v7, 16, v6
	global_store_dword v[4:5], v6, off
.LBB8_1784:
	s_mov_b64 s[4:5], 0
.LBB8_1785:
	s_andn2_b64 vcc, exec, s[4:5]
	s_cbranch_vccnz .LBB8_1794
; %bb.1786:
	s_cmp_lt_i32 s6, 6
	s_mov_b64 s[4:5], -1
	s_cbranch_scc1 .LBB8_1792
; %bb.1787:
	s_cmp_gt_i32 s6, 6
	s_cbranch_scc0 .LBB8_1789
; %bb.1788:
	global_store_dwordx2 v[4:5], v[50:51], off
	s_mov_b64 s[4:5], 0
.LBB8_1789:
	s_andn2_b64 vcc, exec, s[4:5]
	s_cbranch_vccnz .LBB8_1791
; %bb.1790:
	v_cvt_f32_f64_e32 v6, v[50:51]
	global_store_dword v[4:5], v6, off
.LBB8_1791:
	s_mov_b64 s[4:5], 0
.LBB8_1792:
	s_andn2_b64 vcc, exec, s[4:5]
	s_cbranch_vccnz .LBB8_1794
; %bb.1793:
	s_movk_i32 s4, 0x1ff
	v_and_or_b32 v6, v51, s4, v50
	v_cmp_ne_u32_e32 vcc, 0, v6
	v_cndmask_b32_e64 v6, 0, 1, vcc
	v_lshrrev_b32_e32 v7, 8, v51
	s_movk_i32 s4, 0xffe
	v_bfe_u32 v8, v51, 20, 11
	v_and_or_b32 v6, v7, s4, v6
	v_sub_u32_e32 v9, 0x3f1, v8
	v_or_b32_e32 v7, 0x1000, v6
	v_med3_i32 v9, v9, 0, 13
	v_lshrrev_b32_e32 v10, v9, v7
	v_lshlrev_b32_e32 v9, v9, v10
	v_cmp_ne_u32_e32 vcc, v9, v7
	v_cndmask_b32_e64 v7, 0, 1, vcc
	v_add_u32_e32 v8, 0xfffffc10, v8
	v_or_b32_e32 v7, v10, v7
	v_lshl_or_b32 v9, v8, 12, v6
	v_cmp_gt_i32_e32 vcc, 1, v8
	v_cndmask_b32_e32 v7, v9, v7, vcc
	v_and_b32_e32 v9, 7, v7
	v_cmp_lt_i32_e32 vcc, 5, v9
	v_cndmask_b32_e64 v10, 0, 1, vcc
	v_cmp_eq_u32_e32 vcc, 3, v9
	v_cndmask_b32_e64 v9, 0, 1, vcc
	v_or_b32_e32 v9, v9, v10
	v_lshrrev_b32_e32 v7, 2, v7
	v_add_u32_e32 v7, v7, v9
	v_mov_b32_e32 v9, 0x7c00
	v_cmp_gt_i32_e32 vcc, 31, v8
	v_cndmask_b32_e32 v7, v9, v7, vcc
	v_mov_b32_e32 v10, 0x7e00
	v_cmp_ne_u32_e32 vcc, 0, v6
	s_movk_i32 s4, 0x40f
	v_cndmask_b32_e32 v6, v9, v10, vcc
	v_cmp_eq_u32_e32 vcc, s4, v8
	v_cndmask_b32_e32 v6, v7, v6, vcc
	v_lshrrev_b32_e32 v7, 16, v51
	s_mov_b32 s4, 0x8000
	v_and_or_b32 v6, v7, s4, v6
	global_store_short v[4:5], v6, off
.LBB8_1794:
	s_mov_b64 s[4:5], 0
.LBB8_1795:
	s_andn2_b64 vcc, exec, s[4:5]
	s_cbranch_vccnz .LBB8_1811
; %bb.1796:
	s_cmp_lt_i32 s6, 2
	s_mov_b64 s[4:5], -1
	s_cbranch_scc1 .LBB8_1806
; %bb.1797:
	s_cmp_lt_i32 s6, 3
	s_cbranch_scc1 .LBB8_1803
; %bb.1798:
	s_cmp_gt_i32 s6, 3
	s_cbranch_scc0 .LBB8_1800
; %bb.1799:
	v_trunc_f64_e32 v[6:7], v[50:51]
	s_movk_i32 s4, 0xffe0
	v_ldexp_f64 v[8:9], v[6:7], s4
	s_mov_b32 s4, 0
	s_mov_b32 s5, 0xc1f00000
	v_floor_f64_e32 v[8:9], v[8:9]
	v_fma_f64 v[6:7], v[8:9], s[4:5], v[6:7]
	v_cvt_i32_f64_e32 v8, v[8:9]
	s_mov_b64 s[4:5], 0
	v_cvt_u32_f64_e32 v7, v[6:7]
	global_store_dwordx2 v[4:5], v[7:8], off
.LBB8_1800:
	s_andn2_b64 vcc, exec, s[4:5]
	s_cbranch_vccnz .LBB8_1802
; %bb.1801:
	v_cvt_i32_f64_e32 v6, v[50:51]
	global_store_dword v[4:5], v6, off
.LBB8_1802:
	s_mov_b64 s[4:5], 0
.LBB8_1803:
	s_andn2_b64 vcc, exec, s[4:5]
	s_cbranch_vccnz .LBB8_1805
; %bb.1804:
	v_cvt_i32_f64_e32 v6, v[50:51]
	global_store_short v[4:5], v6, off
.LBB8_1805:
	s_mov_b64 s[4:5], 0
.LBB8_1806:
	s_andn2_b64 vcc, exec, s[4:5]
	s_cbranch_vccnz .LBB8_1811
; %bb.1807:
	s_cmp_gt_i32 s6, 0
	s_mov_b64 s[4:5], -1
	s_cbranch_scc0 .LBB8_1809
; %bb.1808:
	v_cvt_i32_f64_e32 v6, v[50:51]
	s_mov_b64 s[4:5], 0
	global_store_byte v[4:5], v6, off
.LBB8_1809:
	s_andn2_b64 vcc, exec, s[4:5]
	s_cbranch_vccnz .LBB8_1811
; %bb.1810:
	v_trunc_f64_e32 v[6:7], v[50:51]
	s_movk_i32 s4, 0xffe0
	v_ldexp_f64 v[8:9], v[6:7], s4
	s_mov_b32 s4, 0
	s_mov_b32 s5, 0xc1f00000
	v_floor_f64_e32 v[8:9], v[8:9]
	v_fma_f64 v[6:7], v[8:9], s[4:5], v[6:7]
	v_cvt_u32_f64_e32 v6, v[6:7]
	global_store_byte v[4:5], v6, off
.LBB8_1811:
	s_mov_b64 s[8:9], -1
.LBB8_1812:
	s_andn2_b64 vcc, exec, s[8:9]
	s_cbranch_vccnz .LBB8_2127
; %bb.1813:
	s_lshr_b32 s4, s27, 8
	s_and_b32 s14, s4, 0xff
	v_mov_b32_e32 v5, s37
	v_add_co_u32_e32 v4, vcc, s36, v58
	s_cmp_lt_i32 s14, 11
	v_addc_co_u32_e32 v5, vcc, 0, v5, vcc
	s_cbranch_scc1 .LBB8_1891
; %bb.1814:
	s_and_b32 s15, 0xffff, s14
	s_mov_b64 s[10:11], -1
	s_mov_b64 s[6:7], 0
	s_cmp_gt_i32 s15, 25
	s_mov_b64 s[8:9], 0
	s_mov_b64 s[4:5], 0
	s_cbranch_scc0 .LBB8_1847
; %bb.1815:
	s_cmp_gt_i32 s15, 28
	s_cbranch_scc0 .LBB8_1830
; %bb.1816:
	s_cmp_gt_i32 s15, 43
	;; [unrolled: 3-line block ×3, first 2 shown]
	s_cbranch_scc0 .LBB8_1820
; %bb.1818:
	s_mov_b64 s[4:5], -1
	s_mov_b64 s[10:11], 0
	s_cmp_eq_u32 s15, 46
	s_cbranch_scc0 .LBB8_1820
; %bb.1819:
	v_cvt_f32_f64_e32 v7, v[45:46]
	v_cvt_f32_f64_e32 v6, v[43:44]
	s_movk_i32 s4, 0x7fff
	v_mov_b32_e32 v10, 0x7fc00000
	v_bfe_u32 v9, v7, 16, 1
	v_add3_u32 v9, v7, v9, s4
	v_bfe_u32 v8, v6, 16, 1
	v_and_b32_e32 v9, 0xffff0000, v9
	v_cmp_o_f32_e32 vcc, v7, v7
	v_add3_u32 v8, v6, v8, s4
	v_cndmask_b32_e32 v7, v10, v9, vcc
	v_cmp_o_f32_e32 vcc, v6, v6
	v_mov_b32_e32 v6, 0x7fc0
	v_cndmask_b32_sdwa v6, v6, v8, vcc dst_sel:DWORD dst_unused:UNUSED_PAD src0_sel:DWORD src1_sel:WORD_1
	v_or_b32_e32 v6, v7, v6
	global_store_dword v[4:5], v6, off
	s_mov_b64 s[4:5], 0
	s_mov_b64 s[8:9], -1
.LBB8_1820:
	s_and_b64 vcc, exec, s[10:11]
	s_cbranch_vccz .LBB8_1825
; %bb.1821:
	s_cmp_eq_u32 s15, 44
	s_mov_b64 s[4:5], -1
	s_cbranch_scc0 .LBB8_1825
; %bb.1822:
	v_cvt_f32_f64_e32 v6, v[43:44]
	s_movk_i32 s4, 0xff
	v_mov_b32_e32 v8, 0xff
	v_bfe_u32 v7, v6, 23, 8
	v_cmp_ne_u32_e32 vcc, s4, v7
	s_and_saveexec_b64 s[8:9], vcc
; %bb.1823:
	s_mov_b32 s4, 0x3fffff
	v_lshrrev_b32_e32 v8, 23, v6
	v_and_b32_e32 v9, 0x400000, v6
	v_and_or_b32 v6, v6, s4, v7
	v_cmp_ne_u32_e32 vcc, 0, v9
	v_cmp_ne_u32_e64 s[4:5], 0, v6
	s_and_b64 s[4:5], vcc, s[4:5]
	v_cndmask_b32_e64 v6, 0, 1, s[4:5]
	v_add_u32_e32 v8, v8, v6
; %bb.1824:
	s_or_b64 exec, exec, s[8:9]
	s_mov_b64 s[4:5], 0
	s_mov_b64 s[8:9], -1
	global_store_byte v[4:5], v8, off
.LBB8_1825:
	s_mov_b64 s[10:11], 0
.LBB8_1826:
	s_and_b64 vcc, exec, s[10:11]
	s_cbranch_vccz .LBB8_1829
; %bb.1827:
	s_cmp_eq_u32 s15, 29
	s_mov_b64 s[4:5], -1
	s_cbranch_scc0 .LBB8_1829
; %bb.1828:
	v_trunc_f64_e32 v[6:7], v[43:44]
	s_movk_i32 s4, 0xffe0
	s_mov_b64 s[8:9], -1
	v_ldexp_f64 v[8:9], v[6:7], s4
	s_mov_b32 s4, 0
	s_mov_b32 s5, 0xc1f00000
	v_floor_f64_e32 v[8:9], v[8:9]
	v_fma_f64 v[6:7], v[8:9], s[4:5], v[6:7]
	v_cvt_u32_f64_e32 v8, v[8:9]
	s_mov_b64 s[4:5], 0
	v_cvt_u32_f64_e32 v7, v[6:7]
	global_store_dwordx2 v[4:5], v[7:8], off
.LBB8_1829:
	s_mov_b64 s[10:11], 0
.LBB8_1830:
	s_and_b64 vcc, exec, s[10:11]
	s_cbranch_vccz .LBB8_1846
; %bb.1831:
	s_cmp_lt_i32 s15, 27
	s_mov_b64 s[8:9], -1
	s_cbranch_scc1 .LBB8_1837
; %bb.1832:
	s_cmp_gt_i32 s15, 27
	s_cbranch_scc0 .LBB8_1834
; %bb.1833:
	v_cvt_u32_f64_e32 v6, v[43:44]
	s_mov_b64 s[8:9], 0
	global_store_dword v[4:5], v6, off
.LBB8_1834:
	s_andn2_b64 vcc, exec, s[8:9]
	s_cbranch_vccnz .LBB8_1836
; %bb.1835:
	v_cvt_u32_f64_e32 v6, v[43:44]
	global_store_short v[4:5], v6, off
.LBB8_1836:
	s_mov_b64 s[8:9], 0
.LBB8_1837:
	s_andn2_b64 vcc, exec, s[8:9]
	s_cbranch_vccnz .LBB8_1845
; %bb.1838:
	v_cvt_f32_f64_e32 v6, v[43:44]
	s_mov_b32 s8, 0x43800000
	v_mov_b32_e32 v8, 0x80
	v_and_b32_e32 v7, 0x7fffffff, v6
	v_cmp_gt_u32_e32 vcc, s8, v7
	s_and_saveexec_b64 s[8:9], vcc
	s_cbranch_execz .LBB8_1844
; %bb.1839:
	s_mov_b32 s10, 0x3bffffff
	v_cmp_lt_u32_e32 vcc, s10, v7
	s_mov_b64 s[10:11], 0
                                        ; implicit-def: $vgpr7
	s_and_saveexec_b64 s[12:13], vcc
	s_xor_b64 s[12:13], exec, s[12:13]
	s_cbranch_execz .LBB8_2178
; %bb.1840:
	v_bfe_u32 v7, v6, 20, 1
	s_mov_b32 s16, 0x487ffff
	v_add3_u32 v7, v6, v7, s16
	s_mov_b64 s[10:11], exec
	v_lshrrev_b32_e32 v7, 20, v7
	s_andn2_saveexec_b64 s[12:13], s[12:13]
	s_cbranch_execnz .LBB8_2179
.LBB8_1841:
	s_or_b64 exec, exec, s[12:13]
	v_mov_b32_e32 v8, 0
	s_and_saveexec_b64 s[12:13], s[10:11]
.LBB8_1842:
	v_lshrrev_b32_e32 v6, 24, v6
	s_movk_i32 s10, 0x80
	v_and_or_b32 v8, v6, s10, v7
.LBB8_1843:
	s_or_b64 exec, exec, s[12:13]
.LBB8_1844:
	s_or_b64 exec, exec, s[8:9]
	global_store_byte v[4:5], v8, off
.LBB8_1845:
	s_mov_b64 s[8:9], -1
.LBB8_1846:
	s_mov_b64 s[10:11], 0
.LBB8_1847:
	s_and_b64 vcc, exec, s[10:11]
	s_cbranch_vccz .LBB8_1887
; %bb.1848:
	s_cmp_gt_i32 s15, 22
	s_mov_b64 s[6:7], -1
	s_cbranch_scc0 .LBB8_1880
; %bb.1849:
	s_cmp_lt_i32 s15, 24
	s_cbranch_scc1 .LBB8_1869
; %bb.1850:
	s_cmp_gt_i32 s15, 24
	s_cbranch_scc0 .LBB8_1858
; %bb.1851:
	v_cvt_f32_f64_e32 v6, v[43:44]
	s_mov_b32 s6, 0x47800000
	v_mov_b32_e32 v8, 0x80
	v_and_b32_e32 v7, 0x7fffffff, v6
	v_cmp_gt_u32_e32 vcc, s6, v7
	s_and_saveexec_b64 s[6:7], vcc
	s_cbranch_execz .LBB8_1857
; %bb.1852:
	s_mov_b32 s8, 0x37ffffff
	v_cmp_lt_u32_e32 vcc, s8, v7
	s_mov_b64 s[8:9], 0
                                        ; implicit-def: $vgpr7
	s_and_saveexec_b64 s[10:11], vcc
	s_xor_b64 s[10:11], exec, s[10:11]
	s_cbranch_execz .LBB8_2181
; %bb.1853:
	v_bfe_u32 v7, v6, 21, 1
	s_mov_b32 s12, 0x88fffff
	v_add3_u32 v7, v6, v7, s12
	s_mov_b64 s[8:9], exec
	v_lshrrev_b32_e32 v7, 21, v7
	s_andn2_saveexec_b64 s[10:11], s[10:11]
	s_cbranch_execnz .LBB8_2182
.LBB8_1854:
	s_or_b64 exec, exec, s[10:11]
	v_mov_b32_e32 v8, 0
	s_and_saveexec_b64 s[10:11], s[8:9]
.LBB8_1855:
	v_lshrrev_b32_e32 v6, 24, v6
	s_movk_i32 s8, 0x80
	v_and_or_b32 v8, v6, s8, v7
.LBB8_1856:
	s_or_b64 exec, exec, s[10:11]
.LBB8_1857:
	s_or_b64 exec, exec, s[6:7]
	s_mov_b64 s[6:7], 0
	global_store_byte v[4:5], v8, off
.LBB8_1858:
	s_and_b64 vcc, exec, s[6:7]
	s_cbranch_vccz .LBB8_1868
; %bb.1859:
	v_cvt_f32_f64_e32 v6, v[43:44]
	s_mov_b32 s6, 0x43f00000
                                        ; implicit-def: $vgpr7
	v_and_b32_e32 v8, 0x7fffffff, v6
	v_cmp_gt_u32_e32 vcc, s6, v8
	s_and_saveexec_b64 s[6:7], vcc
	s_xor_b64 s[6:7], exec, s[6:7]
	s_cbranch_execz .LBB8_1865
; %bb.1860:
	s_mov_b32 s8, 0x3c7fffff
	v_cmp_lt_u32_e32 vcc, s8, v8
                                        ; implicit-def: $vgpr7
	s_and_saveexec_b64 s[8:9], vcc
	s_xor_b64 s[8:9], exec, s[8:9]
; %bb.1861:
	v_bfe_u32 v7, v6, 20, 1
	s_mov_b32 s10, 0x407ffff
	v_add3_u32 v7, v6, v7, s10
	v_lshrrev_b32_e32 v8, 20, v7
	v_and_b32_e32 v7, 0xff00000, v7
	s_mov_b32 s10, 0x7f00000
	v_mov_b32_e32 v9, 0x7e
	v_cmp_ne_u32_e32 vcc, s10, v7
	v_cndmask_b32_e32 v7, v9, v8, vcc
; %bb.1862:
	s_andn2_saveexec_b64 s[8:9], s[8:9]
; %bb.1863:
	s_mov_b32 s10, 0x46800000
	v_add_f32_e64 v7, |v6|, s10
; %bb.1864:
	s_or_b64 exec, exec, s[8:9]
                                        ; implicit-def: $vgpr8
.LBB8_1865:
	s_andn2_saveexec_b64 s[6:7], s[6:7]
; %bb.1866:
	s_mov_b32 s8, 0x7f800000
	v_mov_b32_e32 v7, 0x7e
	v_mov_b32_e32 v9, 0x7f
	v_cmp_lt_u32_e32 vcc, s8, v8
	v_cndmask_b32_e32 v7, v7, v9, vcc
; %bb.1867:
	s_or_b64 exec, exec, s[6:7]
	v_lshrrev_b32_e32 v6, 24, v6
	s_movk_i32 s6, 0x80
	v_and_or_b32 v6, v6, s6, v7
	global_store_byte v[4:5], v6, off
.LBB8_1868:
	s_mov_b64 s[6:7], 0
.LBB8_1869:
	s_andn2_b64 vcc, exec, s[6:7]
	s_cbranch_vccnz .LBB8_1879
; %bb.1870:
	v_cvt_f32_f64_e32 v6, v[43:44]
	s_mov_b32 s6, 0x47800000
                                        ; implicit-def: $vgpr7
	v_and_b32_e32 v8, 0x7fffffff, v6
	v_cmp_gt_u32_e32 vcc, s6, v8
	s_and_saveexec_b64 s[6:7], vcc
	s_xor_b64 s[6:7], exec, s[6:7]
	s_cbranch_execz .LBB8_1876
; %bb.1871:
	s_mov_b32 s8, 0x387fffff
	v_cmp_lt_u32_e32 vcc, s8, v8
                                        ; implicit-def: $vgpr7
	s_and_saveexec_b64 s[8:9], vcc
	s_xor_b64 s[8:9], exec, s[8:9]
; %bb.1872:
	v_bfe_u32 v7, v6, 21, 1
	s_mov_b32 s10, 0x80fffff
	v_add3_u32 v7, v6, v7, s10
	v_lshrrev_b32_e32 v7, 21, v7
; %bb.1873:
	s_andn2_saveexec_b64 s[8:9], s[8:9]
; %bb.1874:
	s_mov_b32 s10, 0x43000000
	v_add_f32_e64 v7, |v6|, s10
; %bb.1875:
	s_or_b64 exec, exec, s[8:9]
                                        ; implicit-def: $vgpr8
.LBB8_1876:
	s_andn2_saveexec_b64 s[6:7], s[6:7]
; %bb.1877:
	s_mov_b32 s8, 0x7f800000
	v_mov_b32_e32 v7, 0x7c
	v_mov_b32_e32 v9, 0x7f
	v_cmp_lt_u32_e32 vcc, s8, v8
	v_cndmask_b32_e32 v7, v7, v9, vcc
; %bb.1878:
	s_or_b64 exec, exec, s[6:7]
	v_lshrrev_b32_e32 v6, 24, v6
	s_movk_i32 s6, 0x80
	v_and_or_b32 v6, v6, s6, v7
	global_store_byte v[4:5], v6, off
.LBB8_1879:
	s_mov_b64 s[6:7], 0
	s_mov_b64 s[8:9], -1
.LBB8_1880:
	s_andn2_b64 vcc, exec, s[6:7]
	s_mov_b64 s[6:7], 0
	s_cbranch_vccnz .LBB8_1887
; %bb.1881:
	s_cmp_gt_i32 s15, 14
	s_mov_b64 s[10:11], -1
	s_cbranch_scc0 .LBB8_1885
; %bb.1882:
	s_cmp_eq_u32 s15, 15
	s_mov_b64 s[4:5], -1
	s_cbranch_scc0 .LBB8_1884
; %bb.1883:
	v_cvt_f32_f64_e32 v6, v[43:44]
	s_movk_i32 s4, 0x7fff
	v_mov_b32_e32 v7, 0x7fc0
	s_mov_b64 s[8:9], -1
	v_bfe_u32 v8, v6, 16, 1
	v_cmp_o_f32_e32 vcc, v6, v6
	v_add3_u32 v6, v6, v8, s4
	v_cndmask_b32_sdwa v6, v7, v6, vcc dst_sel:DWORD dst_unused:UNUSED_PAD src0_sel:DWORD src1_sel:WORD_1
	global_store_short v[4:5], v6, off
	s_mov_b64 s[4:5], 0
.LBB8_1884:
	s_mov_b64 s[10:11], 0
.LBB8_1885:
	s_and_b64 vcc, exec, s[10:11]
	s_cbranch_vccz .LBB8_1887
; %bb.1886:
	s_cmp_lg_u32 s15, 11
	s_mov_b64 s[6:7], -1
	s_cselect_b64 s[4:5], -1, 0
.LBB8_1887:
	s_and_b64 vcc, exec, s[4:5]
	s_cbranch_vccnz .LBB8_2180
; %bb.1888:
	s_andn2_b64 vcc, exec, s[6:7]
	s_cbranch_vccnz .LBB8_1890
.LBB8_1889:
	v_cmp_neq_f64_e32 vcc, 0, v[43:44]
	v_cmp_neq_f64_e64 s[4:5], 0, v[45:46]
	s_mov_b64 s[8:9], -1
	s_or_b64 s[4:5], vcc, s[4:5]
	v_cndmask_b32_e64 v6, 0, 1, s[4:5]
	global_store_byte v[4:5], v6, off
.LBB8_1890:
	s_mov_b64 s[4:5], 0
	s_branch .LBB8_1892
.LBB8_1891:
	s_mov_b64 s[4:5], -1
	s_mov_b64 s[8:9], 0
.LBB8_1892:
	s_and_b64 vcc, exec, s[4:5]
	s_cbranch_vccz .LBB8_1931
; %bb.1893:
	s_and_b32 s6, 0xffff, s14
	s_cmp_lt_i32 s6, 5
	s_mov_b64 s[4:5], -1
	s_cbranch_scc1 .LBB8_1914
; %bb.1894:
	s_cmp_lt_i32 s6, 8
	s_cbranch_scc1 .LBB8_1904
; %bb.1895:
	s_cmp_lt_i32 s6, 9
	s_cbranch_scc1 .LBB8_1901
; %bb.1896:
	s_cmp_gt_i32 s6, 9
	s_cbranch_scc0 .LBB8_1898
; %bb.1897:
	global_store_dwordx4 v[4:5], v[43:46], off
	s_mov_b64 s[4:5], 0
.LBB8_1898:
	s_andn2_b64 vcc, exec, s[4:5]
	s_cbranch_vccnz .LBB8_1900
; %bb.1899:
	v_cvt_f32_f64_e32 v6, v[43:44]
	v_cvt_f32_f64_e32 v7, v[45:46]
	global_store_dwordx2 v[4:5], v[6:7], off
.LBB8_1900:
	s_mov_b64 s[4:5], 0
.LBB8_1901:
	s_andn2_b64 vcc, exec, s[4:5]
	s_cbranch_vccnz .LBB8_1903
; %bb.1902:
	s_movk_i32 s4, 0x1ff
	v_and_or_b32 v6, v44, s4, v43
	v_cmp_ne_u32_e32 vcc, 0, v6
	v_cndmask_b32_e64 v6, 0, 1, vcc
	v_lshrrev_b32_e32 v7, 8, v44
	s_movk_i32 s5, 0xffe
	v_bfe_u32 v8, v44, 20, 11
	v_and_or_b32 v6, v7, s5, v6
	v_sub_u32_e32 v9, 0x3f1, v8
	v_or_b32_e32 v7, 0x1000, v6
	v_med3_i32 v9, v9, 0, 13
	v_lshrrev_b32_e32 v10, v9, v7
	v_lshlrev_b32_e32 v9, v9, v10
	v_cmp_ne_u32_e32 vcc, v9, v7
	v_cndmask_b32_e64 v7, 0, 1, vcc
	v_add_u32_e32 v8, 0xfffffc10, v8
	v_or_b32_e32 v7, v10, v7
	v_lshl_or_b32 v9, v8, 12, v6
	v_cmp_gt_i32_e32 vcc, 1, v8
	v_cndmask_b32_e32 v7, v9, v7, vcc
	v_and_b32_e32 v9, 7, v7
	v_cmp_lt_i32_e32 vcc, 5, v9
	v_cndmask_b32_e64 v10, 0, 1, vcc
	v_cmp_eq_u32_e32 vcc, 3, v9
	v_cndmask_b32_e64 v9, 0, 1, vcc
	v_or_b32_e32 v9, v9, v10
	v_lshrrev_b32_e32 v7, 2, v7
	v_add_u32_e32 v7, v7, v9
	v_mov_b32_e32 v9, 0x7c00
	v_cmp_gt_i32_e32 vcc, 31, v8
	v_cndmask_b32_e32 v7, v9, v7, vcc
	v_mov_b32_e32 v10, 0x7e00
	v_cmp_ne_u32_e32 vcc, 0, v6
	s_movk_i32 s7, 0x40f
	v_cndmask_b32_e32 v6, v9, v10, vcc
	v_cmp_eq_u32_e32 vcc, s7, v8
	v_cndmask_b32_e32 v6, v7, v6, vcc
	v_lshrrev_b32_e32 v7, 16, v44
	s_mov_b32 s8, 0x8000
	v_and_or_b32 v6, v7, s8, v6
	v_and_or_b32 v7, v46, s4, v45
	v_cmp_ne_u32_e32 vcc, 0, v7
	v_cndmask_b32_e64 v7, 0, 1, vcc
	v_lshrrev_b32_e32 v8, 8, v46
	v_bfe_u32 v11, v46, 20, 11
	v_and_or_b32 v7, v8, s5, v7
	v_sub_u32_e32 v12, 0x3f1, v11
	v_or_b32_e32 v8, 0x1000, v7
	v_med3_i32 v12, v12, 0, 13
	v_lshrrev_b32_e32 v13, v12, v8
	v_lshlrev_b32_e32 v12, v12, v13
	v_cmp_ne_u32_e32 vcc, v12, v8
	v_cndmask_b32_e64 v8, 0, 1, vcc
	v_add_u32_e32 v11, 0xfffffc10, v11
	v_or_b32_e32 v8, v13, v8
	v_lshl_or_b32 v12, v11, 12, v7
	v_cmp_gt_i32_e32 vcc, 1, v11
	v_cndmask_b32_e32 v8, v12, v8, vcc
	v_and_b32_e32 v12, 7, v8
	v_cmp_lt_i32_e32 vcc, 5, v12
	v_cndmask_b32_e64 v13, 0, 1, vcc
	v_cmp_eq_u32_e32 vcc, 3, v12
	v_cndmask_b32_e64 v12, 0, 1, vcc
	v_or_b32_e32 v12, v12, v13
	v_lshrrev_b32_e32 v8, 2, v8
	v_add_u32_e32 v8, v8, v12
	v_cmp_gt_i32_e32 vcc, 31, v11
	v_cndmask_b32_e32 v8, v9, v8, vcc
	v_cmp_ne_u32_e32 vcc, 0, v7
	v_cndmask_b32_e32 v7, v9, v10, vcc
	v_cmp_eq_u32_e32 vcc, s7, v11
	v_cndmask_b32_e32 v7, v8, v7, vcc
	v_lshrrev_b32_e32 v8, 16, v46
	v_and_or_b32 v7, v8, s8, v7
	v_and_b32_e32 v6, 0xffff, v6
	v_lshl_or_b32 v6, v7, 16, v6
	global_store_dword v[4:5], v6, off
.LBB8_1903:
	s_mov_b64 s[4:5], 0
.LBB8_1904:
	s_andn2_b64 vcc, exec, s[4:5]
	s_cbranch_vccnz .LBB8_1913
; %bb.1905:
	s_cmp_lt_i32 s6, 6
	s_mov_b64 s[4:5], -1
	s_cbranch_scc1 .LBB8_1911
; %bb.1906:
	s_cmp_gt_i32 s6, 6
	s_cbranch_scc0 .LBB8_1908
; %bb.1907:
	global_store_dwordx2 v[4:5], v[43:44], off
	s_mov_b64 s[4:5], 0
.LBB8_1908:
	s_andn2_b64 vcc, exec, s[4:5]
	s_cbranch_vccnz .LBB8_1910
; %bb.1909:
	v_cvt_f32_f64_e32 v6, v[43:44]
	global_store_dword v[4:5], v6, off
.LBB8_1910:
	s_mov_b64 s[4:5], 0
.LBB8_1911:
	s_andn2_b64 vcc, exec, s[4:5]
	s_cbranch_vccnz .LBB8_1913
; %bb.1912:
	s_movk_i32 s4, 0x1ff
	v_and_or_b32 v6, v44, s4, v43
	v_cmp_ne_u32_e32 vcc, 0, v6
	v_cndmask_b32_e64 v6, 0, 1, vcc
	v_lshrrev_b32_e32 v7, 8, v44
	s_movk_i32 s4, 0xffe
	v_bfe_u32 v8, v44, 20, 11
	v_and_or_b32 v6, v7, s4, v6
	v_sub_u32_e32 v9, 0x3f1, v8
	v_or_b32_e32 v7, 0x1000, v6
	v_med3_i32 v9, v9, 0, 13
	v_lshrrev_b32_e32 v10, v9, v7
	v_lshlrev_b32_e32 v9, v9, v10
	v_cmp_ne_u32_e32 vcc, v9, v7
	v_cndmask_b32_e64 v7, 0, 1, vcc
	v_add_u32_e32 v8, 0xfffffc10, v8
	v_or_b32_e32 v7, v10, v7
	v_lshl_or_b32 v9, v8, 12, v6
	v_cmp_gt_i32_e32 vcc, 1, v8
	v_cndmask_b32_e32 v7, v9, v7, vcc
	v_and_b32_e32 v9, 7, v7
	v_cmp_lt_i32_e32 vcc, 5, v9
	v_cndmask_b32_e64 v10, 0, 1, vcc
	v_cmp_eq_u32_e32 vcc, 3, v9
	v_cndmask_b32_e64 v9, 0, 1, vcc
	v_or_b32_e32 v9, v9, v10
	v_lshrrev_b32_e32 v7, 2, v7
	v_add_u32_e32 v7, v7, v9
	v_mov_b32_e32 v9, 0x7c00
	v_cmp_gt_i32_e32 vcc, 31, v8
	v_cndmask_b32_e32 v7, v9, v7, vcc
	v_mov_b32_e32 v10, 0x7e00
	v_cmp_ne_u32_e32 vcc, 0, v6
	s_movk_i32 s4, 0x40f
	v_cndmask_b32_e32 v6, v9, v10, vcc
	v_cmp_eq_u32_e32 vcc, s4, v8
	v_cndmask_b32_e32 v6, v7, v6, vcc
	v_lshrrev_b32_e32 v7, 16, v44
	s_mov_b32 s4, 0x8000
	v_and_or_b32 v6, v7, s4, v6
	global_store_short v[4:5], v6, off
.LBB8_1913:
	s_mov_b64 s[4:5], 0
.LBB8_1914:
	s_andn2_b64 vcc, exec, s[4:5]
	s_cbranch_vccnz .LBB8_1930
; %bb.1915:
	s_cmp_lt_i32 s6, 2
	s_mov_b64 s[4:5], -1
	s_cbranch_scc1 .LBB8_1925
; %bb.1916:
	s_cmp_lt_i32 s6, 3
	s_cbranch_scc1 .LBB8_1922
; %bb.1917:
	s_cmp_gt_i32 s6, 3
	s_cbranch_scc0 .LBB8_1919
; %bb.1918:
	v_trunc_f64_e32 v[6:7], v[43:44]
	s_movk_i32 s4, 0xffe0
	v_ldexp_f64 v[8:9], v[6:7], s4
	s_mov_b32 s4, 0
	s_mov_b32 s5, 0xc1f00000
	v_floor_f64_e32 v[8:9], v[8:9]
	v_fma_f64 v[6:7], v[8:9], s[4:5], v[6:7]
	v_cvt_i32_f64_e32 v8, v[8:9]
	s_mov_b64 s[4:5], 0
	v_cvt_u32_f64_e32 v7, v[6:7]
	global_store_dwordx2 v[4:5], v[7:8], off
.LBB8_1919:
	s_andn2_b64 vcc, exec, s[4:5]
	s_cbranch_vccnz .LBB8_1921
; %bb.1920:
	v_cvt_i32_f64_e32 v6, v[43:44]
	global_store_dword v[4:5], v6, off
.LBB8_1921:
	s_mov_b64 s[4:5], 0
.LBB8_1922:
	s_andn2_b64 vcc, exec, s[4:5]
	s_cbranch_vccnz .LBB8_1924
; %bb.1923:
	v_cvt_i32_f64_e32 v6, v[43:44]
	global_store_short v[4:5], v6, off
.LBB8_1924:
	s_mov_b64 s[4:5], 0
.LBB8_1925:
	s_andn2_b64 vcc, exec, s[4:5]
	s_cbranch_vccnz .LBB8_1930
; %bb.1926:
	s_cmp_gt_i32 s6, 0
	s_mov_b64 s[4:5], -1
	s_cbranch_scc0 .LBB8_1928
; %bb.1927:
	v_cvt_i32_f64_e32 v6, v[43:44]
	s_mov_b64 s[4:5], 0
	global_store_byte v[4:5], v6, off
.LBB8_1928:
	s_andn2_b64 vcc, exec, s[4:5]
	s_cbranch_vccnz .LBB8_1930
; %bb.1929:
	v_trunc_f64_e32 v[6:7], v[43:44]
	s_movk_i32 s4, 0xffe0
	v_ldexp_f64 v[8:9], v[6:7], s4
	s_mov_b32 s4, 0
	s_mov_b32 s5, 0xc1f00000
	v_floor_f64_e32 v[8:9], v[8:9]
	v_fma_f64 v[6:7], v[8:9], s[4:5], v[6:7]
	v_cvt_u32_f64_e32 v6, v[6:7]
	global_store_byte v[4:5], v6, off
.LBB8_1930:
	s_mov_b64 s[8:9], -1
.LBB8_1931:
	s_andn2_b64 vcc, exec, s[8:9]
	s_cbranch_vccnz .LBB8_2127
; %bb.1932:
	v_mov_b32_e32 v5, s37
	v_add_co_u32_e32 v4, vcc, s36, v56
	s_cmp_lt_i32 s14, 11
	v_addc_co_u32_e32 v5, vcc, 0, v5, vcc
	s_cbranch_scc1 .LBB8_2010
; %bb.1933:
	s_and_b32 s15, 0xffff, s14
	s_mov_b64 s[10:11], -1
	s_mov_b64 s[6:7], 0
	s_cmp_gt_i32 s15, 25
	s_mov_b64 s[8:9], 0
	s_mov_b64 s[4:5], 0
	s_cbranch_scc0 .LBB8_1966
; %bb.1934:
	s_cmp_gt_i32 s15, 28
	s_cbranch_scc0 .LBB8_1949
; %bb.1935:
	s_cmp_gt_i32 s15, 43
	;; [unrolled: 3-line block ×3, first 2 shown]
	s_cbranch_scc0 .LBB8_1939
; %bb.1937:
	s_mov_b64 s[4:5], -1
	s_mov_b64 s[10:11], 0
	s_cmp_eq_u32 s15, 46
	s_cbranch_scc0 .LBB8_1939
; %bb.1938:
	v_cvt_f32_f64_e32 v7, v[41:42]
	v_cvt_f32_f64_e32 v6, v[39:40]
	s_movk_i32 s4, 0x7fff
	v_mov_b32_e32 v10, 0x7fc00000
	v_bfe_u32 v9, v7, 16, 1
	v_add3_u32 v9, v7, v9, s4
	v_bfe_u32 v8, v6, 16, 1
	v_and_b32_e32 v9, 0xffff0000, v9
	v_cmp_o_f32_e32 vcc, v7, v7
	v_add3_u32 v8, v6, v8, s4
	v_cndmask_b32_e32 v7, v10, v9, vcc
	v_cmp_o_f32_e32 vcc, v6, v6
	v_mov_b32_e32 v6, 0x7fc0
	v_cndmask_b32_sdwa v6, v6, v8, vcc dst_sel:DWORD dst_unused:UNUSED_PAD src0_sel:DWORD src1_sel:WORD_1
	v_or_b32_e32 v6, v7, v6
	global_store_dword v[4:5], v6, off
	s_mov_b64 s[4:5], 0
	s_mov_b64 s[8:9], -1
.LBB8_1939:
	s_and_b64 vcc, exec, s[10:11]
	s_cbranch_vccz .LBB8_1944
; %bb.1940:
	s_cmp_eq_u32 s15, 44
	s_mov_b64 s[4:5], -1
	s_cbranch_scc0 .LBB8_1944
; %bb.1941:
	v_cvt_f32_f64_e32 v6, v[39:40]
	s_movk_i32 s4, 0xff
	v_mov_b32_e32 v8, 0xff
	v_bfe_u32 v7, v6, 23, 8
	v_cmp_ne_u32_e32 vcc, s4, v7
	s_and_saveexec_b64 s[8:9], vcc
; %bb.1942:
	s_mov_b32 s4, 0x3fffff
	v_lshrrev_b32_e32 v8, 23, v6
	v_and_b32_e32 v9, 0x400000, v6
	v_and_or_b32 v6, v6, s4, v7
	v_cmp_ne_u32_e32 vcc, 0, v9
	v_cmp_ne_u32_e64 s[4:5], 0, v6
	s_and_b64 s[4:5], vcc, s[4:5]
	v_cndmask_b32_e64 v6, 0, 1, s[4:5]
	v_add_u32_e32 v8, v8, v6
; %bb.1943:
	s_or_b64 exec, exec, s[8:9]
	s_mov_b64 s[4:5], 0
	s_mov_b64 s[8:9], -1
	global_store_byte v[4:5], v8, off
.LBB8_1944:
	s_mov_b64 s[10:11], 0
.LBB8_1945:
	s_and_b64 vcc, exec, s[10:11]
	s_cbranch_vccz .LBB8_1948
; %bb.1946:
	s_cmp_eq_u32 s15, 29
	s_mov_b64 s[4:5], -1
	s_cbranch_scc0 .LBB8_1948
; %bb.1947:
	v_trunc_f64_e32 v[6:7], v[39:40]
	s_movk_i32 s4, 0xffe0
	s_mov_b64 s[8:9], -1
	v_ldexp_f64 v[8:9], v[6:7], s4
	s_mov_b32 s4, 0
	s_mov_b32 s5, 0xc1f00000
	v_floor_f64_e32 v[8:9], v[8:9]
	v_fma_f64 v[6:7], v[8:9], s[4:5], v[6:7]
	v_cvt_u32_f64_e32 v8, v[8:9]
	s_mov_b64 s[4:5], 0
	v_cvt_u32_f64_e32 v7, v[6:7]
	global_store_dwordx2 v[4:5], v[7:8], off
.LBB8_1948:
	s_mov_b64 s[10:11], 0
.LBB8_1949:
	s_and_b64 vcc, exec, s[10:11]
	s_cbranch_vccz .LBB8_1965
; %bb.1950:
	s_cmp_lt_i32 s15, 27
	s_mov_b64 s[8:9], -1
	s_cbranch_scc1 .LBB8_1956
; %bb.1951:
	v_cvt_u32_f64_e32 v6, v[39:40]
	s_cmp_gt_i32 s15, 27
	s_cbranch_scc0 .LBB8_1953
; %bb.1952:
	s_mov_b64 s[8:9], 0
	global_store_dword v[4:5], v6, off
.LBB8_1953:
	s_andn2_b64 vcc, exec, s[8:9]
	s_cbranch_vccnz .LBB8_1955
; %bb.1954:
	global_store_short v[4:5], v6, off
.LBB8_1955:
	s_mov_b64 s[8:9], 0
.LBB8_1956:
	s_andn2_b64 vcc, exec, s[8:9]
	s_cbranch_vccnz .LBB8_1964
; %bb.1957:
	v_cvt_f32_f64_e32 v6, v[39:40]
	s_mov_b32 s8, 0x43800000
	v_mov_b32_e32 v8, 0x80
	v_and_b32_e32 v7, 0x7fffffff, v6
	v_cmp_gt_u32_e32 vcc, s8, v7
	s_and_saveexec_b64 s[8:9], vcc
	s_cbranch_execz .LBB8_1963
; %bb.1958:
	s_mov_b32 s10, 0x3bffffff
	v_cmp_lt_u32_e32 vcc, s10, v7
	s_mov_b64 s[10:11], 0
                                        ; implicit-def: $vgpr7
	s_and_saveexec_b64 s[12:13], vcc
	s_xor_b64 s[12:13], exec, s[12:13]
	s_cbranch_execz .LBB8_2183
; %bb.1959:
	v_bfe_u32 v7, v6, 20, 1
	s_mov_b32 s16, 0x487ffff
	v_add3_u32 v7, v6, v7, s16
	s_mov_b64 s[10:11], exec
	v_lshrrev_b32_e32 v7, 20, v7
	s_andn2_saveexec_b64 s[12:13], s[12:13]
	s_cbranch_execnz .LBB8_2184
.LBB8_1960:
	s_or_b64 exec, exec, s[12:13]
	v_mov_b32_e32 v8, 0
	s_and_saveexec_b64 s[12:13], s[10:11]
.LBB8_1961:
	v_lshrrev_b32_e32 v6, 24, v6
	s_movk_i32 s10, 0x80
	v_and_or_b32 v8, v6, s10, v7
.LBB8_1962:
	s_or_b64 exec, exec, s[12:13]
.LBB8_1963:
	s_or_b64 exec, exec, s[8:9]
	global_store_byte v[4:5], v8, off
.LBB8_1964:
	s_mov_b64 s[8:9], -1
.LBB8_1965:
	s_mov_b64 s[10:11], 0
.LBB8_1966:
	s_and_b64 vcc, exec, s[10:11]
	s_cbranch_vccz .LBB8_2006
; %bb.1967:
	s_cmp_gt_i32 s15, 22
	s_mov_b64 s[6:7], -1
	s_cbranch_scc0 .LBB8_1999
; %bb.1968:
	s_cmp_lt_i32 s15, 24
	s_cbranch_scc1 .LBB8_1988
; %bb.1969:
	s_cmp_gt_i32 s15, 24
	s_cbranch_scc0 .LBB8_1977
; %bb.1970:
	v_cvt_f32_f64_e32 v6, v[39:40]
	s_mov_b32 s6, 0x47800000
	v_mov_b32_e32 v8, 0x80
	v_and_b32_e32 v7, 0x7fffffff, v6
	v_cmp_gt_u32_e32 vcc, s6, v7
	s_and_saveexec_b64 s[6:7], vcc
	s_cbranch_execz .LBB8_1976
; %bb.1971:
	s_mov_b32 s8, 0x37ffffff
	v_cmp_lt_u32_e32 vcc, s8, v7
	s_mov_b64 s[8:9], 0
                                        ; implicit-def: $vgpr7
	s_and_saveexec_b64 s[10:11], vcc
	s_xor_b64 s[10:11], exec, s[10:11]
	s_cbranch_execz .LBB8_2186
; %bb.1972:
	v_bfe_u32 v7, v6, 21, 1
	s_mov_b32 s12, 0x88fffff
	v_add3_u32 v7, v6, v7, s12
	s_mov_b64 s[8:9], exec
	v_lshrrev_b32_e32 v7, 21, v7
	s_andn2_saveexec_b64 s[10:11], s[10:11]
	s_cbranch_execnz .LBB8_2187
.LBB8_1973:
	s_or_b64 exec, exec, s[10:11]
	v_mov_b32_e32 v8, 0
	s_and_saveexec_b64 s[10:11], s[8:9]
.LBB8_1974:
	v_lshrrev_b32_e32 v6, 24, v6
	s_movk_i32 s8, 0x80
	v_and_or_b32 v8, v6, s8, v7
.LBB8_1975:
	s_or_b64 exec, exec, s[10:11]
.LBB8_1976:
	s_or_b64 exec, exec, s[6:7]
	s_mov_b64 s[6:7], 0
	global_store_byte v[4:5], v8, off
.LBB8_1977:
	s_and_b64 vcc, exec, s[6:7]
	s_cbranch_vccz .LBB8_1987
; %bb.1978:
	v_cvt_f32_f64_e32 v6, v[39:40]
	s_mov_b32 s6, 0x43f00000
                                        ; implicit-def: $vgpr7
	v_and_b32_e32 v8, 0x7fffffff, v6
	v_cmp_gt_u32_e32 vcc, s6, v8
	s_and_saveexec_b64 s[6:7], vcc
	s_xor_b64 s[6:7], exec, s[6:7]
	s_cbranch_execz .LBB8_1984
; %bb.1979:
	s_mov_b32 s8, 0x3c7fffff
	v_cmp_lt_u32_e32 vcc, s8, v8
                                        ; implicit-def: $vgpr7
	s_and_saveexec_b64 s[8:9], vcc
	s_xor_b64 s[8:9], exec, s[8:9]
; %bb.1980:
	v_bfe_u32 v7, v6, 20, 1
	s_mov_b32 s10, 0x407ffff
	v_add3_u32 v7, v6, v7, s10
	v_lshrrev_b32_e32 v8, 20, v7
	v_and_b32_e32 v7, 0xff00000, v7
	s_mov_b32 s10, 0x7f00000
	v_mov_b32_e32 v9, 0x7e
	v_cmp_ne_u32_e32 vcc, s10, v7
	v_cndmask_b32_e32 v7, v9, v8, vcc
; %bb.1981:
	s_andn2_saveexec_b64 s[8:9], s[8:9]
; %bb.1982:
	s_mov_b32 s10, 0x46800000
	v_add_f32_e64 v7, |v6|, s10
; %bb.1983:
	s_or_b64 exec, exec, s[8:9]
                                        ; implicit-def: $vgpr8
.LBB8_1984:
	s_andn2_saveexec_b64 s[6:7], s[6:7]
; %bb.1985:
	s_mov_b32 s8, 0x7f800000
	v_mov_b32_e32 v7, 0x7e
	v_mov_b32_e32 v9, 0x7f
	v_cmp_lt_u32_e32 vcc, s8, v8
	v_cndmask_b32_e32 v7, v7, v9, vcc
; %bb.1986:
	s_or_b64 exec, exec, s[6:7]
	v_lshrrev_b32_e32 v6, 24, v6
	s_movk_i32 s6, 0x80
	v_and_or_b32 v6, v6, s6, v7
	global_store_byte v[4:5], v6, off
.LBB8_1987:
	s_mov_b64 s[6:7], 0
.LBB8_1988:
	s_andn2_b64 vcc, exec, s[6:7]
	s_cbranch_vccnz .LBB8_1998
; %bb.1989:
	v_cvt_f32_f64_e32 v6, v[39:40]
	s_mov_b32 s6, 0x47800000
                                        ; implicit-def: $vgpr7
	v_and_b32_e32 v8, 0x7fffffff, v6
	v_cmp_gt_u32_e32 vcc, s6, v8
	s_and_saveexec_b64 s[6:7], vcc
	s_xor_b64 s[6:7], exec, s[6:7]
	s_cbranch_execz .LBB8_1995
; %bb.1990:
	s_mov_b32 s8, 0x387fffff
	v_cmp_lt_u32_e32 vcc, s8, v8
                                        ; implicit-def: $vgpr7
	s_and_saveexec_b64 s[8:9], vcc
	s_xor_b64 s[8:9], exec, s[8:9]
; %bb.1991:
	v_bfe_u32 v7, v6, 21, 1
	s_mov_b32 s10, 0x80fffff
	v_add3_u32 v7, v6, v7, s10
	v_lshrrev_b32_e32 v7, 21, v7
; %bb.1992:
	s_andn2_saveexec_b64 s[8:9], s[8:9]
; %bb.1993:
	s_mov_b32 s10, 0x43000000
	v_add_f32_e64 v7, |v6|, s10
; %bb.1994:
	s_or_b64 exec, exec, s[8:9]
                                        ; implicit-def: $vgpr8
.LBB8_1995:
	s_andn2_saveexec_b64 s[6:7], s[6:7]
; %bb.1996:
	s_mov_b32 s8, 0x7f800000
	v_mov_b32_e32 v7, 0x7c
	v_mov_b32_e32 v9, 0x7f
	v_cmp_lt_u32_e32 vcc, s8, v8
	v_cndmask_b32_e32 v7, v7, v9, vcc
; %bb.1997:
	s_or_b64 exec, exec, s[6:7]
	v_lshrrev_b32_e32 v6, 24, v6
	s_movk_i32 s6, 0x80
	v_and_or_b32 v6, v6, s6, v7
	global_store_byte v[4:5], v6, off
.LBB8_1998:
	s_mov_b64 s[6:7], 0
	s_mov_b64 s[8:9], -1
.LBB8_1999:
	s_andn2_b64 vcc, exec, s[6:7]
	s_mov_b64 s[6:7], 0
	s_cbranch_vccnz .LBB8_2006
; %bb.2000:
	s_cmp_gt_i32 s15, 14
	s_mov_b64 s[10:11], -1
	s_cbranch_scc0 .LBB8_2004
; %bb.2001:
	s_cmp_eq_u32 s15, 15
	s_mov_b64 s[4:5], -1
	s_cbranch_scc0 .LBB8_2003
; %bb.2002:
	v_cvt_f32_f64_e32 v6, v[39:40]
	s_movk_i32 s4, 0x7fff
	v_mov_b32_e32 v7, 0x7fc0
	s_mov_b64 s[8:9], -1
	v_bfe_u32 v8, v6, 16, 1
	v_cmp_o_f32_e32 vcc, v6, v6
	v_add3_u32 v6, v6, v8, s4
	v_cndmask_b32_sdwa v6, v7, v6, vcc dst_sel:DWORD dst_unused:UNUSED_PAD src0_sel:DWORD src1_sel:WORD_1
	global_store_short v[4:5], v6, off
	s_mov_b64 s[4:5], 0
.LBB8_2003:
	s_mov_b64 s[10:11], 0
.LBB8_2004:
	s_and_b64 vcc, exec, s[10:11]
	s_cbranch_vccz .LBB8_2006
; %bb.2005:
	s_cmp_lg_u32 s15, 11
	s_mov_b64 s[6:7], -1
	s_cselect_b64 s[4:5], -1, 0
.LBB8_2006:
	s_and_b64 vcc, exec, s[4:5]
	s_cbranch_vccnz .LBB8_2185
; %bb.2007:
	s_andn2_b64 vcc, exec, s[6:7]
	s_cbranch_vccnz .LBB8_2009
.LBB8_2008:
	v_cmp_neq_f64_e32 vcc, 0, v[39:40]
	v_cmp_neq_f64_e64 s[4:5], 0, v[41:42]
	s_mov_b64 s[8:9], -1
	s_or_b64 s[4:5], vcc, s[4:5]
	v_cndmask_b32_e64 v6, 0, 1, s[4:5]
	global_store_byte v[4:5], v6, off
.LBB8_2009:
	s_mov_b64 s[4:5], 0
	s_branch .LBB8_2011
.LBB8_2010:
	s_mov_b64 s[4:5], -1
	s_mov_b64 s[8:9], 0
.LBB8_2011:
	s_and_b64 vcc, exec, s[4:5]
	s_cbranch_vccz .LBB8_2050
; %bb.2012:
	s_and_b32 s6, 0xffff, s14
	s_cmp_lt_i32 s6, 5
	s_mov_b64 s[4:5], -1
	s_cbranch_scc1 .LBB8_2033
; %bb.2013:
	s_cmp_lt_i32 s6, 8
	s_cbranch_scc1 .LBB8_2023
; %bb.2014:
	s_cmp_lt_i32 s6, 9
	s_cbranch_scc1 .LBB8_2020
; %bb.2015:
	s_cmp_gt_i32 s6, 9
	s_cbranch_scc0 .LBB8_2017
; %bb.2016:
	global_store_dwordx4 v[4:5], v[39:42], off
	s_mov_b64 s[4:5], 0
.LBB8_2017:
	s_andn2_b64 vcc, exec, s[4:5]
	s_cbranch_vccnz .LBB8_2019
; %bb.2018:
	v_cvt_f32_f64_e32 v6, v[39:40]
	v_cvt_f32_f64_e32 v7, v[41:42]
	global_store_dwordx2 v[4:5], v[6:7], off
.LBB8_2019:
	s_mov_b64 s[4:5], 0
.LBB8_2020:
	s_andn2_b64 vcc, exec, s[4:5]
	s_cbranch_vccnz .LBB8_2022
; %bb.2021:
	s_movk_i32 s4, 0x1ff
	v_and_or_b32 v6, v40, s4, v39
	v_cmp_ne_u32_e32 vcc, 0, v6
	v_cndmask_b32_e64 v6, 0, 1, vcc
	v_lshrrev_b32_e32 v7, 8, v40
	s_movk_i32 s5, 0xffe
	v_bfe_u32 v8, v40, 20, 11
	v_and_or_b32 v6, v7, s5, v6
	v_sub_u32_e32 v9, 0x3f1, v8
	v_or_b32_e32 v7, 0x1000, v6
	v_med3_i32 v9, v9, 0, 13
	v_lshrrev_b32_e32 v10, v9, v7
	v_lshlrev_b32_e32 v9, v9, v10
	v_cmp_ne_u32_e32 vcc, v9, v7
	v_cndmask_b32_e64 v7, 0, 1, vcc
	v_add_u32_e32 v8, 0xfffffc10, v8
	v_or_b32_e32 v7, v10, v7
	v_lshl_or_b32 v9, v8, 12, v6
	v_cmp_gt_i32_e32 vcc, 1, v8
	v_cndmask_b32_e32 v7, v9, v7, vcc
	v_and_b32_e32 v9, 7, v7
	v_cmp_lt_i32_e32 vcc, 5, v9
	v_cndmask_b32_e64 v10, 0, 1, vcc
	v_cmp_eq_u32_e32 vcc, 3, v9
	v_cndmask_b32_e64 v9, 0, 1, vcc
	v_or_b32_e32 v9, v9, v10
	v_lshrrev_b32_e32 v7, 2, v7
	v_add_u32_e32 v7, v7, v9
	v_mov_b32_e32 v9, 0x7c00
	v_cmp_gt_i32_e32 vcc, 31, v8
	v_cndmask_b32_e32 v7, v9, v7, vcc
	v_mov_b32_e32 v10, 0x7e00
	v_cmp_ne_u32_e32 vcc, 0, v6
	s_movk_i32 s7, 0x40f
	v_cndmask_b32_e32 v6, v9, v10, vcc
	v_cmp_eq_u32_e32 vcc, s7, v8
	v_cndmask_b32_e32 v6, v7, v6, vcc
	v_lshrrev_b32_e32 v7, 16, v40
	s_mov_b32 s8, 0x8000
	v_and_or_b32 v6, v7, s8, v6
	v_and_or_b32 v7, v42, s4, v41
	v_cmp_ne_u32_e32 vcc, 0, v7
	v_cndmask_b32_e64 v7, 0, 1, vcc
	v_lshrrev_b32_e32 v8, 8, v42
	v_bfe_u32 v11, v42, 20, 11
	v_and_or_b32 v7, v8, s5, v7
	v_sub_u32_e32 v12, 0x3f1, v11
	v_or_b32_e32 v8, 0x1000, v7
	v_med3_i32 v12, v12, 0, 13
	v_lshrrev_b32_e32 v13, v12, v8
	v_lshlrev_b32_e32 v12, v12, v13
	v_cmp_ne_u32_e32 vcc, v12, v8
	v_cndmask_b32_e64 v8, 0, 1, vcc
	v_add_u32_e32 v11, 0xfffffc10, v11
	v_or_b32_e32 v8, v13, v8
	v_lshl_or_b32 v12, v11, 12, v7
	v_cmp_gt_i32_e32 vcc, 1, v11
	v_cndmask_b32_e32 v8, v12, v8, vcc
	v_and_b32_e32 v12, 7, v8
	v_cmp_lt_i32_e32 vcc, 5, v12
	v_cndmask_b32_e64 v13, 0, 1, vcc
	v_cmp_eq_u32_e32 vcc, 3, v12
	v_cndmask_b32_e64 v12, 0, 1, vcc
	v_or_b32_e32 v12, v12, v13
	v_lshrrev_b32_e32 v8, 2, v8
	v_add_u32_e32 v8, v8, v12
	v_cmp_gt_i32_e32 vcc, 31, v11
	v_cndmask_b32_e32 v8, v9, v8, vcc
	v_cmp_ne_u32_e32 vcc, 0, v7
	v_cndmask_b32_e32 v7, v9, v10, vcc
	v_cmp_eq_u32_e32 vcc, s7, v11
	v_cndmask_b32_e32 v7, v8, v7, vcc
	v_lshrrev_b32_e32 v8, 16, v42
	v_and_or_b32 v7, v8, s8, v7
	v_and_b32_e32 v6, 0xffff, v6
	v_lshl_or_b32 v6, v7, 16, v6
	global_store_dword v[4:5], v6, off
.LBB8_2022:
	s_mov_b64 s[4:5], 0
.LBB8_2023:
	s_andn2_b64 vcc, exec, s[4:5]
	s_cbranch_vccnz .LBB8_2032
; %bb.2024:
	s_cmp_lt_i32 s6, 6
	s_mov_b64 s[4:5], -1
	s_cbranch_scc1 .LBB8_2030
; %bb.2025:
	s_cmp_gt_i32 s6, 6
	s_cbranch_scc0 .LBB8_2027
; %bb.2026:
	global_store_dwordx2 v[4:5], v[39:40], off
	s_mov_b64 s[4:5], 0
.LBB8_2027:
	s_andn2_b64 vcc, exec, s[4:5]
	s_cbranch_vccnz .LBB8_2029
; %bb.2028:
	v_cvt_f32_f64_e32 v6, v[39:40]
	global_store_dword v[4:5], v6, off
.LBB8_2029:
	s_mov_b64 s[4:5], 0
.LBB8_2030:
	s_andn2_b64 vcc, exec, s[4:5]
	s_cbranch_vccnz .LBB8_2032
; %bb.2031:
	s_movk_i32 s4, 0x1ff
	v_and_or_b32 v6, v40, s4, v39
	v_cmp_ne_u32_e32 vcc, 0, v6
	v_cndmask_b32_e64 v6, 0, 1, vcc
	v_lshrrev_b32_e32 v7, 8, v40
	s_movk_i32 s4, 0xffe
	v_bfe_u32 v8, v40, 20, 11
	v_and_or_b32 v6, v7, s4, v6
	v_sub_u32_e32 v9, 0x3f1, v8
	v_or_b32_e32 v7, 0x1000, v6
	v_med3_i32 v9, v9, 0, 13
	v_lshrrev_b32_e32 v10, v9, v7
	v_lshlrev_b32_e32 v9, v9, v10
	v_cmp_ne_u32_e32 vcc, v9, v7
	v_cndmask_b32_e64 v7, 0, 1, vcc
	v_add_u32_e32 v8, 0xfffffc10, v8
	v_or_b32_e32 v7, v10, v7
	v_lshl_or_b32 v9, v8, 12, v6
	v_cmp_gt_i32_e32 vcc, 1, v8
	v_cndmask_b32_e32 v7, v9, v7, vcc
	v_and_b32_e32 v9, 7, v7
	v_cmp_lt_i32_e32 vcc, 5, v9
	v_cndmask_b32_e64 v10, 0, 1, vcc
	v_cmp_eq_u32_e32 vcc, 3, v9
	v_cndmask_b32_e64 v9, 0, 1, vcc
	v_or_b32_e32 v9, v9, v10
	v_lshrrev_b32_e32 v7, 2, v7
	v_add_u32_e32 v7, v7, v9
	v_mov_b32_e32 v9, 0x7c00
	v_cmp_gt_i32_e32 vcc, 31, v8
	v_cndmask_b32_e32 v7, v9, v7, vcc
	v_mov_b32_e32 v10, 0x7e00
	v_cmp_ne_u32_e32 vcc, 0, v6
	s_movk_i32 s4, 0x40f
	v_cndmask_b32_e32 v6, v9, v10, vcc
	v_cmp_eq_u32_e32 vcc, s4, v8
	v_cndmask_b32_e32 v6, v7, v6, vcc
	v_lshrrev_b32_e32 v7, 16, v40
	s_mov_b32 s4, 0x8000
	v_and_or_b32 v6, v7, s4, v6
	global_store_short v[4:5], v6, off
.LBB8_2032:
	s_mov_b64 s[4:5], 0
.LBB8_2033:
	s_andn2_b64 vcc, exec, s[4:5]
	s_cbranch_vccnz .LBB8_2049
; %bb.2034:
	s_cmp_lt_i32 s6, 2
	s_mov_b64 s[4:5], -1
	s_cbranch_scc1 .LBB8_2044
; %bb.2035:
	s_cmp_lt_i32 s6, 3
	s_cbranch_scc1 .LBB8_2041
; %bb.2036:
	s_cmp_gt_i32 s6, 3
	s_cbranch_scc0 .LBB8_2038
; %bb.2037:
	v_trunc_f64_e32 v[6:7], v[39:40]
	s_movk_i32 s4, 0xffe0
	v_ldexp_f64 v[8:9], v[6:7], s4
	s_mov_b32 s4, 0
	s_mov_b32 s5, 0xc1f00000
	v_floor_f64_e32 v[8:9], v[8:9]
	v_fma_f64 v[6:7], v[8:9], s[4:5], v[6:7]
	v_cvt_i32_f64_e32 v8, v[8:9]
	s_mov_b64 s[4:5], 0
	v_cvt_u32_f64_e32 v7, v[6:7]
	global_store_dwordx2 v[4:5], v[7:8], off
.LBB8_2038:
	s_andn2_b64 vcc, exec, s[4:5]
	s_cbranch_vccnz .LBB8_2040
; %bb.2039:
	v_cvt_i32_f64_e32 v6, v[39:40]
	global_store_dword v[4:5], v6, off
.LBB8_2040:
	s_mov_b64 s[4:5], 0
.LBB8_2041:
	s_andn2_b64 vcc, exec, s[4:5]
	s_cbranch_vccnz .LBB8_2043
; %bb.2042:
	v_cvt_i32_f64_e32 v6, v[39:40]
	global_store_short v[4:5], v6, off
.LBB8_2043:
	s_mov_b64 s[4:5], 0
.LBB8_2044:
	s_andn2_b64 vcc, exec, s[4:5]
	s_cbranch_vccnz .LBB8_2049
; %bb.2045:
	s_cmp_gt_i32 s6, 0
	s_mov_b64 s[4:5], -1
	s_cbranch_scc0 .LBB8_2047
; %bb.2046:
	v_cvt_i32_f64_e32 v6, v[39:40]
	s_mov_b64 s[4:5], 0
	global_store_byte v[4:5], v6, off
.LBB8_2047:
	s_andn2_b64 vcc, exec, s[4:5]
	s_cbranch_vccnz .LBB8_2049
; %bb.2048:
	v_trunc_f64_e32 v[6:7], v[39:40]
	s_movk_i32 s4, 0xffe0
	v_ldexp_f64 v[8:9], v[6:7], s4
	s_mov_b32 s4, 0
	s_mov_b32 s5, 0xc1f00000
	v_floor_f64_e32 v[8:9], v[8:9]
	v_fma_f64 v[6:7], v[8:9], s[4:5], v[6:7]
	v_cvt_u32_f64_e32 v6, v[6:7]
	global_store_byte v[4:5], v6, off
.LBB8_2049:
	s_mov_b64 s[8:9], -1
.LBB8_2050:
	s_andn2_b64 vcc, exec, s[8:9]
	s_cbranch_vccnz .LBB8_2127
; %bb.2051:
	v_mov_b32_e32 v5, s37
	v_add_co_u32_e32 v4, vcc, s36, v54
	s_cmp_lt_i32 s14, 11
	v_addc_co_u32_e32 v5, vcc, 0, v5, vcc
	s_cbranch_scc1 .LBB8_2172
; %bb.2052:
	s_and_b32 s15, 0xffff, s14
	s_mov_b64 s[8:9], -1
	s_mov_b64 s[6:7], 0
	s_cmp_gt_i32 s15, 25
	s_mov_b64 s[4:5], 0
	s_cbranch_scc0 .LBB8_2085
; %bb.2053:
	s_cmp_gt_i32 s15, 28
	s_cbranch_scc0 .LBB8_2069
; %bb.2054:
	s_cmp_gt_i32 s15, 43
	;; [unrolled: 3-line block ×3, first 2 shown]
	s_cbranch_scc0 .LBB8_2059
; %bb.2056:
	s_cmp_eq_u32 s15, 46
	s_mov_b64 s[4:5], -1
	s_cbranch_scc0 .LBB8_2058
; %bb.2057:
	v_cvt_f32_f64_e32 v7, v[2:3]
	v_cvt_f32_f64_e32 v6, v[0:1]
	s_movk_i32 s4, 0x7fff
	v_mov_b32_e32 v10, 0x7fc00000
	v_bfe_u32 v9, v7, 16, 1
	v_add3_u32 v9, v7, v9, s4
	v_bfe_u32 v8, v6, 16, 1
	v_and_b32_e32 v9, 0xffff0000, v9
	v_cmp_o_f32_e32 vcc, v7, v7
	v_add3_u32 v8, v6, v8, s4
	v_cndmask_b32_e32 v7, v10, v9, vcc
	v_cmp_o_f32_e32 vcc, v6, v6
	v_mov_b32_e32 v6, 0x7fc0
	v_cndmask_b32_sdwa v6, v6, v8, vcc dst_sel:DWORD dst_unused:UNUSED_PAD src0_sel:DWORD src1_sel:WORD_1
	v_or_b32_e32 v6, v7, v6
	global_store_dword v[4:5], v6, off
	s_mov_b64 s[4:5], 0
.LBB8_2058:
	s_mov_b64 s[8:9], 0
.LBB8_2059:
	s_and_b64 vcc, exec, s[8:9]
	s_cbranch_vccz .LBB8_2064
; %bb.2060:
	s_cmp_eq_u32 s15, 44
	s_mov_b64 s[4:5], -1
	s_cbranch_scc0 .LBB8_2064
; %bb.2061:
	v_cvt_f32_f64_e32 v6, v[0:1]
	s_movk_i32 s4, 0xff
	v_mov_b32_e32 v8, 0xff
	v_bfe_u32 v7, v6, 23, 8
	v_cmp_ne_u32_e32 vcc, s4, v7
	s_and_saveexec_b64 s[8:9], vcc
; %bb.2062:
	s_mov_b32 s4, 0x3fffff
	v_lshrrev_b32_e32 v8, 23, v6
	v_and_b32_e32 v9, 0x400000, v6
	v_and_or_b32 v6, v6, s4, v7
	v_cmp_ne_u32_e32 vcc, 0, v9
	v_cmp_ne_u32_e64 s[4:5], 0, v6
	s_and_b64 s[4:5], vcc, s[4:5]
	v_cndmask_b32_e64 v6, 0, 1, s[4:5]
	v_add_u32_e32 v8, v8, v6
; %bb.2063:
	s_or_b64 exec, exec, s[8:9]
	s_mov_b64 s[4:5], 0
	global_store_byte v[4:5], v8, off
.LBB8_2064:
	s_mov_b64 s[8:9], 0
.LBB8_2065:
	s_and_b64 vcc, exec, s[8:9]
	s_cbranch_vccz .LBB8_2068
; %bb.2066:
	s_cmp_eq_u32 s15, 29
	s_mov_b64 s[4:5], -1
	s_cbranch_scc0 .LBB8_2068
; %bb.2067:
	v_trunc_f64_e32 v[6:7], v[0:1]
	s_movk_i32 s4, 0xffe0
	v_ldexp_f64 v[8:9], v[6:7], s4
	s_mov_b32 s4, 0
	s_mov_b32 s5, 0xc1f00000
	v_floor_f64_e32 v[8:9], v[8:9]
	v_fma_f64 v[6:7], v[8:9], s[4:5], v[6:7]
	v_cvt_u32_f64_e32 v8, v[8:9]
	s_mov_b64 s[4:5], 0
	v_cvt_u32_f64_e32 v7, v[6:7]
	global_store_dwordx2 v[4:5], v[7:8], off
.LBB8_2068:
	s_mov_b64 s[8:9], 0
.LBB8_2069:
	s_and_b64 vcc, exec, s[8:9]
	s_cbranch_vccz .LBB8_2084
; %bb.2070:
	s_cmp_lt_i32 s15, 27
	s_mov_b64 s[8:9], -1
	s_cbranch_scc1 .LBB8_2076
; %bb.2071:
	s_cmp_gt_i32 s15, 27
	s_cbranch_scc0 .LBB8_2073
; %bb.2072:
	v_cvt_u32_f64_e32 v6, v[0:1]
	s_mov_b64 s[8:9], 0
	global_store_dword v[4:5], v6, off
.LBB8_2073:
	s_andn2_b64 vcc, exec, s[8:9]
	s_cbranch_vccnz .LBB8_2075
; %bb.2074:
	v_cvt_u32_f64_e32 v6, v[0:1]
	global_store_short v[4:5], v6, off
.LBB8_2075:
	s_mov_b64 s[8:9], 0
.LBB8_2076:
	s_andn2_b64 vcc, exec, s[8:9]
	s_cbranch_vccnz .LBB8_2084
; %bb.2077:
	v_cvt_f32_f64_e32 v6, v[0:1]
	s_mov_b32 s8, 0x43800000
	v_mov_b32_e32 v8, 0x80
	v_and_b32_e32 v7, 0x7fffffff, v6
	v_cmp_gt_u32_e32 vcc, s8, v7
	s_and_saveexec_b64 s[8:9], vcc
	s_cbranch_execz .LBB8_2083
; %bb.2078:
	s_mov_b32 s10, 0x3bffffff
	v_cmp_lt_u32_e32 vcc, s10, v7
	s_mov_b64 s[10:11], 0
                                        ; implicit-def: $vgpr7
	s_and_saveexec_b64 s[12:13], vcc
	s_xor_b64 s[12:13], exec, s[12:13]
	s_cbranch_execz .LBB8_2188
; %bb.2079:
	v_bfe_u32 v7, v6, 20, 1
	s_mov_b32 s16, 0x487ffff
	v_add3_u32 v7, v6, v7, s16
	s_mov_b64 s[10:11], exec
	v_lshrrev_b32_e32 v7, 20, v7
	s_andn2_saveexec_b64 s[12:13], s[12:13]
	s_cbranch_execnz .LBB8_2189
.LBB8_2080:
	s_or_b64 exec, exec, s[12:13]
	v_mov_b32_e32 v8, 0
	s_and_saveexec_b64 s[12:13], s[10:11]
.LBB8_2081:
	v_lshrrev_b32_e32 v6, 24, v6
	s_movk_i32 s10, 0x80
	v_and_or_b32 v8, v6, s10, v7
.LBB8_2082:
	s_or_b64 exec, exec, s[12:13]
.LBB8_2083:
	s_or_b64 exec, exec, s[8:9]
	global_store_byte v[4:5], v8, off
.LBB8_2084:
	s_mov_b64 s[8:9], 0
.LBB8_2085:
	s_and_b64 vcc, exec, s[8:9]
	s_cbranch_vccz .LBB8_2125
; %bb.2086:
	s_cmp_gt_i32 s15, 22
	s_mov_b64 s[6:7], -1
	s_cbranch_scc0 .LBB8_2118
; %bb.2087:
	s_cmp_lt_i32 s15, 24
	s_cbranch_scc1 .LBB8_2107
; %bb.2088:
	s_cmp_gt_i32 s15, 24
	s_cbranch_scc0 .LBB8_2096
; %bb.2089:
	v_cvt_f32_f64_e32 v6, v[0:1]
	s_mov_b32 s6, 0x47800000
	v_mov_b32_e32 v8, 0x80
	v_and_b32_e32 v7, 0x7fffffff, v6
	v_cmp_gt_u32_e32 vcc, s6, v7
	s_and_saveexec_b64 s[6:7], vcc
	s_cbranch_execz .LBB8_2095
; %bb.2090:
	s_mov_b32 s8, 0x37ffffff
	v_cmp_lt_u32_e32 vcc, s8, v7
	s_mov_b64 s[8:9], 0
                                        ; implicit-def: $vgpr7
	s_and_saveexec_b64 s[10:11], vcc
	s_xor_b64 s[10:11], exec, s[10:11]
	s_cbranch_execz .LBB8_2191
; %bb.2091:
	v_bfe_u32 v7, v6, 21, 1
	s_mov_b32 s12, 0x88fffff
	v_add3_u32 v7, v6, v7, s12
	s_mov_b64 s[8:9], exec
	v_lshrrev_b32_e32 v7, 21, v7
	s_andn2_saveexec_b64 s[10:11], s[10:11]
	s_cbranch_execnz .LBB8_2192
.LBB8_2092:
	s_or_b64 exec, exec, s[10:11]
	v_mov_b32_e32 v8, 0
	s_and_saveexec_b64 s[10:11], s[8:9]
.LBB8_2093:
	v_lshrrev_b32_e32 v6, 24, v6
	s_movk_i32 s8, 0x80
	v_and_or_b32 v8, v6, s8, v7
.LBB8_2094:
	s_or_b64 exec, exec, s[10:11]
.LBB8_2095:
	s_or_b64 exec, exec, s[6:7]
	s_mov_b64 s[6:7], 0
	global_store_byte v[4:5], v8, off
.LBB8_2096:
	s_and_b64 vcc, exec, s[6:7]
	s_cbranch_vccz .LBB8_2106
; %bb.2097:
	v_cvt_f32_f64_e32 v6, v[0:1]
	s_mov_b32 s6, 0x43f00000
                                        ; implicit-def: $vgpr7
	v_and_b32_e32 v8, 0x7fffffff, v6
	v_cmp_gt_u32_e32 vcc, s6, v8
	s_and_saveexec_b64 s[6:7], vcc
	s_xor_b64 s[6:7], exec, s[6:7]
	s_cbranch_execz .LBB8_2103
; %bb.2098:
	s_mov_b32 s8, 0x3c7fffff
	v_cmp_lt_u32_e32 vcc, s8, v8
                                        ; implicit-def: $vgpr7
	s_and_saveexec_b64 s[8:9], vcc
	s_xor_b64 s[8:9], exec, s[8:9]
; %bb.2099:
	v_bfe_u32 v7, v6, 20, 1
	s_mov_b32 s10, 0x407ffff
	v_add3_u32 v7, v6, v7, s10
	v_lshrrev_b32_e32 v8, 20, v7
	v_and_b32_e32 v7, 0xff00000, v7
	s_mov_b32 s10, 0x7f00000
	v_mov_b32_e32 v9, 0x7e
	v_cmp_ne_u32_e32 vcc, s10, v7
	v_cndmask_b32_e32 v7, v9, v8, vcc
; %bb.2100:
	s_andn2_saveexec_b64 s[8:9], s[8:9]
; %bb.2101:
	s_mov_b32 s10, 0x46800000
	v_add_f32_e64 v7, |v6|, s10
; %bb.2102:
	s_or_b64 exec, exec, s[8:9]
                                        ; implicit-def: $vgpr8
.LBB8_2103:
	s_andn2_saveexec_b64 s[6:7], s[6:7]
; %bb.2104:
	s_mov_b32 s8, 0x7f800000
	v_mov_b32_e32 v7, 0x7e
	v_mov_b32_e32 v9, 0x7f
	v_cmp_lt_u32_e32 vcc, s8, v8
	v_cndmask_b32_e32 v7, v7, v9, vcc
; %bb.2105:
	s_or_b64 exec, exec, s[6:7]
	v_lshrrev_b32_e32 v6, 24, v6
	s_movk_i32 s6, 0x80
	v_and_or_b32 v6, v6, s6, v7
	global_store_byte v[4:5], v6, off
.LBB8_2106:
	s_mov_b64 s[6:7], 0
.LBB8_2107:
	s_andn2_b64 vcc, exec, s[6:7]
	s_cbranch_vccnz .LBB8_2117
; %bb.2108:
	v_cvt_f32_f64_e32 v6, v[0:1]
	s_mov_b32 s6, 0x47800000
                                        ; implicit-def: $vgpr7
	v_and_b32_e32 v8, 0x7fffffff, v6
	v_cmp_gt_u32_e32 vcc, s6, v8
	s_and_saveexec_b64 s[6:7], vcc
	s_xor_b64 s[6:7], exec, s[6:7]
	s_cbranch_execz .LBB8_2114
; %bb.2109:
	s_mov_b32 s8, 0x387fffff
	v_cmp_lt_u32_e32 vcc, s8, v8
                                        ; implicit-def: $vgpr7
	s_and_saveexec_b64 s[8:9], vcc
	s_xor_b64 s[8:9], exec, s[8:9]
; %bb.2110:
	v_bfe_u32 v7, v6, 21, 1
	s_mov_b32 s10, 0x80fffff
	v_add3_u32 v7, v6, v7, s10
	v_lshrrev_b32_e32 v7, 21, v7
; %bb.2111:
	s_andn2_saveexec_b64 s[8:9], s[8:9]
; %bb.2112:
	s_mov_b32 s10, 0x43000000
	v_add_f32_e64 v7, |v6|, s10
; %bb.2113:
	s_or_b64 exec, exec, s[8:9]
                                        ; implicit-def: $vgpr8
.LBB8_2114:
	s_andn2_saveexec_b64 s[6:7], s[6:7]
; %bb.2115:
	s_mov_b32 s8, 0x7f800000
	v_mov_b32_e32 v7, 0x7c
	v_mov_b32_e32 v9, 0x7f
	v_cmp_lt_u32_e32 vcc, s8, v8
	v_cndmask_b32_e32 v7, v7, v9, vcc
; %bb.2116:
	s_or_b64 exec, exec, s[6:7]
	v_lshrrev_b32_e32 v6, 24, v6
	s_movk_i32 s6, 0x80
	v_and_or_b32 v6, v6, s6, v7
	global_store_byte v[4:5], v6, off
.LBB8_2117:
	s_mov_b64 s[6:7], 0
.LBB8_2118:
	s_andn2_b64 vcc, exec, s[6:7]
	s_mov_b64 s[6:7], 0
	s_cbranch_vccnz .LBB8_2125
; %bb.2119:
	s_cmp_gt_i32 s15, 14
	s_mov_b64 s[8:9], -1
	s_cbranch_scc0 .LBB8_2123
; %bb.2120:
	s_cmp_eq_u32 s15, 15
	s_mov_b64 s[4:5], -1
	s_cbranch_scc0 .LBB8_2122
; %bb.2121:
	v_cvt_f32_f64_e32 v6, v[0:1]
	s_movk_i32 s4, 0x7fff
	v_mov_b32_e32 v7, 0x7fc0
	v_bfe_u32 v8, v6, 16, 1
	v_cmp_o_f32_e32 vcc, v6, v6
	v_add3_u32 v6, v6, v8, s4
	v_cndmask_b32_sdwa v6, v7, v6, vcc dst_sel:DWORD dst_unused:UNUSED_PAD src0_sel:DWORD src1_sel:WORD_1
	global_store_short v[4:5], v6, off
	s_mov_b64 s[4:5], 0
.LBB8_2122:
	s_mov_b64 s[8:9], 0
.LBB8_2123:
	s_and_b64 vcc, exec, s[8:9]
	s_cbranch_vccz .LBB8_2125
; %bb.2124:
	s_cmp_lg_u32 s15, 11
	s_mov_b64 s[6:7], -1
	s_cselect_b64 s[4:5], -1, 0
.LBB8_2125:
	s_and_b64 vcc, exec, s[4:5]
	s_cbranch_vccnz .LBB8_2190
.LBB8_2126:
	s_mov_b64 s[4:5], 0
	s_branch .LBB8_2128
.LBB8_2127:
	s_mov_b64 s[4:5], 0
	s_mov_b64 s[6:7], 0
                                        ; implicit-def: $vgpr4_vgpr5
                                        ; implicit-def: $sgpr14
                                        ; implicit-def: $vgpr2_vgpr3
.LBB8_2128:
	s_and_b64 s[8:9], s[4:5], exec
	s_and_b64 s[52:53], s[6:7], exec
	s_andn2_b64 s[4:5], s[44:45], exec
	s_and_b64 s[6:7], s[34:35], exec
	s_or_b64 s[44:45], s[4:5], s[6:7]
.LBB8_2129:
	s_or_b64 exec, exec, s[46:47]
	s_and_saveexec_b64 s[4:5], s[44:45]
	s_cbranch_execz .LBB8_2132
; %bb.2130:
	; divergent unreachable
	s_or_b64 exec, exec, s[4:5]
	s_and_saveexec_b64 s[4:5], s[52:53]
	s_xor_b64 s[6:7], exec, s[4:5]
	s_cbranch_execnz .LBB8_2133
.LBB8_2131:
	s_or_b64 exec, exec, s[6:7]
	s_and_saveexec_b64 s[4:5], s[8:9]
	s_cbranch_execnz .LBB8_2134
	s_branch .LBB8_2171
.LBB8_2132:
	s_or_b64 exec, exec, s[4:5]
	s_and_saveexec_b64 s[4:5], s[52:53]
	s_xor_b64 s[6:7], exec, s[4:5]
	s_cbranch_execz .LBB8_2131
.LBB8_2133:
	s_waitcnt vmcnt(0)
	v_cmp_neq_f64_e32 vcc, 0, v[0:1]
	v_cmp_neq_f64_e64 s[4:5], 0, v[2:3]
	s_or_b64 s[4:5], vcc, s[4:5]
	v_cndmask_b32_e64 v6, 0, 1, s[4:5]
	global_store_byte v[4:5], v6, off
	s_or_b64 exec, exec, s[6:7]
	s_and_saveexec_b64 s[4:5], s[8:9]
	s_cbranch_execz .LBB8_2171
.LBB8_2134:
	s_sext_i32_i16 s6, s14
	s_cmp_lt_i32 s6, 5
	s_mov_b64 s[4:5], -1
	s_cbranch_scc1 .LBB8_2155
; %bb.2135:
	s_cmp_lt_i32 s6, 8
	s_cbranch_scc1 .LBB8_2145
; %bb.2136:
	s_cmp_lt_i32 s6, 9
	s_cbranch_scc1 .LBB8_2142
; %bb.2137:
	s_cmp_gt_i32 s6, 9
	s_cbranch_scc0 .LBB8_2139
; %bb.2138:
	s_waitcnt vmcnt(0)
	global_store_dwordx4 v[4:5], v[0:3], off
	s_mov_b64 s[4:5], 0
.LBB8_2139:
	s_andn2_b64 vcc, exec, s[4:5]
	s_cbranch_vccnz .LBB8_2141
; %bb.2140:
	s_waitcnt vmcnt(0)
	v_cvt_f32_f64_e32 v6, v[0:1]
	v_cvt_f32_f64_e32 v7, v[2:3]
	global_store_dwordx2 v[4:5], v[6:7], off
.LBB8_2141:
	s_mov_b64 s[4:5], 0
.LBB8_2142:
	s_andn2_b64 vcc, exec, s[4:5]
	s_cbranch_vccnz .LBB8_2144
; %bb.2143:
	s_movk_i32 s4, 0x1ff
	s_waitcnt vmcnt(0)
	v_and_or_b32 v6, v1, s4, v0
	v_cmp_ne_u32_e32 vcc, 0, v6
	v_cndmask_b32_e64 v6, 0, 1, vcc
	v_lshrrev_b32_e32 v7, 8, v1
	s_movk_i32 s5, 0xffe
	v_bfe_u32 v8, v1, 20, 11
	v_and_or_b32 v6, v7, s5, v6
	v_sub_u32_e32 v9, 0x3f1, v8
	v_or_b32_e32 v7, 0x1000, v6
	v_med3_i32 v9, v9, 0, 13
	v_lshrrev_b32_e32 v10, v9, v7
	v_lshlrev_b32_e32 v9, v9, v10
	v_cmp_ne_u32_e32 vcc, v9, v7
	v_cndmask_b32_e64 v7, 0, 1, vcc
	v_add_u32_e32 v8, 0xfffffc10, v8
	v_or_b32_e32 v7, v10, v7
	v_lshl_or_b32 v9, v8, 12, v6
	v_cmp_gt_i32_e32 vcc, 1, v8
	v_cndmask_b32_e32 v7, v9, v7, vcc
	v_and_b32_e32 v9, 7, v7
	v_cmp_lt_i32_e32 vcc, 5, v9
	v_cndmask_b32_e64 v10, 0, 1, vcc
	v_cmp_eq_u32_e32 vcc, 3, v9
	v_cndmask_b32_e64 v9, 0, 1, vcc
	v_or_b32_e32 v9, v9, v10
	v_lshrrev_b32_e32 v7, 2, v7
	v_add_u32_e32 v7, v7, v9
	v_mov_b32_e32 v9, 0x7c00
	v_cmp_gt_i32_e32 vcc, 31, v8
	v_cndmask_b32_e32 v7, v9, v7, vcc
	v_mov_b32_e32 v10, 0x7e00
	v_cmp_ne_u32_e32 vcc, 0, v6
	s_movk_i32 s6, 0x40f
	v_cndmask_b32_e32 v6, v9, v10, vcc
	v_cmp_eq_u32_e32 vcc, s6, v8
	v_and_or_b32 v2, v3, s4, v2
	v_cndmask_b32_e32 v6, v7, v6, vcc
	v_lshrrev_b32_e32 v7, 16, v1
	s_mov_b32 s7, 0x8000
	v_cmp_ne_u32_e32 vcc, 0, v2
	v_and_or_b32 v6, v7, s7, v6
	v_cndmask_b32_e64 v2, 0, 1, vcc
	v_lshrrev_b32_e32 v7, 8, v3
	v_bfe_u32 v8, v3, 20, 11
	v_and_or_b32 v2, v7, s5, v2
	v_sub_u32_e32 v11, 0x3f1, v8
	v_or_b32_e32 v7, 0x1000, v2
	v_med3_i32 v11, v11, 0, 13
	v_lshrrev_b32_e32 v12, v11, v7
	v_lshlrev_b32_e32 v11, v11, v12
	v_cmp_ne_u32_e32 vcc, v11, v7
	v_cndmask_b32_e64 v7, 0, 1, vcc
	v_add_u32_e32 v8, 0xfffffc10, v8
	v_or_b32_e32 v7, v12, v7
	v_lshl_or_b32 v11, v8, 12, v2
	v_cmp_gt_i32_e32 vcc, 1, v8
	v_cndmask_b32_e32 v7, v11, v7, vcc
	v_and_b32_e32 v11, 7, v7
	v_cmp_lt_i32_e32 vcc, 5, v11
	v_cndmask_b32_e64 v12, 0, 1, vcc
	v_cmp_eq_u32_e32 vcc, 3, v11
	v_cndmask_b32_e64 v11, 0, 1, vcc
	v_or_b32_e32 v11, v11, v12
	v_lshrrev_b32_e32 v7, 2, v7
	v_add_u32_e32 v7, v7, v11
	v_cmp_gt_i32_e32 vcc, 31, v8
	v_cndmask_b32_e32 v7, v9, v7, vcc
	v_cmp_ne_u32_e32 vcc, 0, v2
	v_cndmask_b32_e32 v2, v9, v10, vcc
	v_cmp_eq_u32_e32 vcc, s6, v8
	v_cndmask_b32_e32 v2, v7, v2, vcc
	v_lshrrev_b32_e32 v3, 16, v3
	v_and_or_b32 v2, v3, s7, v2
	v_and_b32_e32 v3, 0xffff, v6
	v_lshl_or_b32 v2, v2, 16, v3
	global_store_dword v[4:5], v2, off
.LBB8_2144:
	s_mov_b64 s[4:5], 0
.LBB8_2145:
	s_andn2_b64 vcc, exec, s[4:5]
	s_cbranch_vccnz .LBB8_2154
; %bb.2146:
	s_sext_i32_i16 s6, s14
	s_cmp_lt_i32 s6, 6
	s_mov_b64 s[4:5], -1
	s_cbranch_scc1 .LBB8_2152
; %bb.2147:
	s_cmp_gt_i32 s6, 6
	s_cbranch_scc0 .LBB8_2149
; %bb.2148:
	s_waitcnt vmcnt(0)
	global_store_dwordx2 v[4:5], v[0:1], off
	s_mov_b64 s[4:5], 0
.LBB8_2149:
	s_andn2_b64 vcc, exec, s[4:5]
	s_cbranch_vccnz .LBB8_2151
; %bb.2150:
	s_waitcnt vmcnt(0)
	v_cvt_f32_f64_e32 v2, v[0:1]
	global_store_dword v[4:5], v2, off
.LBB8_2151:
	s_mov_b64 s[4:5], 0
.LBB8_2152:
	s_andn2_b64 vcc, exec, s[4:5]
	s_cbranch_vccnz .LBB8_2154
; %bb.2153:
	s_movk_i32 s4, 0x1ff
	s_waitcnt vmcnt(0)
	v_and_or_b32 v2, v1, s4, v0
	v_cmp_ne_u32_e32 vcc, 0, v2
	v_cndmask_b32_e64 v2, 0, 1, vcc
	v_lshrrev_b32_e32 v3, 8, v1
	s_movk_i32 s4, 0xffe
	v_bfe_u32 v6, v1, 20, 11
	v_and_or_b32 v2, v3, s4, v2
	v_sub_u32_e32 v7, 0x3f1, v6
	v_or_b32_e32 v3, 0x1000, v2
	v_med3_i32 v7, v7, 0, 13
	v_lshrrev_b32_e32 v8, v7, v3
	v_lshlrev_b32_e32 v7, v7, v8
	v_cmp_ne_u32_e32 vcc, v7, v3
	v_cndmask_b32_e64 v3, 0, 1, vcc
	v_add_u32_e32 v6, 0xfffffc10, v6
	v_or_b32_e32 v3, v8, v3
	v_lshl_or_b32 v7, v6, 12, v2
	v_cmp_gt_i32_e32 vcc, 1, v6
	v_cndmask_b32_e32 v3, v7, v3, vcc
	v_and_b32_e32 v7, 7, v3
	v_cmp_lt_i32_e32 vcc, 5, v7
	v_cndmask_b32_e64 v8, 0, 1, vcc
	v_cmp_eq_u32_e32 vcc, 3, v7
	v_cndmask_b32_e64 v7, 0, 1, vcc
	v_or_b32_e32 v7, v7, v8
	v_lshrrev_b32_e32 v3, 2, v3
	v_add_u32_e32 v3, v3, v7
	v_mov_b32_e32 v7, 0x7c00
	v_cmp_gt_i32_e32 vcc, 31, v6
	v_cndmask_b32_e32 v3, v7, v3, vcc
	v_mov_b32_e32 v8, 0x7e00
	v_cmp_ne_u32_e32 vcc, 0, v2
	s_movk_i32 s4, 0x40f
	v_cndmask_b32_e32 v2, v7, v8, vcc
	v_cmp_eq_u32_e32 vcc, s4, v6
	v_cndmask_b32_e32 v2, v3, v2, vcc
	v_lshrrev_b32_e32 v3, 16, v1
	s_mov_b32 s4, 0x8000
	v_and_or_b32 v2, v3, s4, v2
	global_store_short v[4:5], v2, off
.LBB8_2154:
	s_mov_b64 s[4:5], 0
.LBB8_2155:
	s_andn2_b64 vcc, exec, s[4:5]
	s_cbranch_vccnz .LBB8_2171
; %bb.2156:
	s_sext_i32_i16 s6, s14
	s_cmp_lt_i32 s6, 2
	s_mov_b64 s[4:5], -1
	s_cbranch_scc1 .LBB8_2166
; %bb.2157:
	s_cmp_lt_i32 s6, 3
	s_cbranch_scc1 .LBB8_2163
; %bb.2158:
	s_cmp_gt_i32 s6, 3
	s_cbranch_scc0 .LBB8_2160
; %bb.2159:
	s_waitcnt vmcnt(0)
	v_trunc_f64_e32 v[2:3], v[0:1]
	s_movk_i32 s4, 0xffe0
	v_ldexp_f64 v[6:7], v[2:3], s4
	s_mov_b32 s4, 0
	s_mov_b32 s5, 0xc1f00000
	v_floor_f64_e32 v[6:7], v[6:7]
	v_fma_f64 v[2:3], v[6:7], s[4:5], v[2:3]
	v_cvt_i32_f64_e32 v7, v[6:7]
	s_mov_b64 s[4:5], 0
	v_cvt_u32_f64_e32 v6, v[2:3]
	global_store_dwordx2 v[4:5], v[6:7], off
.LBB8_2160:
	s_andn2_b64 vcc, exec, s[4:5]
	s_cbranch_vccnz .LBB8_2162
; %bb.2161:
	s_waitcnt vmcnt(0)
	v_cvt_i32_f64_e32 v2, v[0:1]
	global_store_dword v[4:5], v2, off
.LBB8_2162:
	s_mov_b64 s[4:5], 0
.LBB8_2163:
	s_andn2_b64 vcc, exec, s[4:5]
	s_cbranch_vccnz .LBB8_2165
; %bb.2164:
	s_waitcnt vmcnt(0)
	v_cvt_i32_f64_e32 v2, v[0:1]
	global_store_short v[4:5], v2, off
.LBB8_2165:
	s_mov_b64 s[4:5], 0
.LBB8_2166:
	s_andn2_b64 vcc, exec, s[4:5]
	s_cbranch_vccnz .LBB8_2171
; %bb.2167:
	s_sext_i32_i16 s4, s14
	s_cmp_gt_i32 s4, 0
	s_mov_b64 s[4:5], -1
	s_cbranch_scc0 .LBB8_2169
; %bb.2168:
	s_waitcnt vmcnt(0)
	v_cvt_i32_f64_e32 v2, v[0:1]
	s_mov_b64 s[4:5], 0
	global_store_byte v[4:5], v2, off
.LBB8_2169:
	s_andn2_b64 vcc, exec, s[4:5]
	s_cbranch_vccnz .LBB8_2171
; %bb.2170:
	s_waitcnt vmcnt(0)
	v_trunc_f64_e32 v[0:1], v[0:1]
	s_movk_i32 s4, 0xffe0
	v_ldexp_f64 v[2:3], v[0:1], s4
	s_mov_b32 s4, 0
	s_mov_b32 s5, 0xc1f00000
	v_floor_f64_e32 v[2:3], v[2:3]
	v_fma_f64 v[0:1], v[2:3], s[4:5], v[0:1]
	v_cvt_u32_f64_e32 v0, v[0:1]
	global_store_byte v[4:5], v0, off
	s_endpgm
.LBB8_2171:
	s_endpgm
.LBB8_2172:
	s_mov_b64 s[6:7], 0
	s_mov_b64 s[4:5], -1
	s_branch .LBB8_2128
.LBB8_2173:
	s_andn2_saveexec_b64 s[12:13], s[12:13]
	s_cbranch_execz .LBB8_1722
.LBB8_2174:
	s_mov_b32 s16, 0x46000000
	v_add_f32_e64 v7, |v6|, s16
	v_and_b32_e32 v7, 0xff, v7
	v_cmp_ne_u32_e32 vcc, 0, v7
	s_andn2_b64 s[10:11], s[10:11], exec
	s_and_b64 s[16:17], vcc, exec
	s_or_b64 s[10:11], s[10:11], s[16:17]
	s_or_b64 exec, exec, s[12:13]
	v_mov_b32_e32 v8, 0
	s_and_saveexec_b64 s[12:13], s[10:11]
	s_cbranch_execnz .LBB8_1723
	s_branch .LBB8_1724
.LBB8_2175:
	s_trap 2
	s_or_b64 s[34:35], s[34:35], exec
	s_cbranch_execz .LBB8_1770
	s_branch .LBB8_1771
.LBB8_2176:
	s_andn2_saveexec_b64 s[10:11], s[10:11]
	s_cbranch_execz .LBB8_1735
.LBB8_2177:
	s_mov_b32 s12, 0x42800000
	v_add_f32_e64 v7, |v6|, s12
	v_and_b32_e32 v7, 0xff, v7
	v_cmp_ne_u32_e32 vcc, 0, v7
	s_andn2_b64 s[8:9], s[8:9], exec
	s_and_b64 s[12:13], vcc, exec
	s_or_b64 s[8:9], s[8:9], s[12:13]
	s_or_b64 exec, exec, s[10:11]
	v_mov_b32_e32 v8, 0
	s_and_saveexec_b64 s[10:11], s[8:9]
	s_cbranch_execnz .LBB8_1736
	s_branch .LBB8_1737
.LBB8_2178:
	s_andn2_saveexec_b64 s[12:13], s[12:13]
	s_cbranch_execz .LBB8_1841
.LBB8_2179:
	s_mov_b32 s16, 0x46000000
	v_add_f32_e64 v7, |v6|, s16
	v_and_b32_e32 v7, 0xff, v7
	v_cmp_ne_u32_e32 vcc, 0, v7
	s_andn2_b64 s[10:11], s[10:11], exec
	s_and_b64 s[16:17], vcc, exec
	s_or_b64 s[10:11], s[10:11], s[16:17]
	s_or_b64 exec, exec, s[12:13]
	v_mov_b32_e32 v8, 0
	s_and_saveexec_b64 s[12:13], s[10:11]
	s_cbranch_execnz .LBB8_1842
	s_branch .LBB8_1843
.LBB8_2180:
	s_trap 2
	s_or_b64 s[34:35], s[34:35], exec
	s_cbranch_execz .LBB8_1889
	s_branch .LBB8_1890
.LBB8_2181:
	s_andn2_saveexec_b64 s[10:11], s[10:11]
	s_cbranch_execz .LBB8_1854
.LBB8_2182:
	s_mov_b32 s12, 0x42800000
	v_add_f32_e64 v7, |v6|, s12
	v_and_b32_e32 v7, 0xff, v7
	v_cmp_ne_u32_e32 vcc, 0, v7
	s_andn2_b64 s[8:9], s[8:9], exec
	s_and_b64 s[12:13], vcc, exec
	s_or_b64 s[8:9], s[8:9], s[12:13]
	s_or_b64 exec, exec, s[10:11]
	v_mov_b32_e32 v8, 0
	s_and_saveexec_b64 s[10:11], s[8:9]
	s_cbranch_execnz .LBB8_1855
	s_branch .LBB8_1856
.LBB8_2183:
	s_andn2_saveexec_b64 s[12:13], s[12:13]
	s_cbranch_execz .LBB8_1960
.LBB8_2184:
	s_mov_b32 s16, 0x46000000
	v_add_f32_e64 v7, |v6|, s16
	v_and_b32_e32 v7, 0xff, v7
	v_cmp_ne_u32_e32 vcc, 0, v7
	s_andn2_b64 s[10:11], s[10:11], exec
	s_and_b64 s[16:17], vcc, exec
	s_or_b64 s[10:11], s[10:11], s[16:17]
	s_or_b64 exec, exec, s[12:13]
	v_mov_b32_e32 v8, 0
	s_and_saveexec_b64 s[12:13], s[10:11]
	s_cbranch_execnz .LBB8_1961
	s_branch .LBB8_1962
.LBB8_2185:
	s_trap 2
	s_or_b64 s[34:35], s[34:35], exec
	s_cbranch_execz .LBB8_2008
	s_branch .LBB8_2009
.LBB8_2186:
	s_andn2_saveexec_b64 s[10:11], s[10:11]
	s_cbranch_execz .LBB8_1973
.LBB8_2187:
	s_mov_b32 s12, 0x42800000
	v_add_f32_e64 v7, |v6|, s12
	v_and_b32_e32 v7, 0xff, v7
	v_cmp_ne_u32_e32 vcc, 0, v7
	s_andn2_b64 s[8:9], s[8:9], exec
	s_and_b64 s[12:13], vcc, exec
	s_or_b64 s[8:9], s[8:9], s[12:13]
	s_or_b64 exec, exec, s[10:11]
	v_mov_b32_e32 v8, 0
	s_and_saveexec_b64 s[10:11], s[8:9]
	s_cbranch_execnz .LBB8_1974
	s_branch .LBB8_1975
.LBB8_2188:
	s_andn2_saveexec_b64 s[12:13], s[12:13]
	s_cbranch_execz .LBB8_2080
.LBB8_2189:
	s_mov_b32 s16, 0x46000000
	v_add_f32_e64 v7, |v6|, s16
	v_and_b32_e32 v7, 0xff, v7
	v_cmp_ne_u32_e32 vcc, 0, v7
	s_andn2_b64 s[10:11], s[10:11], exec
	s_and_b64 s[16:17], vcc, exec
	s_or_b64 s[10:11], s[10:11], s[16:17]
	s_or_b64 exec, exec, s[12:13]
	v_mov_b32_e32 v8, 0
	s_and_saveexec_b64 s[12:13], s[10:11]
	s_cbranch_execnz .LBB8_2081
	s_branch .LBB8_2082
.LBB8_2190:
	s_mov_b64 s[6:7], 0
	s_or_b64 s[34:35], s[34:35], exec
	s_trap 2
	s_branch .LBB8_2126
.LBB8_2191:
	s_andn2_saveexec_b64 s[10:11], s[10:11]
	s_cbranch_execz .LBB8_2092
.LBB8_2192:
	s_mov_b32 s12, 0x42800000
	v_add_f32_e64 v7, |v6|, s12
	v_and_b32_e32 v7, 0xff, v7
	v_cmp_ne_u32_e32 vcc, 0, v7
	s_andn2_b64 s[8:9], s[8:9], exec
	s_and_b64 s[12:13], vcc, exec
	s_or_b64 s[8:9], s[8:9], s[12:13]
	s_or_b64 exec, exec, s[10:11]
	v_mov_b32_e32 v8, 0
	s_and_saveexec_b64 s[10:11], s[8:9]
	s_cbranch_execnz .LBB8_2093
	s_branch .LBB8_2094
	.section	.rodata,"a",@progbits
	.p2align	6, 0x0
	.amdhsa_kernel _ZN2at6native32elementwise_kernel_manual_unrollILi128ELi4EZNS0_15gpu_kernel_implIZZZNS0_16asin_kernel_cudaERNS_18TensorIteratorBaseEENKUlvE_clEvENKUlvE_clEvEUlN3c107complexIdEEE_EEvS4_RKT_EUlibE0_EEviT1_
		.amdhsa_group_segment_fixed_size 0
		.amdhsa_private_segment_fixed_size 12
		.amdhsa_kernarg_size 360
		.amdhsa_user_sgpr_count 8
		.amdhsa_user_sgpr_private_segment_buffer 1
		.amdhsa_user_sgpr_dispatch_ptr 0
		.amdhsa_user_sgpr_queue_ptr 0
		.amdhsa_user_sgpr_kernarg_segment_ptr 1
		.amdhsa_user_sgpr_dispatch_id 0
		.amdhsa_user_sgpr_flat_scratch_init 1
		.amdhsa_user_sgpr_private_segment_size 0
		.amdhsa_uses_dynamic_stack 0
		.amdhsa_system_sgpr_private_segment_wavefront_offset 1
		.amdhsa_system_sgpr_workgroup_id_x 1
		.amdhsa_system_sgpr_workgroup_id_y 0
		.amdhsa_system_sgpr_workgroup_id_z 0
		.amdhsa_system_sgpr_workgroup_info 0
		.amdhsa_system_vgpr_workitem_id 0
		.amdhsa_next_free_vgpr 63
		.amdhsa_next_free_sgpr 87
		.amdhsa_reserve_vcc 1
		.amdhsa_reserve_flat_scratch 1
		.amdhsa_float_round_mode_32 0
		.amdhsa_float_round_mode_16_64 0
		.amdhsa_float_denorm_mode_32 3
		.amdhsa_float_denorm_mode_16_64 3
		.amdhsa_dx10_clamp 1
		.amdhsa_ieee_mode 1
		.amdhsa_fp16_overflow 0
		.amdhsa_exception_fp_ieee_invalid_op 0
		.amdhsa_exception_fp_denorm_src 0
		.amdhsa_exception_fp_ieee_div_zero 0
		.amdhsa_exception_fp_ieee_overflow 0
		.amdhsa_exception_fp_ieee_underflow 0
		.amdhsa_exception_fp_ieee_inexact 0
		.amdhsa_exception_int_div_zero 0
	.end_amdhsa_kernel
	.section	.text._ZN2at6native32elementwise_kernel_manual_unrollILi128ELi4EZNS0_15gpu_kernel_implIZZZNS0_16asin_kernel_cudaERNS_18TensorIteratorBaseEENKUlvE_clEvENKUlvE_clEvEUlN3c107complexIdEEE_EEvS4_RKT_EUlibE0_EEviT1_,"axG",@progbits,_ZN2at6native32elementwise_kernel_manual_unrollILi128ELi4EZNS0_15gpu_kernel_implIZZZNS0_16asin_kernel_cudaERNS_18TensorIteratorBaseEENKUlvE_clEvENKUlvE_clEvEUlN3c107complexIdEEE_EEvS4_RKT_EUlibE0_EEviT1_,comdat
.Lfunc_end8:
	.size	_ZN2at6native32elementwise_kernel_manual_unrollILi128ELi4EZNS0_15gpu_kernel_implIZZZNS0_16asin_kernel_cudaERNS_18TensorIteratorBaseEENKUlvE_clEvENKUlvE_clEvEUlN3c107complexIdEEE_EEvS4_RKT_EUlibE0_EEviT1_, .Lfunc_end8-_ZN2at6native32elementwise_kernel_manual_unrollILi128ELi4EZNS0_15gpu_kernel_implIZZZNS0_16asin_kernel_cudaERNS_18TensorIteratorBaseEENKUlvE_clEvENKUlvE_clEvEUlN3c107complexIdEEE_EEvS4_RKT_EUlibE0_EEviT1_
                                        ; -- End function
	.set _ZN2at6native32elementwise_kernel_manual_unrollILi128ELi4EZNS0_15gpu_kernel_implIZZZNS0_16asin_kernel_cudaERNS_18TensorIteratorBaseEENKUlvE_clEvENKUlvE_clEvEUlN3c107complexIdEEE_EEvS4_RKT_EUlibE0_EEviT1_.num_vgpr, max(63, .L_ZZZZN2at6native16asin_kernel_cudaERNS_18TensorIteratorBaseEENKUlvE_clEvENKUlvE_clEvENKUlN3c107complexIdEEE_clES7_.num_vgpr)
	.set _ZN2at6native32elementwise_kernel_manual_unrollILi128ELi4EZNS0_15gpu_kernel_implIZZZNS0_16asin_kernel_cudaERNS_18TensorIteratorBaseEENKUlvE_clEvENKUlvE_clEvEUlN3c107complexIdEEE_EEvS4_RKT_EUlibE0_EEviT1_.num_agpr, max(0, .L_ZZZZN2at6native16asin_kernel_cudaERNS_18TensorIteratorBaseEENKUlvE_clEvENKUlvE_clEvENKUlN3c107complexIdEEE_clES7_.num_agpr)
	.set _ZN2at6native32elementwise_kernel_manual_unrollILi128ELi4EZNS0_15gpu_kernel_implIZZZNS0_16asin_kernel_cudaERNS_18TensorIteratorBaseEENKUlvE_clEvENKUlvE_clEvEUlN3c107complexIdEEE_EEvS4_RKT_EUlibE0_EEviT1_.numbered_sgpr, max(87, .L_ZZZZN2at6native16asin_kernel_cudaERNS_18TensorIteratorBaseEENKUlvE_clEvENKUlvE_clEvENKUlN3c107complexIdEEE_clES7_.numbered_sgpr)
	.set _ZN2at6native32elementwise_kernel_manual_unrollILi128ELi4EZNS0_15gpu_kernel_implIZZZNS0_16asin_kernel_cudaERNS_18TensorIteratorBaseEENKUlvE_clEvENKUlvE_clEvEUlN3c107complexIdEEE_EEvS4_RKT_EUlibE0_EEviT1_.num_named_barrier, max(0, .L_ZZZZN2at6native16asin_kernel_cudaERNS_18TensorIteratorBaseEENKUlvE_clEvENKUlvE_clEvENKUlN3c107complexIdEEE_clES7_.num_named_barrier)
	.set _ZN2at6native32elementwise_kernel_manual_unrollILi128ELi4EZNS0_15gpu_kernel_implIZZZNS0_16asin_kernel_cudaERNS_18TensorIteratorBaseEENKUlvE_clEvENKUlvE_clEvEUlN3c107complexIdEEE_EEvS4_RKT_EUlibE0_EEviT1_.private_seg_size, 0+max(.L_ZZZZN2at6native16asin_kernel_cudaERNS_18TensorIteratorBaseEENKUlvE_clEvENKUlvE_clEvENKUlN3c107complexIdEEE_clES7_.private_seg_size)
	.set _ZN2at6native32elementwise_kernel_manual_unrollILi128ELi4EZNS0_15gpu_kernel_implIZZZNS0_16asin_kernel_cudaERNS_18TensorIteratorBaseEENKUlvE_clEvENKUlvE_clEvEUlN3c107complexIdEEE_EEvS4_RKT_EUlibE0_EEviT1_.uses_vcc, or(1, .L_ZZZZN2at6native16asin_kernel_cudaERNS_18TensorIteratorBaseEENKUlvE_clEvENKUlvE_clEvENKUlN3c107complexIdEEE_clES7_.uses_vcc)
	.set _ZN2at6native32elementwise_kernel_manual_unrollILi128ELi4EZNS0_15gpu_kernel_implIZZZNS0_16asin_kernel_cudaERNS_18TensorIteratorBaseEENKUlvE_clEvENKUlvE_clEvEUlN3c107complexIdEEE_EEvS4_RKT_EUlibE0_EEviT1_.uses_flat_scratch, or(1, .L_ZZZZN2at6native16asin_kernel_cudaERNS_18TensorIteratorBaseEENKUlvE_clEvENKUlvE_clEvENKUlN3c107complexIdEEE_clES7_.uses_flat_scratch)
	.set _ZN2at6native32elementwise_kernel_manual_unrollILi128ELi4EZNS0_15gpu_kernel_implIZZZNS0_16asin_kernel_cudaERNS_18TensorIteratorBaseEENKUlvE_clEvENKUlvE_clEvEUlN3c107complexIdEEE_EEvS4_RKT_EUlibE0_EEviT1_.has_dyn_sized_stack, or(0, .L_ZZZZN2at6native16asin_kernel_cudaERNS_18TensorIteratorBaseEENKUlvE_clEvENKUlvE_clEvENKUlN3c107complexIdEEE_clES7_.has_dyn_sized_stack)
	.set _ZN2at6native32elementwise_kernel_manual_unrollILi128ELi4EZNS0_15gpu_kernel_implIZZZNS0_16asin_kernel_cudaERNS_18TensorIteratorBaseEENKUlvE_clEvENKUlvE_clEvEUlN3c107complexIdEEE_EEvS4_RKT_EUlibE0_EEviT1_.has_recursion, or(0, .L_ZZZZN2at6native16asin_kernel_cudaERNS_18TensorIteratorBaseEENKUlvE_clEvENKUlvE_clEvENKUlN3c107complexIdEEE_clES7_.has_recursion)
	.set _ZN2at6native32elementwise_kernel_manual_unrollILi128ELi4EZNS0_15gpu_kernel_implIZZZNS0_16asin_kernel_cudaERNS_18TensorIteratorBaseEENKUlvE_clEvENKUlvE_clEvEUlN3c107complexIdEEE_EEvS4_RKT_EUlibE0_EEviT1_.has_indirect_call, or(0, .L_ZZZZN2at6native16asin_kernel_cudaERNS_18TensorIteratorBaseEENKUlvE_clEvENKUlvE_clEvENKUlN3c107complexIdEEE_clES7_.has_indirect_call)
	.section	.AMDGPU.csdata,"",@progbits
; Kernel info:
; codeLenInByte = 43720
; TotalNumSgprs: 93
; NumVgprs: 63
; ScratchSize: 12
; MemoryBound: 1
; FloatMode: 240
; IeeeMode: 1
; LDSByteSize: 0 bytes/workgroup (compile time only)
; SGPRBlocks: 11
; VGPRBlocks: 15
; NumSGPRsForWavesPerEU: 93
; NumVGPRsForWavesPerEU: 63
; Occupancy: 4
; WaveLimiterHint : 1
; COMPUTE_PGM_RSRC2:SCRATCH_EN: 1
; COMPUTE_PGM_RSRC2:USER_SGPR: 8
; COMPUTE_PGM_RSRC2:TRAP_HANDLER: 0
; COMPUTE_PGM_RSRC2:TGID_X_EN: 1
; COMPUTE_PGM_RSRC2:TGID_Y_EN: 0
; COMPUTE_PGM_RSRC2:TGID_Z_EN: 0
; COMPUTE_PGM_RSRC2:TIDIG_COMP_CNT: 0
	.text
	.p2align	2                               ; -- Begin function _ZN3c104guts5applyIRZZZN2at6native16asin_kernel_cudaERNS2_18TensorIteratorBaseEENKUlvE_clEvENKUlvE0_clEvEUlNS_7complexIfEEE_RSt5tupleIJS9_EEEEDaOT_OT0_
	.type	_ZN3c104guts5applyIRZZZN2at6native16asin_kernel_cudaERNS2_18TensorIteratorBaseEENKUlvE_clEvENKUlvE0_clEvEUlNS_7complexIfEEE_RSt5tupleIJS9_EEEEDaOT_OT0_,@function
_ZN3c104guts5applyIRZZZN2at6native16asin_kernel_cudaERNS2_18TensorIteratorBaseEENKUlvE_clEvENKUlvE0_clEvEUlNS_7complexIfEEE_RSt5tupleIJS9_EEEEDaOT_OT0_: ; @_ZN3c104guts5applyIRZZZN2at6native16asin_kernel_cudaERNS2_18TensorIteratorBaseEENKUlvE_clEvENKUlvE0_clEvEUlNS_7complexIfEEE_RSt5tupleIJS9_EEEEDaOT_OT0_
; %bb.0:
	s_waitcnt vmcnt(0) expcnt(0) lgkmcnt(0)
	v_cmp_o_f32_e32 vcc, v1, v0
	s_and_saveexec_b64 s[4:5], vcc
	s_xor_b64 s[8:9], exec, s[4:5]
	s_cbranch_execnz .LBB9_3
; %bb.1:
	s_andn2_saveexec_b64 s[4:5], s[8:9]
	s_cbranch_execnz .LBB9_86
.LBB9_2:
	s_or_b64 exec, exec, s[4:5]
	s_waitcnt lgkmcnt(0)
	s_setpc_b64 s[30:31]
.LBB9_3:
	v_max_f32_e64 v5, |v1|, |v1|
	v_max_f32_e64 v2, |v0|, |v0|
	v_max_f32_e32 v4, v2, v5
	s_mov_b32 s4, 0x4b000000
	v_cmp_nlt_f32_e32 vcc, s4, v4
	s_and_saveexec_b64 s[4:5], vcc
	s_xor_b64 s[6:7], exec, s[4:5]
	s_cbranch_execz .LBB9_63
; %bb.4:
	v_cmp_neq_f32_e32 vcc, 0, v1
	v_cmp_neq_f32_e64 s[4:5], 0, v0
	s_or_b64 s[4:5], vcc, s[4:5]
	s_and_saveexec_b64 s[10:11], s[4:5]
	s_cbranch_execz .LBB9_62
; %bb.5:
	s_mov_b64 s[4:5], src_private_base
	s_lshr_b32 s4, s32, 6
	v_mov_b32_e32 v2, s4
	v_mov_b32_e32 v4, 0xd800000
	;; [unrolled: 1-line block ×3, first 2 shown]
	flat_store_dword v[2:3], v4
	s_waitcnt vmcnt(0)
	flat_load_dword v2, v[2:3] glc
	s_waitcnt vmcnt(0)
	s_lshr_b32 s4, s32, 6
	s_add_i32 s4, s4, 4
	s_mov_b32 s12, 0x395db3d7
	s_waitcnt lgkmcnt(0)
	v_add_f32_e32 v4, 1.0, v2
	v_mov_b32_e32 v2, s4
	v_mov_b32_e32 v3, s5
	flat_store_dword v[2:3], v4
	s_waitcnt vmcnt(0)
	flat_load_dword v2, v[2:3] glc
	s_waitcnt vmcnt(0)
	v_cmp_nlt_f32_e64 s[4:5], |v1|, s12
	v_cmp_nlt_f32_e64 s[12:13], |v0|, s12
	s_or_b64 s[4:5], s[12:13], s[4:5]
	s_and_saveexec_b64 s[12:13], s[4:5]
	s_cbranch_execz .LBB9_61
; %bb.6:
	v_add_f32_e64 v4, |v0|, 1.0
	s_waitcnt lgkmcnt(0)
	v_max_f32_e32 v2, v5, v4
	v_add_f32_e64 v3, |v0|, -1.0
	v_cvt_f64_f32_e32 v[6:7], v2
	v_max_f32_e64 v5, v5, |v3|
	v_cvt_f64_f32_e32 v[8:9], v5
	s_mov_b32 s16, 0x7f800000
	v_frexp_exp_i32_f64_e32 v6, v[6:7]
	v_cmp_neq_f32_e32 vcc, s16, v2
	v_frexp_exp_i32_f64_e32 v8, v[8:9]
	v_mov_b32_e32 v9, 0x7f800000
	s_mov_b32 s4, 0x41200000
	v_sub_u32_e32 v7, 0, v6
	v_ldexp_f32 v11, |v1|, v7
	v_sub_u32_e32 v10, 0, v8
	v_ldexp_f32 v7, v4, v7
	v_ldexp_f32 v12, |v1|, v10
	v_ldexp_f32 v10, |v3|, v10
	v_mul_f32_e32 v7, v7, v7
	v_fmac_f32_e32 v7, v11, v11
	v_mul_f32_e32 v10, v10, v10
	v_sqrt_f32_e32 v7, v7
	v_fmac_f32_e32 v10, v12, v12
	v_sqrt_f32_e32 v10, v10
	v_ldexp_f32 v6, v7, v6
	v_cndmask_b32_e32 v7, v9, v6, vcc
	v_ldexp_f32 v2, v10, v8
	v_cmp_neq_f32_e32 vcc, s16, v5
	v_cndmask_b32_e32 v5, v9, v2, vcc
	v_add_f32_e32 v2, v7, v5
	v_mul_f32_e32 v2, 0.5, v2
	v_cmp_ngt_f32_e32 vcc, 1.0, v2
	v_cndmask_b32_e32 v2, 1.0, v2, vcc
	v_cmp_ngt_f32_e32 vcc, s4, v2
                                        ; implicit-def: $vgpr8
	s_and_saveexec_b64 s[4:5], vcc
	s_xor_b64 s[14:15], exec, s[4:5]
	s_cbranch_execz .LBB9_8
; %bb.7:
	v_fma_f32 v6, v2, v2, -1.0
	s_mov_b32 s4, 0xf800000
	v_mul_f32_e32 v8, 0x4f800000, v6
	v_cmp_gt_f32_e32 vcc, s4, v6
	v_cndmask_b32_e32 v6, v6, v8, vcc
	v_sqrt_f32_e32 v8, v6
	v_add_u32_e32 v9, -1, v8
	v_fma_f32 v10, -v9, v8, v6
	v_cmp_ge_f32_e64 s[4:5], 0, v10
	v_add_u32_e32 v10, 1, v8
	v_cndmask_b32_e64 v9, v8, v9, s[4:5]
	v_fma_f32 v8, -v10, v8, v6
	v_cmp_lt_f32_e64 s[4:5], 0, v8
	v_cndmask_b32_e64 v8, v9, v10, s[4:5]
	v_mul_f32_e32 v9, 0x37800000, v8
	v_cndmask_b32_e32 v8, v8, v9, vcc
	v_mov_b32_e32 v9, 0x260
	v_cmp_class_f32_e32 vcc, v6, v9
	v_cndmask_b32_e32 v6, v8, v6, vcc
	v_add_f32_e32 v6, v2, v6
	s_mov_b32 s4, 0x800000
	v_cmp_gt_f32_e32 vcc, s4, v6
	v_cndmask_b32_e64 v8, 0, 32, vcc
	v_ldexp_f32 v6, v6, v8
	v_log_f32_e32 v6, v6
	s_mov_b32 s4, 0x3f317217
	v_mul_f32_e32 v8, 0x3f317217, v6
	v_fma_f32 v8, v6, s4, -v8
	v_fmac_f32_e32 v8, 0x3377d1cf, v6
	v_fmac_f32_e32 v8, 0x3f317217, v6
	v_cmp_lt_f32_e64 s[4:5], |v6|, s16
	v_cndmask_b32_e64 v6, v6, v8, s[4:5]
	v_mov_b32_e32 v8, 0x41b17218
	v_cndmask_b32_e32 v8, 0, v8, vcc
	v_sub_f32_e32 v8, v6, v8
.LBB9_8:
	s_or_saveexec_b64 s[14:15], s[14:15]
	v_and_b32_e32 v6, 0x7fffffff, v1
	s_xor_b64 exec, exec, s[14:15]
	s_cbranch_execz .LBB9_30
; %bb.9:
	s_mov_b32 s16, 0x25000000
	v_cmp_neq_f32_e64 s[4:5], |v0|, 1.0
	v_cmp_nlt_f32_e64 s[16:17], |v1|, s16
	s_or_b64 s[4:5], s[4:5], s[16:17]
                                        ; implicit-def: $vgpr8
	s_and_saveexec_b64 s[16:17], s[4:5]
	s_xor_b64 s[16:17], exec, s[16:17]
	s_cbranch_execz .LBB9_27
; %bb.10:
	s_brev_b32 s4, 44
	v_mul_f32_e64 v8, |v3|, s4
	v_cmp_ge_f32_e64 s[4:5], |v1|, v8
                                        ; implicit-def: $vgpr8
	s_and_saveexec_b64 s[18:19], s[4:5]
	s_xor_b64 s[18:19], exec, s[18:19]
	s_cbranch_execz .LBB9_20
; %bb.11:
	v_cmp_neq_f32_e32 vcc, 0, v4
	v_mov_b32_e32 v8, v6
	s_and_saveexec_b64 s[4:5], vcc
	s_cbranch_execz .LBB9_13
; %bb.12:
	v_mul_f32_e32 v8, v1, v1
	v_add_f32_e32 v9, v4, v7
	v_div_scale_f32 v10, s[20:21], v9, v9, v8
	v_div_scale_f32 v11, vcc, v8, v9, v8
	v_rcp_f32_e32 v12, v10
	v_fma_f32 v13, -v10, v12, 1.0
	v_fmac_f32_e32 v12, v13, v12
	v_mul_f32_e32 v13, v11, v12
	v_fma_f32 v14, -v10, v13, v11
	v_fmac_f32_e32 v13, v14, v12
	v_fma_f32 v10, -v10, v13, v11
	v_div_fmas_f32 v10, v10, v12, v13
	v_div_fixup_f32 v8, v10, v9, v8
.LBB9_13:
	s_or_b64 exec, exec, s[4:5]
	v_sub_f32_e64 v10, 1.0, |v0|
	v_cmp_ngt_f32_e32 vcc, 0, v10
                                        ; implicit-def: $vgpr9
	s_and_saveexec_b64 s[4:5], vcc
	s_xor_b64 s[4:5], exec, s[4:5]
	s_cbranch_execz .LBB9_17
; %bb.14:
	v_cmp_neq_f32_e32 vcc, 0, v10
	v_mov_b32_e32 v9, v6
	s_and_saveexec_b64 s[20:21], vcc
	s_cbranch_execz .LBB9_16
; %bb.15:
	v_mul_f32_e32 v9, v1, v1
	v_add_f32_e32 v10, v10, v5
	v_div_scale_f32 v11, s[22:23], v10, v10, v9
	v_div_scale_f32 v12, vcc, v9, v10, v9
	v_rcp_f32_e32 v13, v11
	v_fma_f32 v14, -v11, v13, 1.0
	v_fmac_f32_e32 v13, v14, v13
	v_mul_f32_e32 v14, v12, v13
	v_fma_f32 v15, -v11, v14, v12
	v_fmac_f32_e32 v14, v15, v13
	v_fma_f32 v11, -v11, v14, v12
	v_div_fmas_f32 v11, v11, v13, v14
	v_div_fixup_f32 v9, v11, v10, v9
.LBB9_16:
	s_or_b64 exec, exec, s[20:21]
                                        ; implicit-def: $vgpr10
.LBB9_17:
	s_andn2_saveexec_b64 s[4:5], s[4:5]
; %bb.18:
	v_sub_f32_e32 v9, v5, v10
; %bb.19:
	s_or_b64 exec, exec, s[4:5]
	v_mul_f32_e32 v9, 0.5, v9
	v_fmac_f32_e32 v9, 0.5, v8
	v_add_f32_e32 v8, 1.0, v2
	v_mul_f32_e32 v8, v8, v9
	s_mov_b32 s4, 0xf800000
	v_mul_f32_e32 v10, 0x4f800000, v8
	v_cmp_gt_f32_e32 vcc, s4, v8
	v_cndmask_b32_e32 v8, v8, v10, vcc
	v_sqrt_f32_e32 v10, v8
	v_add_u32_e32 v11, -1, v10
	v_fma_f32 v12, -v11, v10, v8
	v_cmp_ge_f32_e64 s[4:5], 0, v12
	v_add_u32_e32 v12, 1, v10
	v_cndmask_b32_e64 v11, v10, v11, s[4:5]
	v_fma_f32 v10, -v12, v10, v8
	v_cmp_lt_f32_e64 s[4:5], 0, v10
	v_cndmask_b32_e64 v10, v11, v12, s[4:5]
	v_mul_f32_e32 v11, 0x37800000, v10
	v_cndmask_b32_e32 v10, v10, v11, vcc
	v_mov_b32_e32 v11, 0x260
	v_cmp_class_f32_e32 vcc, v8, v11
	v_cndmask_b32_e32 v8, v10, v8, vcc
	v_add_f32_e32 v10, v9, v8
	v_add_f32_e32 v11, 1.0, v10
	v_cvt_f64_f32_e32 v[8:9], v11
	v_add_f32_e32 v12, -1.0, v11
	v_sub_f32_e32 v13, v12, v11
	v_sub_f32_e32 v12, v10, v12
	v_frexp_exp_i32_f64_e32 v8, v[8:9]
	v_add_f32_e32 v9, 1.0, v13
	v_add_f32_e32 v9, v12, v9
	v_frexp_mant_f32_e32 v12, v11
	s_mov_b32 s4, 0x3f2aaaab
	v_cmp_gt_f32_e32 vcc, s4, v12
	s_mov_b32 s4, 0x3f317218
	v_subbrev_co_u32_e32 v8, vcc, 0, v8, vcc
	v_sub_u32_e32 v12, 0, v8
	v_ldexp_f32 v11, v11, v12
	v_ldexp_f32 v9, v9, v12
	v_add_f32_e32 v12, -1.0, v11
	v_add_f32_e32 v15, 1.0, v11
	v_add_f32_e32 v13, 1.0, v12
	v_add_f32_e32 v16, -1.0, v15
	v_sub_f32_e32 v13, v11, v13
	v_sub_f32_e32 v11, v11, v16
	v_add_f32_e32 v13, v9, v13
	v_add_f32_e32 v9, v9, v11
	v_add_f32_e32 v11, v15, v9
	v_rcp_f32_e32 v16, v11
	v_add_f32_e32 v14, v12, v13
	v_sub_f32_e32 v12, v14, v12
	v_sub_f32_e32 v12, v13, v12
	;; [unrolled: 1-line block ×4, first 2 shown]
	v_mul_f32_e32 v13, v14, v16
	v_mul_f32_e32 v15, v11, v13
	v_fma_f32 v17, v13, v11, -v15
	v_fmac_f32_e32 v17, v13, v9
	v_add_f32_e32 v18, v15, v17
	v_sub_f32_e32 v19, v14, v18
	v_sub_f32_e32 v14, v14, v19
	;; [unrolled: 1-line block ×4, first 2 shown]
	v_add_f32_e32 v12, v12, v14
	v_sub_f32_e32 v14, v15, v17
	v_add_f32_e32 v12, v14, v12
	v_add_f32_e32 v14, v19, v12
	v_mul_f32_e32 v15, v16, v14
	v_mul_f32_e32 v17, v11, v15
	v_fma_f32 v11, v15, v11, -v17
	v_fmac_f32_e32 v11, v15, v9
	v_sub_f32_e32 v9, v19, v14
	v_add_f32_e32 v9, v12, v9
	v_add_f32_e32 v12, v17, v11
	v_sub_f32_e32 v18, v14, v12
	v_sub_f32_e32 v14, v14, v18
	;; [unrolled: 1-line block ×4, first 2 shown]
	v_add_f32_e32 v9, v9, v12
	v_sub_f32_e32 v11, v17, v11
	v_add_f32_e32 v9, v11, v9
	v_add_f32_e32 v11, v13, v15
	;; [unrolled: 1-line block ×3, first 2 shown]
	v_sub_f32_e32 v12, v11, v13
	v_mul_f32_e32 v9, v16, v9
	v_sub_f32_e32 v12, v15, v12
	v_add_f32_e32 v9, v12, v9
	v_cvt_f32_i32_e32 v8, v8
	v_add_f32_e32 v12, v11, v9
	v_mul_f32_e32 v13, v12, v12
	v_mov_b32_e32 v14, 0x3ecc95a3
	v_fmac_f32_e32 v14, 0x3e9b6dac, v13
	v_mov_b32_e32 v15, 0x3f2aaada
	v_fmac_f32_e32 v15, v13, v14
	v_mul_f32_e32 v14, 0x3f317218, v8
	v_fma_f32 v16, v8, s4, -v14
	v_fmac_f32_e32 v16, 0xb102e308, v8
	v_sub_f32_e32 v8, v12, v11
	v_sub_f32_e32 v8, v9, v8
	v_add_f32_e32 v9, v14, v16
	v_sub_f32_e32 v11, v9, v14
	v_ldexp_f32 v14, v12, 1
	v_mul_f32_e32 v12, v12, v13
	v_mul_f32_e32 v12, v12, v15
	v_add_f32_e32 v13, v14, v12
	v_sub_f32_e32 v14, v13, v14
	v_ldexp_f32 v8, v8, 1
	v_sub_f32_e32 v12, v12, v14
	v_add_f32_e32 v8, v8, v12
	v_add_f32_e32 v12, v13, v8
	v_sub_f32_e32 v13, v12, v13
	v_sub_f32_e32 v8, v8, v13
	v_add_f32_e32 v13, v9, v12
	v_sub_f32_e32 v14, v13, v9
	v_sub_f32_e32 v15, v13, v14
	;; [unrolled: 1-line block ×5, first 2 shown]
	v_add_f32_e32 v9, v12, v9
	v_add_f32_e32 v12, v11, v8
	v_sub_f32_e32 v14, v12, v11
	v_sub_f32_e32 v15, v12, v14
	;; [unrolled: 1-line block ×4, first 2 shown]
	v_add_f32_e32 v9, v12, v9
	v_add_f32_e32 v8, v8, v11
	;; [unrolled: 1-line block ×3, first 2 shown]
	v_sub_f32_e32 v12, v11, v13
	v_sub_f32_e32 v9, v9, v12
	v_add_f32_e32 v8, v8, v9
	s_mov_b32 s4, 0x7f800000
	v_add_f32_e32 v8, v11, v8
	v_mov_b32_e32 v9, 0x7f800000
	v_cmp_neq_f32_e32 vcc, s4, v10
	v_cndmask_b32_e32 v8, v9, v8, vcc
	v_mov_b32_e32 v9, 0x7fc00000
	v_cmp_ngt_f32_e32 vcc, -1.0, v10
	v_cndmask_b32_e32 v8, v9, v8, vcc
	v_mov_b32_e32 v9, 0xff800000
	v_cmp_neq_f32_e32 vcc, -1.0, v10
	s_mov_b32 s4, 0x33800000
	v_cndmask_b32_e32 v8, v9, v8, vcc
	v_cmp_lt_f32_e64 vcc, |v10|, s4
	v_cndmask_b32_e32 v8, v8, v10, vcc
.LBB9_20:
	s_andn2_saveexec_b64 s[18:19], s[18:19]
	s_cbranch_execz .LBB9_26
; %bb.21:
	v_cmp_nlt_f32_e64 s[4:5], |v0|, 1.0
                                        ; implicit-def: $vgpr8
	s_and_saveexec_b64 s[20:21], s[4:5]
	s_xor_b64 s[20:21], exec, s[20:21]
	s_cbranch_execz .LBB9_23
; %bb.22:
	v_mul_f32_e32 v8, v3, v4
	s_mov_b32 s4, 0xf800000
	v_mul_f32_e32 v9, 0x4f800000, v8
	v_cmp_gt_f32_e32 vcc, s4, v8
	v_cndmask_b32_e32 v8, v8, v9, vcc
	v_sqrt_f32_e32 v9, v8
	v_add_u32_e32 v10, -1, v9
	v_fma_f32 v11, -v10, v9, v8
	v_cmp_ge_f32_e64 s[4:5], 0, v11
	v_add_u32_e32 v11, 1, v9
	v_cndmask_b32_e64 v10, v9, v10, s[4:5]
	v_fma_f32 v9, -v11, v9, v8
	v_cmp_lt_f32_e64 s[4:5], 0, v9
	v_cndmask_b32_e64 v9, v10, v11, s[4:5]
	v_mul_f32_e32 v10, 0x37800000, v9
	v_cndmask_b32_e32 v9, v9, v10, vcc
	v_mov_b32_e32 v10, 0x260
	v_cmp_class_f32_e32 vcc, v8, v10
	v_cndmask_b32_e32 v8, v9, v8, vcc
	v_add_f32_e32 v10, v3, v8
	v_add_f32_e32 v11, 1.0, v10
	v_cvt_f64_f32_e32 v[8:9], v11
	v_add_f32_e32 v12, -1.0, v11
	v_sub_f32_e32 v13, v12, v11
	v_sub_f32_e32 v12, v10, v12
	v_frexp_exp_i32_f64_e32 v8, v[8:9]
	v_add_f32_e32 v9, 1.0, v13
	v_add_f32_e32 v9, v12, v9
	v_frexp_mant_f32_e32 v12, v11
	s_mov_b32 s4, 0x3f2aaaab
	v_cmp_gt_f32_e32 vcc, s4, v12
	s_mov_b32 s4, 0x3f317218
	v_subbrev_co_u32_e32 v8, vcc, 0, v8, vcc
	v_sub_u32_e32 v12, 0, v8
	v_ldexp_f32 v11, v11, v12
	v_ldexp_f32 v9, v9, v12
	v_add_f32_e32 v12, -1.0, v11
	v_add_f32_e32 v15, 1.0, v11
	v_add_f32_e32 v13, 1.0, v12
	v_add_f32_e32 v16, -1.0, v15
	v_sub_f32_e32 v13, v11, v13
	v_sub_f32_e32 v11, v11, v16
	v_add_f32_e32 v13, v9, v13
	v_add_f32_e32 v9, v9, v11
	;; [unrolled: 1-line block ×3, first 2 shown]
	v_rcp_f32_e32 v16, v11
	v_add_f32_e32 v14, v12, v13
	v_sub_f32_e32 v12, v14, v12
	v_sub_f32_e32 v12, v13, v12
	;; [unrolled: 1-line block ×4, first 2 shown]
	v_mul_f32_e32 v13, v14, v16
	v_mul_f32_e32 v15, v11, v13
	v_fma_f32 v17, v13, v11, -v15
	v_fmac_f32_e32 v17, v13, v9
	v_add_f32_e32 v18, v15, v17
	v_sub_f32_e32 v19, v14, v18
	v_sub_f32_e32 v14, v14, v19
	v_sub_f32_e32 v15, v18, v15
	v_sub_f32_e32 v14, v14, v18
	v_add_f32_e32 v12, v12, v14
	v_sub_f32_e32 v14, v15, v17
	v_add_f32_e32 v12, v14, v12
	v_add_f32_e32 v14, v19, v12
	v_mul_f32_e32 v15, v16, v14
	v_mul_f32_e32 v17, v11, v15
	v_fma_f32 v11, v15, v11, -v17
	v_fmac_f32_e32 v11, v15, v9
	v_sub_f32_e32 v9, v19, v14
	v_add_f32_e32 v9, v12, v9
	v_add_f32_e32 v12, v17, v11
	v_sub_f32_e32 v18, v14, v12
	v_sub_f32_e32 v14, v14, v18
	;; [unrolled: 1-line block ×4, first 2 shown]
	v_add_f32_e32 v9, v9, v12
	v_sub_f32_e32 v11, v17, v11
	v_add_f32_e32 v9, v11, v9
	v_add_f32_e32 v11, v13, v15
	;; [unrolled: 1-line block ×3, first 2 shown]
	v_sub_f32_e32 v12, v11, v13
	v_mul_f32_e32 v9, v16, v9
	v_sub_f32_e32 v12, v15, v12
	v_add_f32_e32 v9, v12, v9
	v_cvt_f32_i32_e32 v8, v8
	v_add_f32_e32 v12, v11, v9
	v_mul_f32_e32 v13, v12, v12
	v_mov_b32_e32 v14, 0x3ecc95a3
	v_fmac_f32_e32 v14, 0x3e9b6dac, v13
	v_mov_b32_e32 v15, 0x3f2aaada
	v_fmac_f32_e32 v15, v13, v14
	v_mul_f32_e32 v14, 0x3f317218, v8
	v_fma_f32 v16, v8, s4, -v14
	v_fmac_f32_e32 v16, 0xb102e308, v8
	v_sub_f32_e32 v8, v12, v11
	v_sub_f32_e32 v8, v9, v8
	v_add_f32_e32 v9, v14, v16
	v_sub_f32_e32 v11, v9, v14
	v_ldexp_f32 v14, v12, 1
	v_mul_f32_e32 v12, v12, v13
	v_mul_f32_e32 v12, v12, v15
	v_add_f32_e32 v13, v14, v12
	v_sub_f32_e32 v14, v13, v14
	v_ldexp_f32 v8, v8, 1
	v_sub_f32_e32 v12, v12, v14
	v_add_f32_e32 v8, v8, v12
	v_add_f32_e32 v12, v13, v8
	v_sub_f32_e32 v13, v12, v13
	v_sub_f32_e32 v8, v8, v13
	v_add_f32_e32 v13, v9, v12
	v_sub_f32_e32 v14, v13, v9
	v_sub_f32_e32 v15, v13, v14
	;; [unrolled: 1-line block ×5, first 2 shown]
	v_add_f32_e32 v9, v12, v9
	v_add_f32_e32 v12, v11, v8
	v_sub_f32_e32 v14, v12, v11
	v_sub_f32_e32 v15, v12, v14
	;; [unrolled: 1-line block ×4, first 2 shown]
	v_add_f32_e32 v9, v12, v9
	v_add_f32_e32 v8, v8, v11
	;; [unrolled: 1-line block ×3, first 2 shown]
	v_sub_f32_e32 v12, v11, v13
	v_sub_f32_e32 v9, v9, v12
	v_add_f32_e32 v8, v8, v9
	s_mov_b32 s4, 0x7f800000
	v_add_f32_e32 v8, v11, v8
	v_mov_b32_e32 v9, 0x7f800000
	v_cmp_neq_f32_e32 vcc, s4, v10
	v_cndmask_b32_e32 v8, v9, v8, vcc
	v_mov_b32_e32 v9, 0x7fc00000
	v_cmp_ngt_f32_e32 vcc, -1.0, v10
	v_cndmask_b32_e32 v8, v9, v8, vcc
	v_mov_b32_e32 v9, 0xff800000
	v_cmp_neq_f32_e32 vcc, -1.0, v10
	s_mov_b32 s4, 0x33800000
	v_cndmask_b32_e32 v8, v9, v8, vcc
	v_cmp_lt_f32_e64 vcc, |v10|, s4
	v_cndmask_b32_e32 v8, v8, v10, vcc
.LBB9_23:
	s_andn2_saveexec_b64 s[20:21], s[20:21]
	s_cbranch_execz .LBB9_25
; %bb.24:
	v_sub_f32_e64 v8, 1.0, |v0|
	v_mul_f32_e32 v8, v8, v4
	s_mov_b32 s4, 0xf800000
	v_mul_f32_e32 v9, 0x4f800000, v8
	v_cmp_gt_f32_e32 vcc, s4, v8
	v_cndmask_b32_e32 v8, v8, v9, vcc
	v_sqrt_f32_e32 v9, v8
	v_add_u32_e32 v10, -1, v9
	v_fma_f32 v11, -v10, v9, v8
	v_cmp_ge_f32_e64 s[4:5], 0, v11
	v_add_u32_e32 v11, 1, v9
	v_cndmask_b32_e64 v10, v9, v10, s[4:5]
	v_fma_f32 v9, -v11, v9, v8
	v_cmp_lt_f32_e64 s[4:5], 0, v9
	v_cndmask_b32_e64 v9, v10, v11, s[4:5]
	v_mul_f32_e32 v10, 0x37800000, v9
	v_cndmask_b32_e32 v9, v9, v10, vcc
	v_mov_b32_e32 v10, 0x260
	v_cmp_class_f32_e32 vcc, v8, v10
	v_cndmask_b32_e32 v8, v9, v8, vcc
	v_and_b32_e32 v9, 0x7fffffff, v1
	v_div_scale_f32 v10, s[4:5], v8, v8, v9
	v_div_scale_f32 v9, vcc, v9, v8, v9
	v_rcp_f32_e32 v11, v10
	v_fma_f32 v12, -v10, v11, 1.0
	v_fmac_f32_e32 v11, v12, v11
	v_mul_f32_e32 v12, v9, v11
	v_fma_f32 v13, -v10, v12, v9
	v_fmac_f32_e32 v12, v13, v11
	v_fma_f32 v9, -v10, v12, v9
	v_div_fmas_f32 v9, v9, v11, v12
	v_div_fixup_f32 v8, v9, v8, |v1|
.LBB9_25:
	s_or_b64 exec, exec, s[20:21]
.LBB9_26:
	s_or_b64 exec, exec, s[18:19]
.LBB9_27:
	s_andn2_saveexec_b64 s[16:17], s[16:17]
	s_cbranch_execz .LBB9_29
; %bb.28:
	s_mov_b32 s4, 0xf800000
	s_mov_b32 s5, 0x4f800000
	v_mul_f32_e64 v8, |v1|, s5
	v_cmp_lt_f32_e64 vcc, |v1|, s4
	v_cndmask_b32_e64 v8, |v1|, v8, vcc
	v_sqrt_f32_e32 v9, v8
	v_add_u32_e32 v10, -1, v9
	v_fma_f32 v11, -v10, v9, v8
	v_cmp_ge_f32_e64 s[4:5], 0, v11
	v_add_u32_e32 v11, 1, v9
	v_cndmask_b32_e64 v10, v9, v10, s[4:5]
	v_fma_f32 v9, -v11, v9, v8
	v_cmp_lt_f32_e64 s[4:5], 0, v9
	v_cndmask_b32_e64 v9, v10, v11, s[4:5]
	v_mul_f32_e32 v10, 0x37800000, v9
	v_cndmask_b32_e32 v9, v9, v10, vcc
	v_mov_b32_e32 v10, 0x260
	v_cmp_class_f32_e32 vcc, v8, v10
	v_cndmask_b32_e32 v8, v9, v8, vcc
.LBB9_29:
	s_or_b64 exec, exec, s[16:17]
.LBB9_30:
	s_or_b64 exec, exec, s[14:15]
	s_mov_b32 s4, 0x21000000
	v_cmp_nlt_f32_e64 s[14:15], |v0|, s4
                                        ; implicit-def: $sgpr4_sgpr5
                                        ; implicit-def: $vgpr9
                                        ; implicit-def: $vgpr11
                                        ; implicit-def: $vgpr10
	s_and_saveexec_b64 s[16:17], s[14:15]
	s_xor_b64 s[14:15], exec, s[16:17]
	s_cbranch_execz .LBB9_54
; %bb.31:
	v_and_b32_e32 v10, 0x7fffffff, v0
	v_div_scale_f32 v9, s[4:5], v2, v2, v10
	v_div_scale_f32 v11, vcc, v10, v2, v10
	s_mov_b32 s4, 0x3f244674
	v_rcp_f32_e32 v12, v9
	v_fma_f32 v13, -v9, v12, 1.0
	v_fmac_f32_e32 v12, v13, v12
	v_mul_f32_e32 v13, v11, v12
	v_fma_f32 v14, -v9, v13, v11
	v_fmac_f32_e32 v13, v14, v12
	v_fma_f32 v9, -v9, v13, v11
	v_div_fmas_f32 v9, v9, v12, v13
                                        ; implicit-def: $vgpr11
	v_div_fixup_f32 v9, v9, v2, |v0|
	v_cmp_lt_f32_e32 vcc, s4, v9
	s_mov_b64 s[4:5], 0
	s_and_saveexec_b64 s[16:17], vcc
	s_cbranch_execz .LBB9_53
; %bb.32:
	s_mov_b32 s18, 0x30800000
	v_cmp_neq_f32_e64 s[4:5], |v0|, 1.0
	v_cmp_nlt_f32_e64 s[18:19], |v1|, s18
	s_or_b64 s[4:5], s[4:5], s[18:19]
                                        ; implicit-def: $vgpr11
	s_and_saveexec_b64 s[18:19], s[4:5]
	s_xor_b64 s[18:19], exec, s[18:19]
	s_cbranch_execz .LBB9_50
; %bb.33:
	s_brev_b32 s4, 44
	v_mul_f32_e64 v11, |v3|, s4
	v_cmp_ge_f32_e64 s[4:5], |v1|, v11
                                        ; implicit-def: $vgpr11
	s_and_saveexec_b64 s[20:21], s[4:5]
	s_xor_b64 s[20:21], exec, s[20:21]
	s_cbranch_execz .LBB9_43
; %bb.34:
	v_cmp_neq_f32_e32 vcc, 0, v4
	v_mov_b32_e32 v11, v6
	s_and_saveexec_b64 s[4:5], vcc
	s_cbranch_execz .LBB9_36
; %bb.35:
	v_mul_f32_e32 v11, v1, v1
	v_add_f32_e32 v4, v4, v7
	v_div_scale_f32 v7, s[22:23], v4, v4, v11
	v_div_scale_f32 v12, vcc, v11, v4, v11
	v_rcp_f32_e32 v13, v7
	v_fma_f32 v14, -v7, v13, 1.0
	v_fmac_f32_e32 v13, v14, v13
	v_mul_f32_e32 v14, v12, v13
	v_fma_f32 v15, -v7, v14, v12
	v_fmac_f32_e32 v14, v15, v13
	v_fma_f32 v7, -v7, v14, v12
	v_div_fmas_f32 v7, v7, v13, v14
	v_div_fixup_f32 v11, v7, v4, v11
.LBB9_36:
	s_or_b64 exec, exec, s[4:5]
	v_cmp_ngt_f32_e32 vcc, 0, v3
	s_and_saveexec_b64 s[4:5], vcc
	s_xor_b64 s[4:5], exec, s[4:5]
	s_cbranch_execz .LBB9_40
; %bb.37:
	v_cmp_neq_f32_e32 vcc, 0, v3
	s_and_saveexec_b64 s[22:23], vcc
	s_cbranch_execz .LBB9_39
; %bb.38:
	v_mul_f32_e32 v4, v1, v1
	v_add_f32_e32 v3, v3, v5
	v_div_scale_f32 v5, s[24:25], v3, v3, v4
	v_div_scale_f32 v6, vcc, v4, v3, v4
	v_rcp_f32_e32 v7, v5
	v_fma_f32 v12, -v5, v7, 1.0
	v_fmac_f32_e32 v7, v12, v7
	v_mul_f32_e32 v12, v6, v7
	v_fma_f32 v13, -v5, v12, v6
	v_fmac_f32_e32 v12, v13, v7
	v_fma_f32 v5, -v5, v12, v6
	v_div_fmas_f32 v5, v5, v7, v12
	v_div_fixup_f32 v6, v5, v3, v4
.LBB9_39:
	s_or_b64 exec, exec, s[22:23]
                                        ; implicit-def: $vgpr5
                                        ; implicit-def: $vgpr3
.LBB9_40:
	s_andn2_saveexec_b64 s[4:5], s[4:5]
; %bb.41:
	v_sub_f32_e32 v6, v5, v3
; %bb.42:
	s_or_b64 exec, exec, s[4:5]
	v_mul_f32_e32 v3, 0.5, v6
	v_fmac_f32_e32 v3, 0.5, v11
	v_add_f32_e64 v2, |v0|, v2
	v_mul_f32_e32 v2, v2, v3
	s_mov_b32 s4, 0xf800000
	v_mul_f32_e32 v3, 0x4f800000, v2
	v_cmp_gt_f32_e32 vcc, s4, v2
	v_cndmask_b32_e32 v2, v2, v3, vcc
	v_sqrt_f32_e32 v3, v2
	v_add_u32_e32 v4, -1, v3
	v_fma_f32 v5, -v4, v3, v2
	v_cmp_ge_f32_e64 s[4:5], 0, v5
	v_add_u32_e32 v5, 1, v3
	v_cndmask_b32_e64 v4, v3, v4, s[4:5]
	v_fma_f32 v3, -v5, v3, v2
	v_cmp_lt_f32_e64 s[4:5], 0, v3
	v_cndmask_b32_e64 v3, v4, v5, s[4:5]
	v_mul_f32_e32 v4, 0x37800000, v3
	v_cndmask_b32_e32 v3, v3, v4, vcc
	v_mov_b32_e32 v4, 0x260
	v_cmp_class_f32_e32 vcc, v2, v4
	v_cndmask_b32_e32 v11, v3, v2, vcc
                                        ; implicit-def: $vgpr4
                                        ; implicit-def: $vgpr3
.LBB9_43:
	s_andn2_saveexec_b64 s[20:21], s[20:21]
	s_cbranch_execz .LBB9_49
; %bb.44:
	v_cmp_ngt_f32_e64 s[4:5], |v0|, 1.0
                                        ; implicit-def: $vgpr11
	s_and_saveexec_b64 s[22:23], s[4:5]
	s_xor_b64 s[22:23], exec, s[22:23]
	s_cbranch_execz .LBB9_46
; %bb.45:
	v_sub_f32_e64 v2, 1.0, |v0|
	v_mul_f32_e32 v2, v2, v4
	s_mov_b32 s4, 0xf800000
	v_mul_f32_e32 v3, 0x4f800000, v2
	v_cmp_gt_f32_e32 vcc, s4, v2
	v_cndmask_b32_e32 v2, v2, v3, vcc
	v_sqrt_f32_e32 v3, v2
	v_add_u32_e32 v4, -1, v3
	v_fma_f32 v5, -v4, v3, v2
	v_cmp_ge_f32_e64 s[4:5], 0, v5
	v_add_u32_e32 v5, 1, v3
	v_cndmask_b32_e64 v4, v3, v4, s[4:5]
	v_fma_f32 v3, -v5, v3, v2
	v_cmp_lt_f32_e64 s[4:5], 0, v3
	v_cndmask_b32_e64 v3, v4, v5, s[4:5]
	v_mul_f32_e32 v4, 0x37800000, v3
	v_cndmask_b32_e32 v3, v3, v4, vcc
	v_mov_b32_e32 v4, 0x260
	v_cmp_class_f32_e32 vcc, v2, v4
	v_cndmask_b32_e32 v11, v3, v2, vcc
                                        ; implicit-def: $vgpr4
                                        ; implicit-def: $vgpr3
.LBB9_46:
	s_andn2_saveexec_b64 s[22:23], s[22:23]
	s_cbranch_execz .LBB9_48
; %bb.47:
	v_mul_f32_e32 v2, v4, v3
	s_mov_b32 s4, 0xf800000
	v_mul_f32_e32 v3, 0x4f800000, v2
	v_cmp_gt_f32_e32 vcc, s4, v2
	v_cndmask_b32_e32 v2, v2, v3, vcc
	v_sqrt_f32_e32 v3, v2
	s_mov_b32 s24, 0x57800000
	v_mul_f32_e64 v4, |v1|, s24
	v_mul_f32_e64 v4, |v0|, v4
	v_add_u32_e32 v5, -1, v3
	v_fma_f32 v6, -v5, v3, v2
	v_cmp_ge_f32_e64 s[4:5], 0, v6
	v_add_u32_e32 v6, 1, v3
	v_cndmask_b32_e64 v5, v3, v5, s[4:5]
	v_fma_f32 v3, -v6, v3, v2
	v_cmp_lt_f32_e64 s[4:5], 0, v3
	v_cndmask_b32_e64 v3, v5, v6, s[4:5]
	v_mul_f32_e32 v5, 0x37800000, v3
	v_cndmask_b32_e32 v3, v3, v5, vcc
	v_mov_b32_e32 v5, 0x260
	v_cmp_class_f32_e32 vcc, v2, v5
	v_cndmask_b32_e32 v2, v3, v2, vcc
	v_div_scale_f32 v3, s[4:5], v2, v2, v4
	v_div_scale_f32 v5, vcc, v4, v2, v4
	v_rcp_f32_e32 v6, v3
	v_fma_f32 v7, -v3, v6, 1.0
	v_fmac_f32_e32 v6, v7, v6
	v_mul_f32_e32 v7, v5, v6
	v_fma_f32 v10, -v3, v7, v5
	v_fmac_f32_e32 v7, v10, v6
	v_fma_f32 v3, -v3, v7, v5
	v_div_fmas_f32 v3, v3, v6, v7
	v_mul_f32_e64 v10, |v0|, s24
	v_div_fixup_f32 v11, v3, v2, v4
.LBB9_48:
	s_or_b64 exec, exec, s[22:23]
.LBB9_49:
	s_or_b64 exec, exec, s[20:21]
                                        ; implicit-def: $vgpr2
.LBB9_50:
	s_andn2_saveexec_b64 s[18:19], s[18:19]
	s_cbranch_execz .LBB9_52
; %bb.51:
	s_mov_b32 s20, 0xf800000
	s_mov_b32 s4, 0x4f800000
	v_mul_f32_e64 v3, |v1|, s4
	v_cmp_lt_f32_e64 vcc, |v1|, s20
	v_cndmask_b32_e64 v3, |v1|, v3, vcc
	v_sqrt_f32_e32 v4, v3
	v_add_f32_e32 v2, 1.0, v2
	v_mul_f32_e32 v2, 0.5, v2
	v_mov_b32_e32 v10, 1.0
	v_add_u32_e32 v5, -1, v4
	v_fma_f32 v6, -v5, v4, v3
	v_cmp_ge_f32_e64 s[4:5], 0, v6
	v_add_u32_e32 v6, 1, v4
	v_cndmask_b32_e64 v5, v4, v5, s[4:5]
	v_fma_f32 v4, -v6, v4, v3
	v_cmp_lt_f32_e64 s[4:5], 0, v4
	v_cndmask_b32_e64 v4, v5, v6, s[4:5]
	v_mul_f32_e32 v5, 0x37800000, v4
	v_cndmask_b32_e32 v4, v4, v5, vcc
	v_mul_f32_e32 v6, 0x4f800000, v2
	v_cmp_gt_f32_e32 vcc, s20, v2
	v_cndmask_b32_e32 v2, v2, v6, vcc
	v_sqrt_f32_e32 v6, v2
	v_mov_b32_e32 v5, 0x260
	v_cmp_class_f32_e64 s[4:5], v3, v5
	v_cndmask_b32_e64 v3, v4, v3, s[4:5]
	v_add_u32_e32 v4, -1, v6
	v_fma_f32 v7, -v4, v6, v2
	v_cmp_ge_f32_e64 s[4:5], 0, v7
	v_add_u32_e32 v7, 1, v6
	v_cndmask_b32_e64 v4, v6, v4, s[4:5]
	v_fma_f32 v6, -v7, v6, v2
	v_cmp_lt_f32_e64 s[4:5], 0, v6
	v_cndmask_b32_e64 v4, v4, v7, s[4:5]
	v_mul_f32_e32 v6, 0x37800000, v4
	v_cndmask_b32_e32 v4, v4, v6, vcc
	v_cmp_class_f32_e32 vcc, v2, v5
	v_cndmask_b32_e32 v2, v4, v2, vcc
	v_mul_f32_e32 v11, v3, v2
.LBB9_52:
	s_or_b64 exec, exec, s[18:19]
	s_mov_b64 s[4:5], exec
.LBB9_53:
	s_or_b64 exec, exec, s[16:17]
                                        ; implicit-def: $vgpr2
.LBB9_54:
	s_andn2_saveexec_b64 s[14:15], s[14:15]
; %bb.55:
	s_mov_b32 s16, 0x4b800000
	v_mul_f32_e32 v11, 0x4b800000, v2
	v_mul_f32_e64 v10, |v0|, s16
	s_or_b64 s[4:5], s[4:5], exec
                                        ; implicit-def: $vgpr9
; %bb.56:
	s_or_b64 exec, exec, s[14:15]
	s_xor_b64 s[4:5], s[4:5], -1
                                        ; implicit-def: $vgpr2
	s_and_saveexec_b64 s[14:15], s[4:5]
	s_xor_b64 s[4:5], exec, s[14:15]
	s_cbranch_execz .LBB9_58
; %bb.57:
	v_fma_f32 v2, |v9|, -0.5, 0.5
	v_mul_f32_e32 v3, v9, v9
	v_cmp_ge_f32_e64 vcc, |v9|, 0.5
	v_cndmask_b32_e32 v2, v3, v2, vcc
	v_mov_b32_e32 v3, 0x3c5fc5da
	v_fmac_f32_e32 v3, 0x3d1c21a7, v2
	v_mov_b32_e32 v4, 0x3d034c3c
	v_fmac_f32_e32 v4, v2, v3
	;; [unrolled: 2-line block ×4, first 2 shown]
	v_sqrt_f32_e32 v3, v2
	v_mov_b32_e32 v5, 0x3e2aaaac
	v_fmac_f32_e32 v5, v2, v4
	v_mul_f32_e32 v2, v2, v5
	v_fmac_f32_e32 v3, v3, v2
	v_add_f32_e32 v3, v3, v3
	v_sub_f32_e32 v3, 0x3fc90fdb, v3
	v_fma_f32 v2, |v9|, v2, |v9|
	v_cmp_lt_f32_e64 vcc, |v9|, 0.5
	v_cndmask_b32_e32 v2, v3, v2, vcc
	s_brev_b32 s14, -2
	v_bfi_b32 v2, s14, v2, v9
                                        ; implicit-def: $vgpr10
                                        ; implicit-def: $vgpr11
.LBB9_58:
	s_andn2_saveexec_b64 s[14:15], s[4:5]
	s_cbranch_execz .LBB9_60
; %bb.59:
	v_max_f32_e32 v2, v10, v10
	v_max_f32_e64 v3, |v11|, |v11|
	v_min_f32_e32 v4, v3, v2
	v_max_f32_e32 v2, v3, v2
	v_frexp_mant_f32_e32 v3, v2
	v_rcp_f32_e32 v3, v3
	v_frexp_exp_i32_f32_e32 v2, v2
	v_frexp_exp_i32_f32_e32 v5, v4
	v_frexp_mant_f32_e32 v4, v4
	v_mul_f32_e32 v3, v4, v3
	v_sub_u32_e32 v2, v5, v2
	v_ldexp_f32 v2, v3, v2
	v_mul_f32_e32 v3, v2, v2
	v_mov_b32_e32 v4, 0xbc7a590c
	v_fmac_f32_e32 v4, 0x3b2d2a58, v3
	v_mov_b32_e32 v5, 0x3d29fb3f
	v_fmac_f32_e32 v5, v3, v4
	;; [unrolled: 2-line block ×7, first 2 shown]
	v_mul_f32_e32 v3, v3, v4
	v_fmac_f32_e32 v2, v2, v3
	v_sub_f32_e32 v3, 0x3fc90fdb, v2
	v_cmp_gt_f32_e64 vcc, v10, |v11|
	v_cndmask_b32_e32 v2, v2, v3, vcc
	v_sub_f32_e32 v3, 0x40490fdb, v2
	v_cmp_gt_f32_e32 vcc, 0, v11
	v_cndmask_b32_e32 v2, v2, v3, vcc
	v_mov_b32_e32 v3, 0x40490fdb
	v_cmp_gt_i32_e64 s[4:5], 0, v11
	v_cndmask_b32_e64 v3, 0, v3, s[4:5]
	s_movk_i32 s4, 0x204
	v_mov_b32_e32 v4, 0x3f490fdb
	v_mov_b32_e32 v5, 0x4016cbe4
	v_cmp_class_f32_e64 s[16:17], v11, s4
	s_mov_b32 s4, 0x7f800000
	v_cndmask_b32_e32 v4, v4, v5, vcc
	v_cmp_eq_f32_e32 vcc, s4, v10
	v_cmp_eq_f32_e64 s[4:5], 0, v10
	v_cndmask_b32_e64 v2, |v2|, v3, s[4:5]
	s_and_b64 vcc, vcc, s[16:17]
	v_cndmask_b32_e32 v2, v2, v4, vcc
	v_mov_b32_e32 v3, 0x7fc00000
	v_cmp_o_f32_e32 vcc, v11, v11
	v_cndmask_b32_e32 v2, v3, v2, vcc
.LBB9_60:
	s_or_b64 exec, exec, s[14:15]
	s_brev_b32 s4, -2
	v_bfi_b32 v1, s4, v8, v1
	v_bfi_b32 v0, s4, v2, v0
.LBB9_61:
	s_or_b64 exec, exec, s[12:13]
.LBB9_62:
	s_or_b64 exec, exec, s[10:11]
                                        ; implicit-def: $vgpr2
                                        ; implicit-def: $vgpr5
                                        ; implicit-def: $vgpr4
.LBB9_63:
	s_andn2_saveexec_b64 s[10:11], s[6:7]
	s_cbranch_execz .LBB9_85
; %bb.64:
	v_cmp_lt_i32_e32 vcc, -1, v1
                                        ; implicit-def: $vgpr6
                                        ; implicit-def: $vgpr3
	s_and_saveexec_b64 s[4:5], vcc
	s_xor_b64 s[12:13], exec, s[4:5]
	s_cbranch_execz .LBB9_74
; %bb.65:
	v_cmp_lt_f32_e64 s[4:5], |v1|, |v0|
	v_cndmask_b32_e64 v7, |v1|, |v0|, s[4:5]
	s_mov_b32 s6, 0x7effffff
	v_cmp_nlt_f32_e32 vcc, s6, v7
                                        ; implicit-def: $vgpr3
                                        ; implicit-def: $vgpr6
	s_and_saveexec_b64 s[6:7], vcc
	s_xor_b64 s[14:15], exec, s[6:7]
	s_cbranch_execz .LBB9_71
; %bb.66:
	s_mov_b32 s6, 0x5e000000
	v_cndmask_b32_e64 v8, |v0|, |v1|, s[4:5]
	v_cmp_nlt_f32_e32 vcc, s6, v7
	s_brev_b32 s6, 4
	v_cmp_ngt_f32_e64 s[6:7], s6, v8
	s_and_b64 s[6:7], vcc, s[6:7]
                                        ; implicit-def: $vgpr3
                                        ; implicit-def: $vgpr6
	s_and_saveexec_b64 s[16:17], s[6:7]
	s_xor_b64 s[16:17], exec, s[16:17]
	s_cbranch_execz .LBB9_68
; %bb.67:
	v_mul_f32_e32 v3, v8, v8
	v_fmac_f32_e32 v3, v7, v7
	s_mov_b32 s6, 0x800000
	v_cmp_gt_f32_e32 vcc, s6, v3
	v_cndmask_b32_e64 v6, 0, 32, vcc
	v_ldexp_f32 v3, v3, v6
	v_log_f32_e32 v3, v3
	s_mov_b32 s6, 0x3f317217
	s_waitcnt lgkmcnt(0)
	v_min_f32_e32 v2, v5, v2
	v_frexp_mant_f32_e32 v5, v4
	v_mul_f32_e32 v6, 0x3f317217, v3
	v_fma_f32 v6, v3, s6, -v6
	v_fmac_f32_e32 v6, 0x3377d1cf, v3
	s_mov_b32 s6, 0x7f800000
	v_fmac_f32_e32 v6, 0x3f317217, v3
	v_cmp_lt_f32_e64 s[6:7], |v3|, s6
	v_rcp_f32_e32 v5, v5
	v_cndmask_b32_e64 v3, v3, v6, s[6:7]
	v_mov_b32_e32 v6, 0x41b17218
	v_cndmask_b32_e32 v6, 0, v6, vcc
	v_sub_f32_e32 v3, v3, v6
	v_frexp_exp_i32_f32_e32 v4, v4
	v_frexp_exp_i32_f32_e32 v6, v2
	v_frexp_mant_f32_e32 v2, v2
	v_mul_f32_e32 v2, v2, v5
	v_sub_u32_e32 v4, v6, v4
	v_ldexp_f32 v6, v2, v4
	v_mul_f32_e32 v2, v6, v6
	v_mov_b32_e32 v4, 0xbc7a590c
	v_fmac_f32_e32 v4, 0x3b2d2a58, v2
	v_mov_b32_e32 v5, 0x3d29fb3f
	v_fmac_f32_e32 v5, v2, v4
	;; [unrolled: 2-line block ×7, first 2 shown]
	v_mul_f32_e32 v2, v2, v4
	v_mul_f32_e32 v3, 0.5, v3
	v_fmac_f32_e32 v6, v6, v2
                                        ; implicit-def: $vgpr4
                                        ; implicit-def: $vgpr5
                                        ; implicit-def: $vgpr2
.LBB9_68:
	s_andn2_saveexec_b64 s[6:7], s[16:17]
	s_cbranch_execz .LBB9_70
; %bb.69:
	v_cvt_f64_f32_e32 v[6:7], v4
	s_waitcnt lgkmcnt(0)
	v_min_f32_e32 v2, v5, v2
	s_mov_b32 s16, 0x7f800000
	v_cmp_neq_f32_e32 vcc, s16, v4
	v_frexp_exp_i32_f64_e32 v3, v[6:7]
	v_mov_b32_e32 v6, 0x7f800000
	s_mov_b32 s17, 0x800000
	v_frexp_mant_f32_e32 v9, v4
	v_rcp_f32_e32 v9, v9
	s_mov_b32 s18, 0x3f317217
	v_mov_b32_e32 v7, 0x41b17218
	v_sub_u32_e32 v5, 0, v3
	v_ldexp_f32 v8, |v1|, v5
	v_ldexp_f32 v5, |v0|, v5
	v_mul_f32_e32 v5, v5, v5
	v_fmac_f32_e32 v5, v8, v8
	v_sqrt_f32_e32 v5, v5
	v_frexp_exp_i32_f32_e32 v8, v4
	v_ldexp_f32 v3, v5, v3
	v_cndmask_b32_e32 v3, v6, v3, vcc
	v_cmp_gt_f32_e32 vcc, s17, v3
	v_cndmask_b32_e64 v4, 0, 32, vcc
	v_ldexp_f32 v3, v3, v4
	v_log_f32_e32 v3, v3
	v_frexp_exp_i32_f32_e32 v4, v2
	v_frexp_mant_f32_e32 v2, v2
	v_cndmask_b32_e32 v5, 0, v7, vcc
	v_mul_f32_e32 v6, 0x3f317217, v3
	v_fma_f32 v6, v3, s18, -v6
	v_fmac_f32_e32 v6, 0x3377d1cf, v3
	v_fmac_f32_e32 v6, 0x3f317217, v3
	v_cmp_lt_f32_e64 vcc, |v3|, s16
	v_mul_f32_e32 v2, v2, v9
	v_sub_u32_e32 v4, v4, v8
	v_cndmask_b32_e32 v3, v3, v6, vcc
	v_ldexp_f32 v6, v2, v4
	v_mul_f32_e32 v2, v6, v6
	v_mov_b32_e32 v4, 0xbc7a590c
	v_sub_f32_e32 v3, v3, v5
	v_fmac_f32_e32 v4, 0x3b2d2a58, v2
	v_mov_b32_e32 v5, 0x3d29fb3f
	v_fmac_f32_e32 v5, v2, v4
	v_mov_b32_e32 v4, 0xbd97d4d7
	v_fmac_f32_e32 v4, v2, v5
	v_mov_b32_e32 v5, 0x3dd931b2
	v_fmac_f32_e32 v5, v2, v4
	v_mov_b32_e32 v4, 0xbe1160e6
	v_fmac_f32_e32 v4, v2, v5
	v_mov_b32_e32 v5, 0x3e4cb8bf
	v_fmac_f32_e32 v5, v2, v4
	v_mov_b32_e32 v4, 0xbeaaaa62
	v_fmac_f32_e32 v4, v2, v5
	v_mul_f32_e32 v2, v2, v4
	v_fmac_f32_e32 v6, v6, v2
.LBB9_70:
	s_or_b64 exec, exec, s[6:7]
                                        ; implicit-def: $vgpr5
                                        ; implicit-def: $vgpr2
                                        ; implicit-def: $vgpr4
.LBB9_71:
	s_andn2_saveexec_b64 s[14:15], s[14:15]
	s_cbranch_execz .LBB9_73
; %bb.72:
	s_mov_b32 s16, 0x402df854
	v_div_scale_f32 v3, s[6:7], s16, s16, v1
	v_div_scale_f32 v6, s[6:7], s16, s16, v0
	v_div_scale_f32 v7, vcc, v1, s16, v1
	v_div_scale_f32 v8, s[6:7], v0, s16, v0
	s_waitcnt lgkmcnt(0)
	v_min_f32_e32 v5, v5, v2
	s_mov_b32 s17, 0x3f317217
	v_mov_b32_e32 v17, 0xbe1160e6
	v_mov_b32_e32 v18, 0x3e4cb8bf
	v_rcp_f32_e32 v9, v3
	v_rcp_f32_e32 v10, v6
	v_fma_f32 v11, -v3, v9, 1.0
	v_fmac_f32_e32 v9, v11, v9
	v_fma_f32 v12, -v6, v10, 1.0
	v_fmac_f32_e32 v10, v12, v10
	v_mul_f32_e32 v11, v7, v9
	v_mul_f32_e32 v12, v8, v10
	v_fma_f32 v13, -v3, v11, v7
	v_fma_f32 v14, -v6, v12, v8
	v_fmac_f32_e32 v11, v13, v9
	v_fmac_f32_e32 v12, v14, v10
	v_fma_f32 v3, -v3, v11, v7
	v_fma_f32 v6, -v6, v12, v8
	v_div_fmas_f32 v3, v3, v9, v11
	s_mov_b64 vcc, s[6:7]
	v_div_fmas_f32 v6, v6, v10, v12
	v_frexp_exp_i32_f32_e32 v9, v4
	v_frexp_mant_f32_e32 v4, v4
	v_rcp_f32_e32 v4, v4
	s_mov_b32 s6, 0x7f800000
	v_mov_b32_e32 v7, 0x7f800000
	s_mov_b32 s7, 0x800000
	v_mov_b32_e32 v10, 0xbc7a590c
	v_mov_b32_e32 v11, 0x3d29fb3f
	;; [unrolled: 1-line block ×5, first 2 shown]
	v_div_fixup_f32 v14, v3, s16, v1
	v_div_fixup_f32 v15, v6, s16, v0
	v_max_f32_e64 v16, v14, |v15|
	v_cvt_f64_f32_e32 v[2:3], v16
	v_cmp_neq_f32_e32 vcc, s6, v16
	v_frexp_exp_i32_f64_e32 v2, v[2:3]
	v_frexp_exp_i32_f32_e32 v3, v5
	v_frexp_mant_f32_e32 v5, v5
	v_sub_u32_e32 v3, v3, v9
	v_mul_f32_e32 v4, v5, v4
	v_ldexp_f32 v6, v4, v3
	v_mul_f32_e32 v4, v6, v6
	v_fmac_f32_e32 v10, 0x3b2d2a58, v4
	v_sub_u32_e32 v3, 0, v2
	v_ldexp_f32 v5, v14, v3
	v_ldexp_f32 v3, |v15|, v3
	v_mul_f32_e32 v3, v3, v3
	v_fmac_f32_e32 v3, v5, v5
	v_sqrt_f32_e32 v3, v3
	v_fmac_f32_e32 v11, v4, v10
	v_fmac_f32_e32 v12, v4, v11
	;; [unrolled: 1-line block ×3, first 2 shown]
	v_ldexp_f32 v2, v3, v2
	v_cndmask_b32_e32 v2, v7, v2, vcc
	v_cmp_gt_f32_e32 vcc, s7, v2
	v_cndmask_b32_e64 v3, 0, 32, vcc
	v_ldexp_f32 v2, v2, v3
	v_log_f32_e32 v2, v2
	v_cndmask_b32_e32 v3, 0, v8, vcc
	v_fmac_f32_e32 v17, v4, v13
	v_fmac_f32_e32 v18, v4, v17
	v_mul_f32_e32 v5, 0x3f317217, v2
	v_fma_f32 v5, v2, s17, -v5
	v_fmac_f32_e32 v5, 0x3377d1cf, v2
	v_fmac_f32_e32 v5, 0x3f317217, v2
	v_cmp_lt_f32_e64 vcc, |v2|, s6
	v_cndmask_b32_e32 v2, v2, v5, vcc
	v_sub_f32_e32 v2, v2, v3
	v_add_f32_e32 v3, 1.0, v2
	v_mov_b32_e32 v2, 0xbeaaaa62
	v_fmac_f32_e32 v2, v4, v18
	v_mul_f32_e32 v2, v4, v2
	v_fmac_f32_e32 v6, v6, v2
.LBB9_73:
	s_or_b64 exec, exec, s[14:15]
	s_waitcnt lgkmcnt(0)
	v_sub_f32_e32 v2, 0x3fc90fdb, v6
	s_movk_i32 s6, 0x204
	v_cndmask_b32_e64 v2, v6, v2, s[4:5]
	v_cmp_neq_f32_e32 vcc, 0, v0
	v_cmp_class_f32_e64 s[4:5], v1, s6
	v_cmp_class_f32_e64 s[6:7], v0, s6
	v_cndmask_b32_e32 v2, 0, v2, vcc
	v_mov_b32_e32 v4, 0x3f490fdb
	s_and_b64 vcc, s[6:7], s[4:5]
	v_cndmask_b32_e32 v2, v2, v4, vcc
	s_brev_b32 s4, -2
	v_bfi_b32 v6, s4, v2, v0
                                        ; implicit-def: $vgpr2
.LBB9_74:
	s_andn2_saveexec_b64 s[12:13], s[12:13]
	s_cbranch_execz .LBB9_84
; %bb.75:
	v_cmp_gt_f32_e64 s[4:5], |v0|, -v1
	v_cndmask_b32_e64 v5, -v1, |v0|, s[4:5]
	s_mov_b32 s6, 0x7effffff
	v_cmp_nlt_f32_e32 vcc, s6, v5
                                        ; implicit-def: $vgpr3
                                        ; implicit-def: $vgpr4
	s_and_saveexec_b64 s[6:7], vcc
	s_xor_b64 s[14:15], exec, s[6:7]
	s_cbranch_execz .LBB9_81
; %bb.76:
	v_xor_b32_e32 v3, 0x80000000, v1
	s_mov_b32 s6, 0x5e000000
	v_cndmask_b32_e64 v6, |v0|, v3, s[4:5]
	v_cmp_nlt_f32_e32 vcc, s6, v5
	s_brev_b32 s6, 4
	v_cmp_ngt_f32_e64 s[6:7], s6, v6
	s_and_b64 s[6:7], vcc, s[6:7]
                                        ; implicit-def: $vgpr3
                                        ; implicit-def: $vgpr4
	s_and_saveexec_b64 s[16:17], s[6:7]
	s_xor_b64 s[16:17], exec, s[16:17]
	s_cbranch_execz .LBB9_78
; %bb.77:
	v_mul_f32_e32 v3, v6, v6
	v_fmac_f32_e32 v3, v5, v5
	s_mov_b32 s6, 0x800000
	v_cmp_gt_f32_e32 vcc, s6, v3
	v_cndmask_b32_e64 v4, 0, 32, vcc
	v_ldexp_f32 v3, v3, v4
	v_log_f32_e32 v3, v3
	s_mov_b32 s6, 0x3f317217
	v_mul_f32_e32 v4, 0x3f317217, v3
	v_fma_f32 v4, v3, s6, -v4
	v_fmac_f32_e32 v4, 0x3377d1cf, v3
	s_mov_b32 s6, 0x7f800000
	v_fmac_f32_e32 v4, 0x3f317217, v3
	v_cmp_lt_f32_e64 s[6:7], |v3|, s6
	v_cndmask_b32_e64 v3, v3, v4, s[6:7]
	v_mov_b32_e32 v4, 0x41b17218
	v_cndmask_b32_e32 v4, 0, v4, vcc
	v_sub_f32_e32 v3, v3, v4
	v_max_f32_e64 v4, -v1, -v1
	s_waitcnt lgkmcnt(0)
	v_min_f32_e32 v5, v4, v2
	v_max_f32_e32 v2, v4, v2
	v_frexp_mant_f32_e32 v4, v2
	v_rcp_f32_e32 v4, v4
	v_frexp_exp_i32_f32_e32 v2, v2
	v_frexp_exp_i32_f32_e32 v6, v5
	v_frexp_mant_f32_e32 v5, v5
	v_mul_f32_e32 v4, v5, v4
	v_sub_u32_e32 v2, v6, v2
	v_ldexp_f32 v4, v4, v2
	v_mul_f32_e32 v2, v4, v4
	v_mov_b32_e32 v5, 0xbc7a590c
	v_fmac_f32_e32 v5, 0x3b2d2a58, v2
	v_mov_b32_e32 v6, 0x3d29fb3f
	v_fmac_f32_e32 v6, v2, v5
	v_mov_b32_e32 v5, 0xbd97d4d7
	v_fmac_f32_e32 v5, v2, v6
	v_mov_b32_e32 v6, 0x3dd931b2
	v_fmac_f32_e32 v6, v2, v5
	v_mov_b32_e32 v5, 0xbe1160e6
	v_fmac_f32_e32 v5, v2, v6
	v_mov_b32_e32 v6, 0x3e4cb8bf
	v_fmac_f32_e32 v6, v2, v5
	v_mov_b32_e32 v5, 0xbeaaaa62
	v_fmac_f32_e32 v5, v2, v6
	v_mul_f32_e32 v2, v2, v5
	v_mul_f32_e32 v3, 0.5, v3
	v_fmac_f32_e32 v4, v4, v2
                                        ; implicit-def: $vgpr2
.LBB9_78:
	s_andn2_saveexec_b64 s[6:7], s[16:17]
	s_cbranch_execz .LBB9_80
; %bb.79:
	v_max_f32_e64 v5, -v1, -v1
	s_waitcnt lgkmcnt(0)
	v_max_f32_e32 v6, v5, v2
	v_cvt_f64_f32_e32 v[3:4], v6
	v_min_f32_e32 v2, v5, v2
	s_mov_b32 s16, 0x7f800000
	v_cmp_neq_f32_e32 vcc, s16, v6
	v_frexp_exp_i32_f64_e32 v3, v[3:4]
	v_mov_b32_e32 v4, 0x7f800000
	s_mov_b32 s17, 0x800000
	v_frexp_mant_f32_e32 v9, v6
	s_mov_b32 s18, 0x3f317217
	v_mov_b32_e32 v7, 0x41b17218
	v_frexp_exp_i32_f32_e32 v10, v2
	v_frexp_mant_f32_e32 v2, v2
	v_sub_u32_e32 v5, 0, v3
	v_ldexp_f32 v8, -v1, v5
	v_ldexp_f32 v5, |v0|, v5
	v_mul_f32_e32 v5, v5, v5
	v_fmac_f32_e32 v5, v8, v8
	v_sqrt_f32_e32 v5, v5
	v_frexp_exp_i32_f32_e32 v8, v6
	v_ldexp_f32 v3, v5, v3
	v_cndmask_b32_e32 v3, v4, v3, vcc
	v_cmp_gt_f32_e32 vcc, s17, v3
	v_cndmask_b32_e64 v4, 0, 32, vcc
	v_ldexp_f32 v3, v3, v4
	v_log_f32_e32 v3, v3
	v_rcp_f32_e32 v4, v9
	v_cndmask_b32_e32 v5, 0, v7, vcc
	v_mul_f32_e32 v6, 0x3f317217, v3
	v_fma_f32 v6, v3, s18, -v6
	v_fmac_f32_e32 v6, 0x3377d1cf, v3
	v_fmac_f32_e32 v6, 0x3f317217, v3
	v_cmp_lt_f32_e64 vcc, |v3|, s16
	v_mul_f32_e32 v2, v2, v4
	v_sub_u32_e32 v4, v10, v8
	v_cndmask_b32_e32 v3, v3, v6, vcc
	v_ldexp_f32 v4, v2, v4
	v_sub_f32_e32 v3, v3, v5
	v_mul_f32_e32 v2, v4, v4
	v_mov_b32_e32 v5, 0xbc7a590c
	v_fmac_f32_e32 v5, 0x3b2d2a58, v2
	v_mov_b32_e32 v6, 0x3d29fb3f
	v_fmac_f32_e32 v6, v2, v5
	v_mov_b32_e32 v5, 0xbd97d4d7
	v_fmac_f32_e32 v5, v2, v6
	v_mov_b32_e32 v6, 0x3dd931b2
	v_fmac_f32_e32 v6, v2, v5
	v_mov_b32_e32 v5, 0xbe1160e6
	v_fmac_f32_e32 v5, v2, v6
	v_mov_b32_e32 v6, 0x3e4cb8bf
	v_fmac_f32_e32 v6, v2, v5
	v_mov_b32_e32 v5, 0xbeaaaa62
	v_fmac_f32_e32 v5, v2, v6
	v_mul_f32_e32 v2, v2, v5
	v_fmac_f32_e32 v4, v4, v2
.LBB9_80:
	s_or_b64 exec, exec, s[6:7]
                                        ; implicit-def: $vgpr2
.LBB9_81:
	s_andn2_saveexec_b64 s[14:15], s[14:15]
	s_cbranch_execz .LBB9_83
; %bb.82:
	s_mov_b32 s16, 0xc02df854
	v_div_scale_f32 v3, s[6:7], s16, s16, v1
	v_div_scale_f32 v4, s[6:7], s16, s16, v0
	v_div_scale_f32 v5, vcc, v1, s16, v1
	v_div_scale_f32 v6, s[6:7], v0, s16, v0
	s_mov_b32 s17, 0x3f317217
	v_rcp_f32_e32 v7, v3
	v_rcp_f32_e32 v8, v4
	v_fma_f32 v9, -v3, v7, 1.0
	v_fmac_f32_e32 v7, v9, v7
	v_fma_f32 v10, -v4, v8, 1.0
	v_fmac_f32_e32 v8, v10, v8
	v_mul_f32_e32 v9, v5, v7
	v_mul_f32_e32 v10, v6, v8
	v_fma_f32 v11, -v3, v9, v5
	v_fma_f32 v12, -v4, v10, v6
	v_fmac_f32_e32 v9, v11, v7
	v_fmac_f32_e32 v10, v12, v8
	v_fma_f32 v3, -v3, v9, v5
	v_fma_f32 v4, -v4, v10, v6
	v_div_fmas_f32 v3, v3, v7, v9
	s_mov_b64 vcc, s[6:7]
	v_div_fmas_f32 v4, v4, v8, v10
	v_max_f32_e64 v7, -v1, -v1
	s_waitcnt lgkmcnt(0)
	v_min_f32_e32 v13, v7, v2
	v_max_f32_e32 v2, v7, v2
	v_frexp_exp_i32_f32_e32 v7, v2
	v_frexp_mant_f32_e32 v2, v2
	v_rcp_f32_e32 v2, v2
	s_mov_b32 s6, 0x7f800000
	v_mov_b32_e32 v5, 0x7f800000
	s_mov_b32 s7, 0x800000
	v_mov_b32_e32 v6, 0x41b17218
	v_mov_b32_e32 v8, 0xbc7a590c
	v_mov_b32_e32 v9, 0x3d29fb3f
	v_mov_b32_e32 v10, 0xbd97d4d7
	v_div_fixup_f32 v14, v3, s16, v1
	v_mov_b32_e32 v11, 0x3dd931b2
	v_div_fixup_f32 v15, v4, s16, v0
	v_max_f32_e64 v16, |v14|, |v15|
	v_cvt_f64_f32_e32 v[3:4], v16
	v_cmp_neq_f32_e32 vcc, s6, v16
	v_mov_b32_e32 v12, 0xbe1160e6
	v_frexp_exp_i32_f64_e32 v3, v[3:4]
	v_frexp_exp_i32_f32_e32 v4, v13
	v_frexp_mant_f32_e32 v13, v13
	v_sub_u32_e32 v4, v4, v7
	v_mul_f32_e32 v2, v13, v2
	v_ldexp_f32 v4, v2, v4
	v_mul_f32_e32 v2, v4, v4
	v_fmac_f32_e32 v8, 0x3b2d2a58, v2
	v_sub_u32_e32 v7, 0, v3
	v_ldexp_f32 v13, |v14|, v7
	v_ldexp_f32 v7, |v15|, v7
	v_mul_f32_e32 v7, v7, v7
	v_fmac_f32_e32 v7, v13, v13
	v_sqrt_f32_e32 v7, v7
	v_fmac_f32_e32 v9, v2, v8
	v_fmac_f32_e32 v10, v2, v9
	;; [unrolled: 1-line block ×3, first 2 shown]
	v_ldexp_f32 v3, v7, v3
	v_cndmask_b32_e32 v3, v5, v3, vcc
	v_cmp_gt_f32_e32 vcc, s7, v3
	v_cndmask_b32_e64 v5, 0, 32, vcc
	v_ldexp_f32 v3, v3, v5
	v_log_f32_e32 v3, v3
	v_cndmask_b32_e32 v5, 0, v6, vcc
	v_fmac_f32_e32 v12, v2, v11
	v_mul_f32_e32 v6, 0x3f317217, v3
	v_fma_f32 v6, v3, s17, -v6
	v_fmac_f32_e32 v6, 0x3377d1cf, v3
	v_fmac_f32_e32 v6, 0x3f317217, v3
	v_cmp_lt_f32_e64 vcc, |v3|, s6
	v_cndmask_b32_e32 v3, v3, v6, vcc
	v_sub_f32_e32 v3, v3, v5
	v_mov_b32_e32 v5, 0x3e4cb8bf
	v_fmac_f32_e32 v5, v2, v12
	v_mov_b32_e32 v6, 0xbeaaaa62
	v_fmac_f32_e32 v6, v2, v5
	v_mul_f32_e32 v2, v2, v6
	v_add_f32_e32 v3, 1.0, v3
	v_fmac_f32_e32 v4, v4, v2
.LBB9_83:
	s_or_b64 exec, exec, s[14:15]
	s_waitcnt lgkmcnt(0)
	v_sub_f32_e32 v2, 0x3fc90fdb, v4
	v_cndmask_b32_e64 v2, v4, v2, s[4:5]
	v_cmp_neq_f32_e32 vcc, 0, v0
	s_mov_b32 s4, 0xff800000
	v_cndmask_b32_e32 v2, 0, v2, vcc
	v_cmp_eq_f32_e32 vcc, s4, v1
	s_movk_i32 s4, 0x204
	v_cmp_class_f32_e64 s[4:5], v0, s4
	v_mov_b32_e32 v4, 0x3f490fdb
	s_and_b64 vcc, vcc, s[4:5]
	v_cndmask_b32_e32 v2, v2, v4, vcc
	v_xor_b32_e32 v4, 0x80000000, v0
	s_brev_b32 s4, -2
	v_bfi_b32 v6, s4, v2, v4
.LBB9_84:
	s_or_b64 exec, exec, s[12:13]
	s_waitcnt lgkmcnt(0)
	v_add_f32_e32 v2, 0x3f317218, v3
	s_brev_b32 s4, -2
	v_bfi_b32 v1, s4, v2, v1
	v_bfi_b32 v0, s4, v6, v0
.LBB9_85:
	s_or_b64 exec, exec, s[10:11]
	s_andn2_saveexec_b64 s[4:5], s[8:9]
	s_cbranch_execz .LBB9_2
.LBB9_86:
	s_mov_b32 s8, 0x7f800000
	v_cmp_neq_f32_e64 s[6:7], |v1|, s8
                                        ; implicit-def: $vgpr2
                                        ; implicit-def: $vgpr3
	s_and_saveexec_b64 s[10:11], s[6:7]
	s_xor_b64 s[6:7], exec, s[10:11]
	s_cbranch_execz .LBB9_96
; %bb.87:
	v_cmp_neq_f32_e64 s[8:9], |v0|, s8
                                        ; implicit-def: $vgpr2
                                        ; implicit-def: $vgpr3
	s_and_saveexec_b64 s[10:11], s[8:9]
	s_xor_b64 s[8:9], exec, s[10:11]
	s_cbranch_execz .LBB9_93
; %bb.88:
	v_cmp_neq_f32_e32 vcc, 0, v0
                                        ; implicit-def: $vgpr2
	s_and_saveexec_b64 s[10:11], vcc
	s_xor_b64 s[10:11], exec, s[10:11]
	s_cbranch_execz .LBB9_90
; %bb.89:
	v_add_f32_e32 v1, 0, v1
	s_waitcnt lgkmcnt(0)
	v_add_f32_e32 v2, v1, v0
                                        ; implicit-def: $vgpr1
                                        ; implicit-def: $vgpr0
.LBB9_90:
	s_or_saveexec_b64 s[10:11], s[10:11]
	s_waitcnt lgkmcnt(0)
	v_mov_b32_e32 v3, v2
	s_xor_b64 exec, exec, s[10:11]
; %bb.91:
	v_add_f32_e32 v3, v1, v1
	v_mov_b32_e32 v2, v0
; %bb.92:
	s_or_b64 exec, exec, s[10:11]
                                        ; implicit-def: $vgpr1
                                        ; implicit-def: $vgpr0
.LBB9_93:
	s_andn2_saveexec_b64 s[8:9], s[8:9]
	s_cbranch_execz .LBB9_95
; %bb.94:
	s_waitcnt lgkmcnt(0)
	v_add_f32_e32 v2, v1, v1
	v_mov_b32_e32 v3, v0
.LBB9_95:
	s_or_b64 exec, exec, s[8:9]
                                        ; implicit-def: $vgpr0
                                        ; implicit-def: $vgpr1
.LBB9_96:
	s_andn2_saveexec_b64 s[6:7], s[6:7]
	s_cbranch_execz .LBB9_98
; %bb.97:
	s_waitcnt lgkmcnt(0)
	v_add_f32_e32 v2, v0, v0
	v_mov_b32_e32 v3, v1
.LBB9_98:
	s_or_b64 exec, exec, s[6:7]
	v_mov_b32_e32 v1, v3
	s_waitcnt lgkmcnt(0)
	v_mov_b32_e32 v0, v2
	s_or_b64 exec, exec, s[4:5]
	s_setpc_b64 s[30:31]
.Lfunc_end9:
	.size	_ZN3c104guts5applyIRZZZN2at6native16asin_kernel_cudaERNS2_18TensorIteratorBaseEENKUlvE_clEvENKUlvE0_clEvEUlNS_7complexIfEEE_RSt5tupleIJS9_EEEEDaOT_OT0_, .Lfunc_end9-_ZN3c104guts5applyIRZZZN2at6native16asin_kernel_cudaERNS2_18TensorIteratorBaseEENKUlvE_clEvENKUlvE0_clEvEUlNS_7complexIfEEE_RSt5tupleIJS9_EEEEDaOT_OT0_
                                        ; -- End function
	.set .L_ZN3c104guts5applyIRZZZN2at6native16asin_kernel_cudaERNS2_18TensorIteratorBaseEENKUlvE_clEvENKUlvE0_clEvEUlNS_7complexIfEEE_RSt5tupleIJS9_EEEEDaOT_OT0_.num_vgpr, 20
	.set .L_ZN3c104guts5applyIRZZZN2at6native16asin_kernel_cudaERNS2_18TensorIteratorBaseEENKUlvE_clEvENKUlvE0_clEvEUlNS_7complexIfEEE_RSt5tupleIJS9_EEEEDaOT_OT0_.num_agpr, 0
	.set .L_ZN3c104guts5applyIRZZZN2at6native16asin_kernel_cudaERNS2_18TensorIteratorBaseEENKUlvE_clEvENKUlvE0_clEvEUlNS_7complexIfEEE_RSt5tupleIJS9_EEEEDaOT_OT0_.numbered_sgpr, 33
	.set .L_ZN3c104guts5applyIRZZZN2at6native16asin_kernel_cudaERNS2_18TensorIteratorBaseEENKUlvE_clEvENKUlvE0_clEvEUlNS_7complexIfEEE_RSt5tupleIJS9_EEEEDaOT_OT0_.num_named_barrier, 0
	.set .L_ZN3c104guts5applyIRZZZN2at6native16asin_kernel_cudaERNS2_18TensorIteratorBaseEENKUlvE_clEvENKUlvE0_clEvEUlNS_7complexIfEEE_RSt5tupleIJS9_EEEEDaOT_OT0_.private_seg_size, 12
	.set .L_ZN3c104guts5applyIRZZZN2at6native16asin_kernel_cudaERNS2_18TensorIteratorBaseEENKUlvE_clEvENKUlvE0_clEvEUlNS_7complexIfEEE_RSt5tupleIJS9_EEEEDaOT_OT0_.uses_vcc, 1
	.set .L_ZN3c104guts5applyIRZZZN2at6native16asin_kernel_cudaERNS2_18TensorIteratorBaseEENKUlvE_clEvENKUlvE0_clEvEUlNS_7complexIfEEE_RSt5tupleIJS9_EEEEDaOT_OT0_.uses_flat_scratch, 0
	.set .L_ZN3c104guts5applyIRZZZN2at6native16asin_kernel_cudaERNS2_18TensorIteratorBaseEENKUlvE_clEvENKUlvE0_clEvEUlNS_7complexIfEEE_RSt5tupleIJS9_EEEEDaOT_OT0_.has_dyn_sized_stack, 0
	.set .L_ZN3c104guts5applyIRZZZN2at6native16asin_kernel_cudaERNS2_18TensorIteratorBaseEENKUlvE_clEvENKUlvE0_clEvEUlNS_7complexIfEEE_RSt5tupleIJS9_EEEEDaOT_OT0_.has_recursion, 0
	.set .L_ZN3c104guts5applyIRZZZN2at6native16asin_kernel_cudaERNS2_18TensorIteratorBaseEENKUlvE_clEvENKUlvE0_clEvEUlNS_7complexIfEEE_RSt5tupleIJS9_EEEEDaOT_OT0_.has_indirect_call, 0
	.section	.AMDGPU.csdata,"",@progbits
; Function info:
; codeLenInByte = 7340
; TotalNumSgprs: 37
; NumVgprs: 20
; ScratchSize: 12
; MemoryBound: 0
	.section	.text._ZN2at6native29vectorized_elementwise_kernelILi16EZZZNS0_16asin_kernel_cudaERNS_18TensorIteratorBaseEENKUlvE_clEvENKUlvE0_clEvEUlN3c107complexIfEEE_St5arrayIPcLm2EEEEviT0_T1_,"axG",@progbits,_ZN2at6native29vectorized_elementwise_kernelILi16EZZZNS0_16asin_kernel_cudaERNS_18TensorIteratorBaseEENKUlvE_clEvENKUlvE0_clEvEUlN3c107complexIfEEE_St5arrayIPcLm2EEEEviT0_T1_,comdat
	.globl	_ZN2at6native29vectorized_elementwise_kernelILi16EZZZNS0_16asin_kernel_cudaERNS_18TensorIteratorBaseEENKUlvE_clEvENKUlvE0_clEvEUlN3c107complexIfEEE_St5arrayIPcLm2EEEEviT0_T1_ ; -- Begin function _ZN2at6native29vectorized_elementwise_kernelILi16EZZZNS0_16asin_kernel_cudaERNS_18TensorIteratorBaseEENKUlvE_clEvENKUlvE0_clEvEUlN3c107complexIfEEE_St5arrayIPcLm2EEEEviT0_T1_
	.p2align	8
	.type	_ZN2at6native29vectorized_elementwise_kernelILi16EZZZNS0_16asin_kernel_cudaERNS_18TensorIteratorBaseEENKUlvE_clEvENKUlvE0_clEvEUlN3c107complexIfEEE_St5arrayIPcLm2EEEEviT0_T1_,@function
_ZN2at6native29vectorized_elementwise_kernelILi16EZZZNS0_16asin_kernel_cudaERNS_18TensorIteratorBaseEENKUlvE_clEvENKUlvE0_clEvEUlN3c107complexIfEEE_St5arrayIPcLm2EEEEviT0_T1_: ; @_ZN2at6native29vectorized_elementwise_kernelILi16EZZZNS0_16asin_kernel_cudaERNS_18TensorIteratorBaseEENKUlvE_clEvENKUlvE0_clEvEUlN3c107complexIfEEE_St5arrayIPcLm2EEEEviT0_T1_
; %bb.0:
	s_add_u32 flat_scratch_lo, s6, s9
	s_load_dword s6, s[4:5], 0x0
	s_load_dwordx4 s[36:39], s[4:5], 0x8
	s_addc_u32 flat_scratch_hi, s7, 0
	s_add_u32 s0, s0, s9
	s_addc_u32 s1, s1, 0
	s_lshl_b32 s28, s8, 10
	s_waitcnt lgkmcnt(0)
	s_sub_i32 s33, s6, s28
	v_mov_b32_e32 v32, v0
	s_cmpk_gt_i32 s33, 0x3ff
	s_mov_b64 s[4:5], -1
	s_mov_b32 s32, 0
	s_cbranch_scc0 .LBB10_2
; %bb.1:
	s_ashr_i32 s29, s28, 31
	s_lshl_b64 s[26:27], s[28:29], 3
	s_add_u32 s4, s38, s26
	s_addc_u32 s5, s39, s27
	v_lshlrev_b32_e32 v28, 5, v32
	global_load_dwordx4 v[20:23], v28, s[4:5]
	global_load_dwordx4 v[24:27], v28, s[4:5] offset:16
	s_getpc_b64 s[34:35]
	s_add_u32 s34, s34, _ZN3c104guts5applyIRZZZN2at6native16asin_kernel_cudaERNS2_18TensorIteratorBaseEENKUlvE_clEvENKUlvE0_clEvEUlNS_7complexIfEEE_RSt5tupleIJS9_EEEEDaOT_OT0_@rel32@lo+4
	s_addc_u32 s35, s35, _ZN3c104guts5applyIRZZZN2at6native16asin_kernel_cudaERNS2_18TensorIteratorBaseEENKUlvE_clEvENKUlvE0_clEvEUlNS_7complexIfEEE_RSt5tupleIJS9_EEEEDaOT_OT0_@rel32@hi+12
	s_waitcnt vmcnt(1)
	v_mov_b32_e32 v0, v20
	v_mov_b32_e32 v1, v21
	s_swappc_b64 s[30:31], s[34:35]
	v_mov_b32_e32 v20, v0
	v_mov_b32_e32 v21, v1
	v_mov_b32_e32 v0, v22
	v_mov_b32_e32 v1, v23
	s_swappc_b64 s[30:31], s[34:35]
	v_mov_b32_e32 v22, v0
	v_mov_b32_e32 v23, v1
	;; [unrolled: 5-line block ×3, first 2 shown]
	v_mov_b32_e32 v0, v26
	v_mov_b32_e32 v1, v27
	s_swappc_b64 s[30:31], s[34:35]
	s_add_u32 s4, s36, s26
	s_addc_u32 s5, s37, s27
	v_mov_b32_e32 v26, v0
	v_mov_b32_e32 v27, v1
	global_store_dwordx4 v28, v[20:23], s[4:5]
	global_store_dwordx4 v28, v[24:27], s[4:5] offset:16
	s_mov_b64 s[4:5], 0
.LBB10_2:
	s_andn2_b64 vcc, exec, s[4:5]
	s_cbranch_vccnz .LBB10_23
; %bb.3:
	v_cmp_gt_i32_e64 s[26:27], s33, v32
	v_mov_b32_e32 v21, 0
	v_or_b32_e32 v33, s28, v32
	v_mov_b32_e32 v1, 0
	v_mov_b32_e32 v0, 0
	;; [unrolled: 1-line block ×3, first 2 shown]
	s_and_saveexec_b64 s[4:5], s[26:27]
	s_cbranch_execz .LBB10_5
; %bb.4:
	v_mov_b32_e32 v34, 0
	v_lshlrev_b64 v[0:1], 3, v[33:34]
	v_mov_b32_e32 v2, s39
	v_add_co_u32_e32 v0, vcc, s38, v0
	v_addc_co_u32_e32 v1, vcc, v2, v1, vcc
	global_load_dwordx2 v[0:1], v[0:1], off
	v_or_b32_e32 v2, 0x100, v32
.LBB10_5:
	s_or_b64 exec, exec, s[4:5]
	v_cmp_gt_i32_e32 vcc, s33, v2
	v_mov_b32_e32 v20, 0
	s_and_saveexec_b64 s[4:5], vcc
	s_cbranch_execz .LBB10_7
; %bb.6:
	v_add_u32_e32 v3, s28, v2
	v_mov_b32_e32 v4, 0
	v_lshlrev_b64 v[3:4], 3, v[3:4]
	v_mov_b32_e32 v5, s39
	v_add_co_u32_e32 v3, vcc, s38, v3
	v_addc_co_u32_e32 v4, vcc, v5, v4, vcc
	global_load_dwordx2 v[20:21], v[3:4], off
	v_add_u32_e32 v2, 0x100, v2
.LBB10_7:
	s_or_b64 exec, exec, s[4:5]
	v_cmp_gt_i32_e32 vcc, s33, v2
	v_mov_b32_e32 v25, 0
	v_mov_b32_e32 v31, 0
	;; [unrolled: 1-line block ×3, first 2 shown]
	s_and_saveexec_b64 s[4:5], vcc
	s_cbranch_execz .LBB10_9
; %bb.8:
	v_add_u32_e32 v3, s28, v2
	v_mov_b32_e32 v4, 0
	v_lshlrev_b64 v[3:4], 3, v[3:4]
	v_mov_b32_e32 v5, s39
	v_add_co_u32_e32 v3, vcc, s38, v3
	v_addc_co_u32_e32 v4, vcc, v5, v4, vcc
	global_load_dwordx2 v[30:31], v[3:4], off
	v_add_u32_e32 v2, 0x100, v2
.LBB10_9:
	s_or_b64 exec, exec, s[4:5]
	v_cmp_gt_i32_e32 vcc, s33, v2
	v_mov_b32_e32 v24, 0
	s_and_saveexec_b64 s[4:5], vcc
	s_cbranch_execz .LBB10_11
; %bb.10:
	v_add_u32_e32 v2, s28, v2
	v_mov_b32_e32 v3, 0
	v_lshlrev_b64 v[2:3], 3, v[2:3]
	v_mov_b32_e32 v4, s39
	v_add_co_u32_e32 v2, vcc, s38, v2
	v_addc_co_u32_e32 v3, vcc, v4, v3, vcc
	global_load_dwordx2 v[24:25], v[2:3], off
.LBB10_11:
	s_or_b64 exec, exec, s[4:5]
	v_mov_b32_e32 v23, 0
	v_mov_b32_e32 v27, 0
	;; [unrolled: 1-line block ×3, first 2 shown]
	s_and_saveexec_b64 s[34:35], s[26:27]
	s_cbranch_execz .LBB10_13
; %bb.12:
	s_getpc_b64 s[4:5]
	s_add_u32 s4, s4, _ZN3c104guts5applyIRZZZN2at6native16asin_kernel_cudaERNS2_18TensorIteratorBaseEENKUlvE_clEvENKUlvE0_clEvEUlNS_7complexIfEEE_RSt5tupleIJS9_EEEEDaOT_OT0_@rel32@lo+4
	s_addc_u32 s5, s5, _ZN3c104guts5applyIRZZZN2at6native16asin_kernel_cudaERNS2_18TensorIteratorBaseEENKUlvE_clEvENKUlvE0_clEvEUlNS_7complexIfEEE_RSt5tupleIJS9_EEEEDaOT_OT0_@rel32@hi+12
	s_swappc_b64 s[30:31], s[4:5]
	v_mov_b32_e32 v26, v0
	v_mov_b32_e32 v27, v1
.LBB10_13:
	s_or_b64 exec, exec, s[34:35]
	v_or_b32_e32 v35, 0x100, v32
	v_cmp_gt_i32_e32 vcc, s33, v35
	v_mov_b32_e32 v22, 0
	s_and_saveexec_b64 s[34:35], vcc
	s_cbranch_execz .LBB10_15
; %bb.14:
	s_getpc_b64 s[4:5]
	s_add_u32 s4, s4, _ZN3c104guts5applyIRZZZN2at6native16asin_kernel_cudaERNS2_18TensorIteratorBaseEENKUlvE_clEvENKUlvE0_clEvEUlNS_7complexIfEEE_RSt5tupleIJS9_EEEEDaOT_OT0_@rel32@lo+4
	s_addc_u32 s5, s5, _ZN3c104guts5applyIRZZZN2at6native16asin_kernel_cudaERNS2_18TensorIteratorBaseEENKUlvE_clEvENKUlvE0_clEvEUlNS_7complexIfEEE_RSt5tupleIJS9_EEEEDaOT_OT0_@rel32@hi+12
	s_waitcnt vmcnt(0)
	v_mov_b32_e32 v0, v20
	v_mov_b32_e32 v1, v21
	s_swappc_b64 s[30:31], s[4:5]
	v_mov_b32_e32 v22, v0
	v_mov_b32_e32 v23, v1
.LBB10_15:
	s_or_b64 exec, exec, s[34:35]
	s_waitcnt vmcnt(0)
	v_or_b32_e32 v0, 0x200, v32
	v_cmp_gt_i32_e32 vcc, s33, v0
	v_mov_b32_e32 v21, 0
	v_mov_b32_e32 v29, 0
	;; [unrolled: 1-line block ×3, first 2 shown]
	s_and_saveexec_b64 s[34:35], vcc
	s_cbranch_execz .LBB10_17
; %bb.16:
	s_getpc_b64 s[4:5]
	s_add_u32 s4, s4, _ZN3c104guts5applyIRZZZN2at6native16asin_kernel_cudaERNS2_18TensorIteratorBaseEENKUlvE_clEvENKUlvE0_clEvEUlNS_7complexIfEEE_RSt5tupleIJS9_EEEEDaOT_OT0_@rel32@lo+4
	s_addc_u32 s5, s5, _ZN3c104guts5applyIRZZZN2at6native16asin_kernel_cudaERNS2_18TensorIteratorBaseEENKUlvE_clEvENKUlvE0_clEvEUlNS_7complexIfEEE_RSt5tupleIJS9_EEEEDaOT_OT0_@rel32@hi+12
	v_mov_b32_e32 v0, v30
	v_mov_b32_e32 v1, v31
	s_swappc_b64 s[30:31], s[4:5]
	v_mov_b32_e32 v28, v0
	v_mov_b32_e32 v29, v1
.LBB10_17:
	s_or_b64 exec, exec, s[34:35]
	v_or_b32_e32 v0, 0x300, v32
	v_cmp_gt_i32_e32 vcc, s33, v0
	v_mov_b32_e32 v20, 0
	s_and_saveexec_b64 s[34:35], vcc
	s_cbranch_execnz .LBB10_24
; %bb.18:
	s_or_b64 exec, exec, s[34:35]
	s_and_saveexec_b64 s[4:5], s[26:27]
	s_xor_b64 s[4:5], exec, s[4:5]
	s_cbranch_execnz .LBB10_25
.LBB10_19:
	s_or_b64 exec, exec, s[4:5]
	v_cmp_gt_i32_e32 vcc, s33, v32
	s_and_saveexec_b64 s[4:5], vcc
	s_cbranch_execnz .LBB10_26
.LBB10_20:
	s_or_b64 exec, exec, s[4:5]
	v_cmp_gt_i32_e32 vcc, s33, v32
	s_and_saveexec_b64 s[4:5], vcc
	s_cbranch_execnz .LBB10_27
.LBB10_21:
	s_or_b64 exec, exec, s[4:5]
	v_cmp_gt_i32_e32 vcc, s33, v32
	s_and_saveexec_b64 s[4:5], vcc
	s_cbranch_execz .LBB10_23
.LBB10_22:
	v_add_u32_e32 v0, s28, v32
	v_mov_b32_e32 v1, 0
	v_lshlrev_b64 v[0:1], 3, v[0:1]
	v_mov_b32_e32 v2, s37
	v_add_co_u32_e32 v0, vcc, s36, v0
	v_addc_co_u32_e32 v1, vcc, v2, v1, vcc
	global_store_dwordx2 v[0:1], v[20:21], off
.LBB10_23:
	s_endpgm
.LBB10_24:
	s_getpc_b64 s[4:5]
	s_add_u32 s4, s4, _ZN3c104guts5applyIRZZZN2at6native16asin_kernel_cudaERNS2_18TensorIteratorBaseEENKUlvE_clEvENKUlvE0_clEvEUlNS_7complexIfEEE_RSt5tupleIJS9_EEEEDaOT_OT0_@rel32@lo+4
	s_addc_u32 s5, s5, _ZN3c104guts5applyIRZZZN2at6native16asin_kernel_cudaERNS2_18TensorIteratorBaseEENKUlvE_clEvENKUlvE0_clEvEUlNS_7complexIfEEE_RSt5tupleIJS9_EEEEDaOT_OT0_@rel32@hi+12
	v_mov_b32_e32 v0, v24
	v_mov_b32_e32 v1, v25
	s_swappc_b64 s[30:31], s[4:5]
	v_mov_b32_e32 v20, v0
	v_mov_b32_e32 v21, v1
	s_or_b64 exec, exec, s[34:35]
	s_and_saveexec_b64 s[4:5], s[26:27]
	s_xor_b64 s[4:5], exec, s[4:5]
	s_cbranch_execz .LBB10_19
.LBB10_25:
	v_mov_b32_e32 v34, 0
	v_lshlrev_b64 v[0:1], 3, v[33:34]
	v_mov_b32_e32 v2, s37
	v_add_co_u32_e32 v0, vcc, s36, v0
	v_addc_co_u32_e32 v1, vcc, v2, v1, vcc
	v_mov_b32_e32 v32, v35
	global_store_dwordx2 v[0:1], v[26:27], off
	s_or_b64 exec, exec, s[4:5]
	v_cmp_gt_i32_e32 vcc, s33, v32
	s_and_saveexec_b64 s[4:5], vcc
	s_cbranch_execz .LBB10_20
.LBB10_26:
	v_add_u32_e32 v0, s28, v32
	v_mov_b32_e32 v1, 0
	v_lshlrev_b64 v[0:1], 3, v[0:1]
	v_add_u32_e32 v2, 0x100, v32
	v_mov_b32_e32 v3, s37
	v_add_co_u32_e32 v0, vcc, s36, v0
	v_addc_co_u32_e32 v1, vcc, v3, v1, vcc
	v_mov_b32_e32 v32, v2
	global_store_dwordx2 v[0:1], v[22:23], off
	s_or_b64 exec, exec, s[4:5]
	v_cmp_gt_i32_e32 vcc, s33, v32
	s_and_saveexec_b64 s[4:5], vcc
	s_cbranch_execz .LBB10_21
.LBB10_27:
	v_add_u32_e32 v0, s28, v32
	v_mov_b32_e32 v1, 0
	v_lshlrev_b64 v[0:1], 3, v[0:1]
	v_add_u32_e32 v2, 0x100, v32
	v_mov_b32_e32 v3, s37
	v_add_co_u32_e32 v0, vcc, s36, v0
	v_addc_co_u32_e32 v1, vcc, v3, v1, vcc
	v_mov_b32_e32 v32, v2
	global_store_dwordx2 v[0:1], v[28:29], off
	s_or_b64 exec, exec, s[4:5]
	v_cmp_gt_i32_e32 vcc, s33, v32
	s_and_saveexec_b64 s[4:5], vcc
	s_cbranch_execnz .LBB10_22
	s_branch .LBB10_23
	.section	.rodata,"a",@progbits
	.p2align	6, 0x0
	.amdhsa_kernel _ZN2at6native29vectorized_elementwise_kernelILi16EZZZNS0_16asin_kernel_cudaERNS_18TensorIteratorBaseEENKUlvE_clEvENKUlvE0_clEvEUlN3c107complexIfEEE_St5arrayIPcLm2EEEEviT0_T1_
		.amdhsa_group_segment_fixed_size 0
		.amdhsa_private_segment_fixed_size 12
		.amdhsa_kernarg_size 24
		.amdhsa_user_sgpr_count 8
		.amdhsa_user_sgpr_private_segment_buffer 1
		.amdhsa_user_sgpr_dispatch_ptr 0
		.amdhsa_user_sgpr_queue_ptr 0
		.amdhsa_user_sgpr_kernarg_segment_ptr 1
		.amdhsa_user_sgpr_dispatch_id 0
		.amdhsa_user_sgpr_flat_scratch_init 1
		.amdhsa_user_sgpr_private_segment_size 0
		.amdhsa_uses_dynamic_stack 0
		.amdhsa_system_sgpr_private_segment_wavefront_offset 1
		.amdhsa_system_sgpr_workgroup_id_x 1
		.amdhsa_system_sgpr_workgroup_id_y 0
		.amdhsa_system_sgpr_workgroup_id_z 0
		.amdhsa_system_sgpr_workgroup_info 0
		.amdhsa_system_vgpr_workitem_id 0
		.amdhsa_next_free_vgpr 36
		.amdhsa_next_free_sgpr 40
		.amdhsa_reserve_vcc 1
		.amdhsa_reserve_flat_scratch 1
		.amdhsa_float_round_mode_32 0
		.amdhsa_float_round_mode_16_64 0
		.amdhsa_float_denorm_mode_32 3
		.amdhsa_float_denorm_mode_16_64 3
		.amdhsa_dx10_clamp 1
		.amdhsa_ieee_mode 1
		.amdhsa_fp16_overflow 0
		.amdhsa_exception_fp_ieee_invalid_op 0
		.amdhsa_exception_fp_denorm_src 0
		.amdhsa_exception_fp_ieee_div_zero 0
		.amdhsa_exception_fp_ieee_overflow 0
		.amdhsa_exception_fp_ieee_underflow 0
		.amdhsa_exception_fp_ieee_inexact 0
		.amdhsa_exception_int_div_zero 0
	.end_amdhsa_kernel
	.section	.text._ZN2at6native29vectorized_elementwise_kernelILi16EZZZNS0_16asin_kernel_cudaERNS_18TensorIteratorBaseEENKUlvE_clEvENKUlvE0_clEvEUlN3c107complexIfEEE_St5arrayIPcLm2EEEEviT0_T1_,"axG",@progbits,_ZN2at6native29vectorized_elementwise_kernelILi16EZZZNS0_16asin_kernel_cudaERNS_18TensorIteratorBaseEENKUlvE_clEvENKUlvE0_clEvEUlN3c107complexIfEEE_St5arrayIPcLm2EEEEviT0_T1_,comdat
.Lfunc_end10:
	.size	_ZN2at6native29vectorized_elementwise_kernelILi16EZZZNS0_16asin_kernel_cudaERNS_18TensorIteratorBaseEENKUlvE_clEvENKUlvE0_clEvEUlN3c107complexIfEEE_St5arrayIPcLm2EEEEviT0_T1_, .Lfunc_end10-_ZN2at6native29vectorized_elementwise_kernelILi16EZZZNS0_16asin_kernel_cudaERNS_18TensorIteratorBaseEENKUlvE_clEvENKUlvE0_clEvEUlN3c107complexIfEEE_St5arrayIPcLm2EEEEviT0_T1_
                                        ; -- End function
	.set _ZN2at6native29vectorized_elementwise_kernelILi16EZZZNS0_16asin_kernel_cudaERNS_18TensorIteratorBaseEENKUlvE_clEvENKUlvE0_clEvEUlN3c107complexIfEEE_St5arrayIPcLm2EEEEviT0_T1_.num_vgpr, max(36, .L_ZN3c104guts5applyIRZZZN2at6native16asin_kernel_cudaERNS2_18TensorIteratorBaseEENKUlvE_clEvENKUlvE0_clEvEUlNS_7complexIfEEE_RSt5tupleIJS9_EEEEDaOT_OT0_.num_vgpr)
	.set _ZN2at6native29vectorized_elementwise_kernelILi16EZZZNS0_16asin_kernel_cudaERNS_18TensorIteratorBaseEENKUlvE_clEvENKUlvE0_clEvEUlN3c107complexIfEEE_St5arrayIPcLm2EEEEviT0_T1_.num_agpr, max(0, .L_ZN3c104guts5applyIRZZZN2at6native16asin_kernel_cudaERNS2_18TensorIteratorBaseEENKUlvE_clEvENKUlvE0_clEvEUlNS_7complexIfEEE_RSt5tupleIJS9_EEEEDaOT_OT0_.num_agpr)
	.set _ZN2at6native29vectorized_elementwise_kernelILi16EZZZNS0_16asin_kernel_cudaERNS_18TensorIteratorBaseEENKUlvE_clEvENKUlvE0_clEvEUlN3c107complexIfEEE_St5arrayIPcLm2EEEEviT0_T1_.numbered_sgpr, max(40, .L_ZN3c104guts5applyIRZZZN2at6native16asin_kernel_cudaERNS2_18TensorIteratorBaseEENKUlvE_clEvENKUlvE0_clEvEUlNS_7complexIfEEE_RSt5tupleIJS9_EEEEDaOT_OT0_.numbered_sgpr)
	.set _ZN2at6native29vectorized_elementwise_kernelILi16EZZZNS0_16asin_kernel_cudaERNS_18TensorIteratorBaseEENKUlvE_clEvENKUlvE0_clEvEUlN3c107complexIfEEE_St5arrayIPcLm2EEEEviT0_T1_.num_named_barrier, max(0, .L_ZN3c104guts5applyIRZZZN2at6native16asin_kernel_cudaERNS2_18TensorIteratorBaseEENKUlvE_clEvENKUlvE0_clEvEUlNS_7complexIfEEE_RSt5tupleIJS9_EEEEDaOT_OT0_.num_named_barrier)
	.set _ZN2at6native29vectorized_elementwise_kernelILi16EZZZNS0_16asin_kernel_cudaERNS_18TensorIteratorBaseEENKUlvE_clEvENKUlvE0_clEvEUlN3c107complexIfEEE_St5arrayIPcLm2EEEEviT0_T1_.private_seg_size, 0+max(.L_ZN3c104guts5applyIRZZZN2at6native16asin_kernel_cudaERNS2_18TensorIteratorBaseEENKUlvE_clEvENKUlvE0_clEvEUlNS_7complexIfEEE_RSt5tupleIJS9_EEEEDaOT_OT0_.private_seg_size)
	.set _ZN2at6native29vectorized_elementwise_kernelILi16EZZZNS0_16asin_kernel_cudaERNS_18TensorIteratorBaseEENKUlvE_clEvENKUlvE0_clEvEUlN3c107complexIfEEE_St5arrayIPcLm2EEEEviT0_T1_.uses_vcc, or(1, .L_ZN3c104guts5applyIRZZZN2at6native16asin_kernel_cudaERNS2_18TensorIteratorBaseEENKUlvE_clEvENKUlvE0_clEvEUlNS_7complexIfEEE_RSt5tupleIJS9_EEEEDaOT_OT0_.uses_vcc)
	.set _ZN2at6native29vectorized_elementwise_kernelILi16EZZZNS0_16asin_kernel_cudaERNS_18TensorIteratorBaseEENKUlvE_clEvENKUlvE0_clEvEUlN3c107complexIfEEE_St5arrayIPcLm2EEEEviT0_T1_.uses_flat_scratch, or(1, .L_ZN3c104guts5applyIRZZZN2at6native16asin_kernel_cudaERNS2_18TensorIteratorBaseEENKUlvE_clEvENKUlvE0_clEvEUlNS_7complexIfEEE_RSt5tupleIJS9_EEEEDaOT_OT0_.uses_flat_scratch)
	.set _ZN2at6native29vectorized_elementwise_kernelILi16EZZZNS0_16asin_kernel_cudaERNS_18TensorIteratorBaseEENKUlvE_clEvENKUlvE0_clEvEUlN3c107complexIfEEE_St5arrayIPcLm2EEEEviT0_T1_.has_dyn_sized_stack, or(0, .L_ZN3c104guts5applyIRZZZN2at6native16asin_kernel_cudaERNS2_18TensorIteratorBaseEENKUlvE_clEvENKUlvE0_clEvEUlNS_7complexIfEEE_RSt5tupleIJS9_EEEEDaOT_OT0_.has_dyn_sized_stack)
	.set _ZN2at6native29vectorized_elementwise_kernelILi16EZZZNS0_16asin_kernel_cudaERNS_18TensorIteratorBaseEENKUlvE_clEvENKUlvE0_clEvEUlN3c107complexIfEEE_St5arrayIPcLm2EEEEviT0_T1_.has_recursion, or(0, .L_ZN3c104guts5applyIRZZZN2at6native16asin_kernel_cudaERNS2_18TensorIteratorBaseEENKUlvE_clEvENKUlvE0_clEvEUlNS_7complexIfEEE_RSt5tupleIJS9_EEEEDaOT_OT0_.has_recursion)
	.set _ZN2at6native29vectorized_elementwise_kernelILi16EZZZNS0_16asin_kernel_cudaERNS_18TensorIteratorBaseEENKUlvE_clEvENKUlvE0_clEvEUlN3c107complexIfEEE_St5arrayIPcLm2EEEEviT0_T1_.has_indirect_call, or(0, .L_ZN3c104guts5applyIRZZZN2at6native16asin_kernel_cudaERNS2_18TensorIteratorBaseEENKUlvE_clEvENKUlvE0_clEvEUlNS_7complexIfEEE_RSt5tupleIJS9_EEEEDaOT_OT0_.has_indirect_call)
	.section	.AMDGPU.csdata,"",@progbits
; Kernel info:
; codeLenInByte = 1088
; TotalNumSgprs: 46
; NumVgprs: 36
; ScratchSize: 12
; MemoryBound: 0
; FloatMode: 240
; IeeeMode: 1
; LDSByteSize: 0 bytes/workgroup (compile time only)
; SGPRBlocks: 5
; VGPRBlocks: 8
; NumSGPRsForWavesPerEU: 46
; NumVGPRsForWavesPerEU: 36
; Occupancy: 7
; WaveLimiterHint : 0
; COMPUTE_PGM_RSRC2:SCRATCH_EN: 1
; COMPUTE_PGM_RSRC2:USER_SGPR: 8
; COMPUTE_PGM_RSRC2:TRAP_HANDLER: 0
; COMPUTE_PGM_RSRC2:TGID_X_EN: 1
; COMPUTE_PGM_RSRC2:TGID_Y_EN: 0
; COMPUTE_PGM_RSRC2:TGID_Z_EN: 0
; COMPUTE_PGM_RSRC2:TIDIG_COMP_CNT: 0
	.section	.text._ZN2at6native29vectorized_elementwise_kernelILi8EZZZNS0_16asin_kernel_cudaERNS_18TensorIteratorBaseEENKUlvE_clEvENKUlvE0_clEvEUlN3c107complexIfEEE_St5arrayIPcLm2EEEEviT0_T1_,"axG",@progbits,_ZN2at6native29vectorized_elementwise_kernelILi8EZZZNS0_16asin_kernel_cudaERNS_18TensorIteratorBaseEENKUlvE_clEvENKUlvE0_clEvEUlN3c107complexIfEEE_St5arrayIPcLm2EEEEviT0_T1_,comdat
	.globl	_ZN2at6native29vectorized_elementwise_kernelILi8EZZZNS0_16asin_kernel_cudaERNS_18TensorIteratorBaseEENKUlvE_clEvENKUlvE0_clEvEUlN3c107complexIfEEE_St5arrayIPcLm2EEEEviT0_T1_ ; -- Begin function _ZN2at6native29vectorized_elementwise_kernelILi8EZZZNS0_16asin_kernel_cudaERNS_18TensorIteratorBaseEENKUlvE_clEvENKUlvE0_clEvEUlN3c107complexIfEEE_St5arrayIPcLm2EEEEviT0_T1_
	.p2align	8
	.type	_ZN2at6native29vectorized_elementwise_kernelILi8EZZZNS0_16asin_kernel_cudaERNS_18TensorIteratorBaseEENKUlvE_clEvENKUlvE0_clEvEUlN3c107complexIfEEE_St5arrayIPcLm2EEEEviT0_T1_,@function
_ZN2at6native29vectorized_elementwise_kernelILi8EZZZNS0_16asin_kernel_cudaERNS_18TensorIteratorBaseEENKUlvE_clEvENKUlvE0_clEvEUlN3c107complexIfEEE_St5arrayIPcLm2EEEEviT0_T1_: ; @_ZN2at6native29vectorized_elementwise_kernelILi8EZZZNS0_16asin_kernel_cudaERNS_18TensorIteratorBaseEENKUlvE_clEvENKUlvE0_clEvEUlN3c107complexIfEEE_St5arrayIPcLm2EEEEviT0_T1_
; %bb.0:
	s_add_u32 flat_scratch_lo, s6, s9
	s_load_dword s6, s[4:5], 0x0
	s_load_dwordx4 s[36:39], s[4:5], 0x8
	s_addc_u32 flat_scratch_hi, s7, 0
	s_add_u32 s0, s0, s9
	s_addc_u32 s1, s1, 0
	s_lshl_b32 s28, s8, 10
	s_waitcnt lgkmcnt(0)
	s_sub_i32 s33, s6, s28
	v_mov_b32_e32 v32, v0
	s_cmpk_gt_i32 s33, 0x3ff
	s_mov_b64 s[4:5], -1
	s_mov_b32 s32, 0
	s_cbranch_scc0 .LBB11_2
; %bb.1:
	s_ashr_i32 s29, s28, 31
	s_lshl_b64 s[26:27], s[28:29], 3
	s_add_u32 s4, s38, s26
	s_addc_u32 s5, s39, s27
	v_lshlrev_b32_e32 v28, 5, v32
	global_load_dwordx4 v[20:23], v28, s[4:5]
	global_load_dwordx4 v[24:27], v28, s[4:5] offset:16
	s_getpc_b64 s[34:35]
	s_add_u32 s34, s34, _ZN3c104guts5applyIRZZZN2at6native16asin_kernel_cudaERNS2_18TensorIteratorBaseEENKUlvE_clEvENKUlvE0_clEvEUlNS_7complexIfEEE_RSt5tupleIJS9_EEEEDaOT_OT0_@rel32@lo+4
	s_addc_u32 s35, s35, _ZN3c104guts5applyIRZZZN2at6native16asin_kernel_cudaERNS2_18TensorIteratorBaseEENKUlvE_clEvENKUlvE0_clEvEUlNS_7complexIfEEE_RSt5tupleIJS9_EEEEDaOT_OT0_@rel32@hi+12
	s_waitcnt vmcnt(1)
	v_mov_b32_e32 v0, v20
	v_mov_b32_e32 v1, v21
	s_swappc_b64 s[30:31], s[34:35]
	v_mov_b32_e32 v20, v0
	v_mov_b32_e32 v21, v1
	v_mov_b32_e32 v0, v22
	v_mov_b32_e32 v1, v23
	s_swappc_b64 s[30:31], s[34:35]
	v_mov_b32_e32 v22, v0
	v_mov_b32_e32 v23, v1
	;; [unrolled: 5-line block ×3, first 2 shown]
	v_mov_b32_e32 v0, v26
	v_mov_b32_e32 v1, v27
	s_swappc_b64 s[30:31], s[34:35]
	s_add_u32 s4, s36, s26
	s_addc_u32 s5, s37, s27
	v_mov_b32_e32 v26, v0
	v_mov_b32_e32 v27, v1
	global_store_dwordx4 v28, v[20:23], s[4:5]
	global_store_dwordx4 v28, v[24:27], s[4:5] offset:16
	s_mov_b64 s[4:5], 0
.LBB11_2:
	s_andn2_b64 vcc, exec, s[4:5]
	s_cbranch_vccnz .LBB11_23
; %bb.3:
	v_cmp_gt_i32_e64 s[26:27], s33, v32
	v_mov_b32_e32 v21, 0
	v_or_b32_e32 v33, s28, v32
	v_mov_b32_e32 v1, 0
	v_mov_b32_e32 v0, 0
	;; [unrolled: 1-line block ×3, first 2 shown]
	s_and_saveexec_b64 s[4:5], s[26:27]
	s_cbranch_execz .LBB11_5
; %bb.4:
	v_mov_b32_e32 v34, 0
	v_lshlrev_b64 v[0:1], 3, v[33:34]
	v_mov_b32_e32 v2, s39
	v_add_co_u32_e32 v0, vcc, s38, v0
	v_addc_co_u32_e32 v1, vcc, v2, v1, vcc
	global_load_dwordx2 v[0:1], v[0:1], off
	v_or_b32_e32 v2, 0x100, v32
.LBB11_5:
	s_or_b64 exec, exec, s[4:5]
	v_cmp_gt_i32_e32 vcc, s33, v2
	v_mov_b32_e32 v20, 0
	s_and_saveexec_b64 s[4:5], vcc
	s_cbranch_execz .LBB11_7
; %bb.6:
	v_add_u32_e32 v3, s28, v2
	v_mov_b32_e32 v4, 0
	v_lshlrev_b64 v[3:4], 3, v[3:4]
	v_mov_b32_e32 v5, s39
	v_add_co_u32_e32 v3, vcc, s38, v3
	v_addc_co_u32_e32 v4, vcc, v5, v4, vcc
	global_load_dwordx2 v[20:21], v[3:4], off
	v_add_u32_e32 v2, 0x100, v2
.LBB11_7:
	s_or_b64 exec, exec, s[4:5]
	v_cmp_gt_i32_e32 vcc, s33, v2
	v_mov_b32_e32 v25, 0
	v_mov_b32_e32 v31, 0
	;; [unrolled: 1-line block ×3, first 2 shown]
	s_and_saveexec_b64 s[4:5], vcc
	s_cbranch_execz .LBB11_9
; %bb.8:
	v_add_u32_e32 v3, s28, v2
	v_mov_b32_e32 v4, 0
	v_lshlrev_b64 v[3:4], 3, v[3:4]
	v_mov_b32_e32 v5, s39
	v_add_co_u32_e32 v3, vcc, s38, v3
	v_addc_co_u32_e32 v4, vcc, v5, v4, vcc
	global_load_dwordx2 v[30:31], v[3:4], off
	v_add_u32_e32 v2, 0x100, v2
.LBB11_9:
	s_or_b64 exec, exec, s[4:5]
	v_cmp_gt_i32_e32 vcc, s33, v2
	v_mov_b32_e32 v24, 0
	s_and_saveexec_b64 s[4:5], vcc
	s_cbranch_execz .LBB11_11
; %bb.10:
	v_add_u32_e32 v2, s28, v2
	v_mov_b32_e32 v3, 0
	v_lshlrev_b64 v[2:3], 3, v[2:3]
	v_mov_b32_e32 v4, s39
	v_add_co_u32_e32 v2, vcc, s38, v2
	v_addc_co_u32_e32 v3, vcc, v4, v3, vcc
	global_load_dwordx2 v[24:25], v[2:3], off
.LBB11_11:
	s_or_b64 exec, exec, s[4:5]
	v_mov_b32_e32 v23, 0
	v_mov_b32_e32 v27, 0
	v_mov_b32_e32 v26, 0
	s_and_saveexec_b64 s[34:35], s[26:27]
	s_cbranch_execz .LBB11_13
; %bb.12:
	s_getpc_b64 s[4:5]
	s_add_u32 s4, s4, _ZN3c104guts5applyIRZZZN2at6native16asin_kernel_cudaERNS2_18TensorIteratorBaseEENKUlvE_clEvENKUlvE0_clEvEUlNS_7complexIfEEE_RSt5tupleIJS9_EEEEDaOT_OT0_@rel32@lo+4
	s_addc_u32 s5, s5, _ZN3c104guts5applyIRZZZN2at6native16asin_kernel_cudaERNS2_18TensorIteratorBaseEENKUlvE_clEvENKUlvE0_clEvEUlNS_7complexIfEEE_RSt5tupleIJS9_EEEEDaOT_OT0_@rel32@hi+12
	s_swappc_b64 s[30:31], s[4:5]
	v_mov_b32_e32 v26, v0
	v_mov_b32_e32 v27, v1
.LBB11_13:
	s_or_b64 exec, exec, s[34:35]
	v_or_b32_e32 v35, 0x100, v32
	v_cmp_gt_i32_e32 vcc, s33, v35
	v_mov_b32_e32 v22, 0
	s_and_saveexec_b64 s[34:35], vcc
	s_cbranch_execz .LBB11_15
; %bb.14:
	s_getpc_b64 s[4:5]
	s_add_u32 s4, s4, _ZN3c104guts5applyIRZZZN2at6native16asin_kernel_cudaERNS2_18TensorIteratorBaseEENKUlvE_clEvENKUlvE0_clEvEUlNS_7complexIfEEE_RSt5tupleIJS9_EEEEDaOT_OT0_@rel32@lo+4
	s_addc_u32 s5, s5, _ZN3c104guts5applyIRZZZN2at6native16asin_kernel_cudaERNS2_18TensorIteratorBaseEENKUlvE_clEvENKUlvE0_clEvEUlNS_7complexIfEEE_RSt5tupleIJS9_EEEEDaOT_OT0_@rel32@hi+12
	s_waitcnt vmcnt(0)
	v_mov_b32_e32 v0, v20
	v_mov_b32_e32 v1, v21
	s_swappc_b64 s[30:31], s[4:5]
	v_mov_b32_e32 v22, v0
	v_mov_b32_e32 v23, v1
.LBB11_15:
	s_or_b64 exec, exec, s[34:35]
	s_waitcnt vmcnt(0)
	v_or_b32_e32 v0, 0x200, v32
	v_cmp_gt_i32_e32 vcc, s33, v0
	v_mov_b32_e32 v21, 0
	v_mov_b32_e32 v29, 0
	;; [unrolled: 1-line block ×3, first 2 shown]
	s_and_saveexec_b64 s[34:35], vcc
	s_cbranch_execz .LBB11_17
; %bb.16:
	s_getpc_b64 s[4:5]
	s_add_u32 s4, s4, _ZN3c104guts5applyIRZZZN2at6native16asin_kernel_cudaERNS2_18TensorIteratorBaseEENKUlvE_clEvENKUlvE0_clEvEUlNS_7complexIfEEE_RSt5tupleIJS9_EEEEDaOT_OT0_@rel32@lo+4
	s_addc_u32 s5, s5, _ZN3c104guts5applyIRZZZN2at6native16asin_kernel_cudaERNS2_18TensorIteratorBaseEENKUlvE_clEvENKUlvE0_clEvEUlNS_7complexIfEEE_RSt5tupleIJS9_EEEEDaOT_OT0_@rel32@hi+12
	v_mov_b32_e32 v0, v30
	v_mov_b32_e32 v1, v31
	s_swappc_b64 s[30:31], s[4:5]
	v_mov_b32_e32 v28, v0
	v_mov_b32_e32 v29, v1
.LBB11_17:
	s_or_b64 exec, exec, s[34:35]
	v_or_b32_e32 v0, 0x300, v32
	v_cmp_gt_i32_e32 vcc, s33, v0
	v_mov_b32_e32 v20, 0
	s_and_saveexec_b64 s[34:35], vcc
	s_cbranch_execnz .LBB11_24
; %bb.18:
	s_or_b64 exec, exec, s[34:35]
	s_and_saveexec_b64 s[4:5], s[26:27]
	s_xor_b64 s[4:5], exec, s[4:5]
	s_cbranch_execnz .LBB11_25
.LBB11_19:
	s_or_b64 exec, exec, s[4:5]
	v_cmp_gt_i32_e32 vcc, s33, v32
	s_and_saveexec_b64 s[4:5], vcc
	s_cbranch_execnz .LBB11_26
.LBB11_20:
	s_or_b64 exec, exec, s[4:5]
	v_cmp_gt_i32_e32 vcc, s33, v32
	s_and_saveexec_b64 s[4:5], vcc
	s_cbranch_execnz .LBB11_27
.LBB11_21:
	s_or_b64 exec, exec, s[4:5]
	v_cmp_gt_i32_e32 vcc, s33, v32
	s_and_saveexec_b64 s[4:5], vcc
	s_cbranch_execz .LBB11_23
.LBB11_22:
	v_add_u32_e32 v0, s28, v32
	v_mov_b32_e32 v1, 0
	v_lshlrev_b64 v[0:1], 3, v[0:1]
	v_mov_b32_e32 v2, s37
	v_add_co_u32_e32 v0, vcc, s36, v0
	v_addc_co_u32_e32 v1, vcc, v2, v1, vcc
	global_store_dwordx2 v[0:1], v[20:21], off
.LBB11_23:
	s_endpgm
.LBB11_24:
	s_getpc_b64 s[4:5]
	s_add_u32 s4, s4, _ZN3c104guts5applyIRZZZN2at6native16asin_kernel_cudaERNS2_18TensorIteratorBaseEENKUlvE_clEvENKUlvE0_clEvEUlNS_7complexIfEEE_RSt5tupleIJS9_EEEEDaOT_OT0_@rel32@lo+4
	s_addc_u32 s5, s5, _ZN3c104guts5applyIRZZZN2at6native16asin_kernel_cudaERNS2_18TensorIteratorBaseEENKUlvE_clEvENKUlvE0_clEvEUlNS_7complexIfEEE_RSt5tupleIJS9_EEEEDaOT_OT0_@rel32@hi+12
	v_mov_b32_e32 v0, v24
	v_mov_b32_e32 v1, v25
	s_swappc_b64 s[30:31], s[4:5]
	v_mov_b32_e32 v20, v0
	v_mov_b32_e32 v21, v1
	s_or_b64 exec, exec, s[34:35]
	s_and_saveexec_b64 s[4:5], s[26:27]
	s_xor_b64 s[4:5], exec, s[4:5]
	s_cbranch_execz .LBB11_19
.LBB11_25:
	v_mov_b32_e32 v34, 0
	v_lshlrev_b64 v[0:1], 3, v[33:34]
	v_mov_b32_e32 v2, s37
	v_add_co_u32_e32 v0, vcc, s36, v0
	v_addc_co_u32_e32 v1, vcc, v2, v1, vcc
	v_mov_b32_e32 v32, v35
	global_store_dwordx2 v[0:1], v[26:27], off
	s_or_b64 exec, exec, s[4:5]
	v_cmp_gt_i32_e32 vcc, s33, v32
	s_and_saveexec_b64 s[4:5], vcc
	s_cbranch_execz .LBB11_20
.LBB11_26:
	v_add_u32_e32 v0, s28, v32
	v_mov_b32_e32 v1, 0
	v_lshlrev_b64 v[0:1], 3, v[0:1]
	v_add_u32_e32 v2, 0x100, v32
	v_mov_b32_e32 v3, s37
	v_add_co_u32_e32 v0, vcc, s36, v0
	v_addc_co_u32_e32 v1, vcc, v3, v1, vcc
	v_mov_b32_e32 v32, v2
	global_store_dwordx2 v[0:1], v[22:23], off
	s_or_b64 exec, exec, s[4:5]
	v_cmp_gt_i32_e32 vcc, s33, v32
	s_and_saveexec_b64 s[4:5], vcc
	s_cbranch_execz .LBB11_21
.LBB11_27:
	v_add_u32_e32 v0, s28, v32
	v_mov_b32_e32 v1, 0
	v_lshlrev_b64 v[0:1], 3, v[0:1]
	v_add_u32_e32 v2, 0x100, v32
	v_mov_b32_e32 v3, s37
	v_add_co_u32_e32 v0, vcc, s36, v0
	v_addc_co_u32_e32 v1, vcc, v3, v1, vcc
	v_mov_b32_e32 v32, v2
	global_store_dwordx2 v[0:1], v[28:29], off
	s_or_b64 exec, exec, s[4:5]
	v_cmp_gt_i32_e32 vcc, s33, v32
	s_and_saveexec_b64 s[4:5], vcc
	s_cbranch_execnz .LBB11_22
	s_branch .LBB11_23
	.section	.rodata,"a",@progbits
	.p2align	6, 0x0
	.amdhsa_kernel _ZN2at6native29vectorized_elementwise_kernelILi8EZZZNS0_16asin_kernel_cudaERNS_18TensorIteratorBaseEENKUlvE_clEvENKUlvE0_clEvEUlN3c107complexIfEEE_St5arrayIPcLm2EEEEviT0_T1_
		.amdhsa_group_segment_fixed_size 0
		.amdhsa_private_segment_fixed_size 12
		.amdhsa_kernarg_size 24
		.amdhsa_user_sgpr_count 8
		.amdhsa_user_sgpr_private_segment_buffer 1
		.amdhsa_user_sgpr_dispatch_ptr 0
		.amdhsa_user_sgpr_queue_ptr 0
		.amdhsa_user_sgpr_kernarg_segment_ptr 1
		.amdhsa_user_sgpr_dispatch_id 0
		.amdhsa_user_sgpr_flat_scratch_init 1
		.amdhsa_user_sgpr_private_segment_size 0
		.amdhsa_uses_dynamic_stack 0
		.amdhsa_system_sgpr_private_segment_wavefront_offset 1
		.amdhsa_system_sgpr_workgroup_id_x 1
		.amdhsa_system_sgpr_workgroup_id_y 0
		.amdhsa_system_sgpr_workgroup_id_z 0
		.amdhsa_system_sgpr_workgroup_info 0
		.amdhsa_system_vgpr_workitem_id 0
		.amdhsa_next_free_vgpr 36
		.amdhsa_next_free_sgpr 40
		.amdhsa_reserve_vcc 1
		.amdhsa_reserve_flat_scratch 1
		.amdhsa_float_round_mode_32 0
		.amdhsa_float_round_mode_16_64 0
		.amdhsa_float_denorm_mode_32 3
		.amdhsa_float_denorm_mode_16_64 3
		.amdhsa_dx10_clamp 1
		.amdhsa_ieee_mode 1
		.amdhsa_fp16_overflow 0
		.amdhsa_exception_fp_ieee_invalid_op 0
		.amdhsa_exception_fp_denorm_src 0
		.amdhsa_exception_fp_ieee_div_zero 0
		.amdhsa_exception_fp_ieee_overflow 0
		.amdhsa_exception_fp_ieee_underflow 0
		.amdhsa_exception_fp_ieee_inexact 0
		.amdhsa_exception_int_div_zero 0
	.end_amdhsa_kernel
	.section	.text._ZN2at6native29vectorized_elementwise_kernelILi8EZZZNS0_16asin_kernel_cudaERNS_18TensorIteratorBaseEENKUlvE_clEvENKUlvE0_clEvEUlN3c107complexIfEEE_St5arrayIPcLm2EEEEviT0_T1_,"axG",@progbits,_ZN2at6native29vectorized_elementwise_kernelILi8EZZZNS0_16asin_kernel_cudaERNS_18TensorIteratorBaseEENKUlvE_clEvENKUlvE0_clEvEUlN3c107complexIfEEE_St5arrayIPcLm2EEEEviT0_T1_,comdat
.Lfunc_end11:
	.size	_ZN2at6native29vectorized_elementwise_kernelILi8EZZZNS0_16asin_kernel_cudaERNS_18TensorIteratorBaseEENKUlvE_clEvENKUlvE0_clEvEUlN3c107complexIfEEE_St5arrayIPcLm2EEEEviT0_T1_, .Lfunc_end11-_ZN2at6native29vectorized_elementwise_kernelILi8EZZZNS0_16asin_kernel_cudaERNS_18TensorIteratorBaseEENKUlvE_clEvENKUlvE0_clEvEUlN3c107complexIfEEE_St5arrayIPcLm2EEEEviT0_T1_
                                        ; -- End function
	.set _ZN2at6native29vectorized_elementwise_kernelILi8EZZZNS0_16asin_kernel_cudaERNS_18TensorIteratorBaseEENKUlvE_clEvENKUlvE0_clEvEUlN3c107complexIfEEE_St5arrayIPcLm2EEEEviT0_T1_.num_vgpr, max(36, .L_ZN3c104guts5applyIRZZZN2at6native16asin_kernel_cudaERNS2_18TensorIteratorBaseEENKUlvE_clEvENKUlvE0_clEvEUlNS_7complexIfEEE_RSt5tupleIJS9_EEEEDaOT_OT0_.num_vgpr)
	.set _ZN2at6native29vectorized_elementwise_kernelILi8EZZZNS0_16asin_kernel_cudaERNS_18TensorIteratorBaseEENKUlvE_clEvENKUlvE0_clEvEUlN3c107complexIfEEE_St5arrayIPcLm2EEEEviT0_T1_.num_agpr, max(0, .L_ZN3c104guts5applyIRZZZN2at6native16asin_kernel_cudaERNS2_18TensorIteratorBaseEENKUlvE_clEvENKUlvE0_clEvEUlNS_7complexIfEEE_RSt5tupleIJS9_EEEEDaOT_OT0_.num_agpr)
	.set _ZN2at6native29vectorized_elementwise_kernelILi8EZZZNS0_16asin_kernel_cudaERNS_18TensorIteratorBaseEENKUlvE_clEvENKUlvE0_clEvEUlN3c107complexIfEEE_St5arrayIPcLm2EEEEviT0_T1_.numbered_sgpr, max(40, .L_ZN3c104guts5applyIRZZZN2at6native16asin_kernel_cudaERNS2_18TensorIteratorBaseEENKUlvE_clEvENKUlvE0_clEvEUlNS_7complexIfEEE_RSt5tupleIJS9_EEEEDaOT_OT0_.numbered_sgpr)
	.set _ZN2at6native29vectorized_elementwise_kernelILi8EZZZNS0_16asin_kernel_cudaERNS_18TensorIteratorBaseEENKUlvE_clEvENKUlvE0_clEvEUlN3c107complexIfEEE_St5arrayIPcLm2EEEEviT0_T1_.num_named_barrier, max(0, .L_ZN3c104guts5applyIRZZZN2at6native16asin_kernel_cudaERNS2_18TensorIteratorBaseEENKUlvE_clEvENKUlvE0_clEvEUlNS_7complexIfEEE_RSt5tupleIJS9_EEEEDaOT_OT0_.num_named_barrier)
	.set _ZN2at6native29vectorized_elementwise_kernelILi8EZZZNS0_16asin_kernel_cudaERNS_18TensorIteratorBaseEENKUlvE_clEvENKUlvE0_clEvEUlN3c107complexIfEEE_St5arrayIPcLm2EEEEviT0_T1_.private_seg_size, 0+max(.L_ZN3c104guts5applyIRZZZN2at6native16asin_kernel_cudaERNS2_18TensorIteratorBaseEENKUlvE_clEvENKUlvE0_clEvEUlNS_7complexIfEEE_RSt5tupleIJS9_EEEEDaOT_OT0_.private_seg_size)
	.set _ZN2at6native29vectorized_elementwise_kernelILi8EZZZNS0_16asin_kernel_cudaERNS_18TensorIteratorBaseEENKUlvE_clEvENKUlvE0_clEvEUlN3c107complexIfEEE_St5arrayIPcLm2EEEEviT0_T1_.uses_vcc, or(1, .L_ZN3c104guts5applyIRZZZN2at6native16asin_kernel_cudaERNS2_18TensorIteratorBaseEENKUlvE_clEvENKUlvE0_clEvEUlNS_7complexIfEEE_RSt5tupleIJS9_EEEEDaOT_OT0_.uses_vcc)
	.set _ZN2at6native29vectorized_elementwise_kernelILi8EZZZNS0_16asin_kernel_cudaERNS_18TensorIteratorBaseEENKUlvE_clEvENKUlvE0_clEvEUlN3c107complexIfEEE_St5arrayIPcLm2EEEEviT0_T1_.uses_flat_scratch, or(1, .L_ZN3c104guts5applyIRZZZN2at6native16asin_kernel_cudaERNS2_18TensorIteratorBaseEENKUlvE_clEvENKUlvE0_clEvEUlNS_7complexIfEEE_RSt5tupleIJS9_EEEEDaOT_OT0_.uses_flat_scratch)
	.set _ZN2at6native29vectorized_elementwise_kernelILi8EZZZNS0_16asin_kernel_cudaERNS_18TensorIteratorBaseEENKUlvE_clEvENKUlvE0_clEvEUlN3c107complexIfEEE_St5arrayIPcLm2EEEEviT0_T1_.has_dyn_sized_stack, or(0, .L_ZN3c104guts5applyIRZZZN2at6native16asin_kernel_cudaERNS2_18TensorIteratorBaseEENKUlvE_clEvENKUlvE0_clEvEUlNS_7complexIfEEE_RSt5tupleIJS9_EEEEDaOT_OT0_.has_dyn_sized_stack)
	.set _ZN2at6native29vectorized_elementwise_kernelILi8EZZZNS0_16asin_kernel_cudaERNS_18TensorIteratorBaseEENKUlvE_clEvENKUlvE0_clEvEUlN3c107complexIfEEE_St5arrayIPcLm2EEEEviT0_T1_.has_recursion, or(0, .L_ZN3c104guts5applyIRZZZN2at6native16asin_kernel_cudaERNS2_18TensorIteratorBaseEENKUlvE_clEvENKUlvE0_clEvEUlNS_7complexIfEEE_RSt5tupleIJS9_EEEEDaOT_OT0_.has_recursion)
	.set _ZN2at6native29vectorized_elementwise_kernelILi8EZZZNS0_16asin_kernel_cudaERNS_18TensorIteratorBaseEENKUlvE_clEvENKUlvE0_clEvEUlN3c107complexIfEEE_St5arrayIPcLm2EEEEviT0_T1_.has_indirect_call, or(0, .L_ZN3c104guts5applyIRZZZN2at6native16asin_kernel_cudaERNS2_18TensorIteratorBaseEENKUlvE_clEvENKUlvE0_clEvEUlNS_7complexIfEEE_RSt5tupleIJS9_EEEEDaOT_OT0_.has_indirect_call)
	.section	.AMDGPU.csdata,"",@progbits
; Kernel info:
; codeLenInByte = 1088
; TotalNumSgprs: 46
; NumVgprs: 36
; ScratchSize: 12
; MemoryBound: 0
; FloatMode: 240
; IeeeMode: 1
; LDSByteSize: 0 bytes/workgroup (compile time only)
; SGPRBlocks: 5
; VGPRBlocks: 8
; NumSGPRsForWavesPerEU: 46
; NumVGPRsForWavesPerEU: 36
; Occupancy: 7
; WaveLimiterHint : 0
; COMPUTE_PGM_RSRC2:SCRATCH_EN: 1
; COMPUTE_PGM_RSRC2:USER_SGPR: 8
; COMPUTE_PGM_RSRC2:TRAP_HANDLER: 0
; COMPUTE_PGM_RSRC2:TGID_X_EN: 1
; COMPUTE_PGM_RSRC2:TGID_Y_EN: 0
; COMPUTE_PGM_RSRC2:TGID_Z_EN: 0
; COMPUTE_PGM_RSRC2:TIDIG_COMP_CNT: 0
	.section	.text._ZN2at6native29vectorized_elementwise_kernelILi4EZZZNS0_16asin_kernel_cudaERNS_18TensorIteratorBaseEENKUlvE_clEvENKUlvE0_clEvEUlN3c107complexIfEEE_St5arrayIPcLm2EEEEviT0_T1_,"axG",@progbits,_ZN2at6native29vectorized_elementwise_kernelILi4EZZZNS0_16asin_kernel_cudaERNS_18TensorIteratorBaseEENKUlvE_clEvENKUlvE0_clEvEUlN3c107complexIfEEE_St5arrayIPcLm2EEEEviT0_T1_,comdat
	.globl	_ZN2at6native29vectorized_elementwise_kernelILi4EZZZNS0_16asin_kernel_cudaERNS_18TensorIteratorBaseEENKUlvE_clEvENKUlvE0_clEvEUlN3c107complexIfEEE_St5arrayIPcLm2EEEEviT0_T1_ ; -- Begin function _ZN2at6native29vectorized_elementwise_kernelILi4EZZZNS0_16asin_kernel_cudaERNS_18TensorIteratorBaseEENKUlvE_clEvENKUlvE0_clEvEUlN3c107complexIfEEE_St5arrayIPcLm2EEEEviT0_T1_
	.p2align	8
	.type	_ZN2at6native29vectorized_elementwise_kernelILi4EZZZNS0_16asin_kernel_cudaERNS_18TensorIteratorBaseEENKUlvE_clEvENKUlvE0_clEvEUlN3c107complexIfEEE_St5arrayIPcLm2EEEEviT0_T1_,@function
_ZN2at6native29vectorized_elementwise_kernelILi4EZZZNS0_16asin_kernel_cudaERNS_18TensorIteratorBaseEENKUlvE_clEvENKUlvE0_clEvEUlN3c107complexIfEEE_St5arrayIPcLm2EEEEviT0_T1_: ; @_ZN2at6native29vectorized_elementwise_kernelILi4EZZZNS0_16asin_kernel_cudaERNS_18TensorIteratorBaseEENKUlvE_clEvENKUlvE0_clEvEUlN3c107complexIfEEE_St5arrayIPcLm2EEEEviT0_T1_
; %bb.0:
	s_add_u32 flat_scratch_lo, s6, s9
	s_load_dword s6, s[4:5], 0x0
	s_load_dwordx4 s[36:39], s[4:5], 0x8
	s_addc_u32 flat_scratch_hi, s7, 0
	s_add_u32 s0, s0, s9
	s_addc_u32 s1, s1, 0
	s_lshl_b32 s28, s8, 10
	s_waitcnt lgkmcnt(0)
	s_sub_i32 s33, s6, s28
	v_mov_b32_e32 v32, v0
	s_cmpk_gt_i32 s33, 0x3ff
	s_mov_b64 s[4:5], -1
	s_mov_b32 s32, 0
	s_cbranch_scc0 .LBB12_2
; %bb.1:
	s_ashr_i32 s29, s28, 31
	s_lshl_b64 s[26:27], s[28:29], 3
	s_add_u32 s4, s38, s26
	s_addc_u32 s5, s39, s27
	v_lshlrev_b32_e32 v28, 5, v32
	global_load_dwordx4 v[20:23], v28, s[4:5]
	global_load_dwordx4 v[24:27], v28, s[4:5] offset:16
	s_getpc_b64 s[34:35]
	s_add_u32 s34, s34, _ZN3c104guts5applyIRZZZN2at6native16asin_kernel_cudaERNS2_18TensorIteratorBaseEENKUlvE_clEvENKUlvE0_clEvEUlNS_7complexIfEEE_RSt5tupleIJS9_EEEEDaOT_OT0_@rel32@lo+4
	s_addc_u32 s35, s35, _ZN3c104guts5applyIRZZZN2at6native16asin_kernel_cudaERNS2_18TensorIteratorBaseEENKUlvE_clEvENKUlvE0_clEvEUlNS_7complexIfEEE_RSt5tupleIJS9_EEEEDaOT_OT0_@rel32@hi+12
	s_waitcnt vmcnt(1)
	v_mov_b32_e32 v0, v20
	v_mov_b32_e32 v1, v21
	s_swappc_b64 s[30:31], s[34:35]
	v_mov_b32_e32 v20, v0
	v_mov_b32_e32 v21, v1
	v_mov_b32_e32 v0, v22
	v_mov_b32_e32 v1, v23
	s_swappc_b64 s[30:31], s[34:35]
	v_mov_b32_e32 v22, v0
	v_mov_b32_e32 v23, v1
	;; [unrolled: 5-line block ×3, first 2 shown]
	v_mov_b32_e32 v0, v26
	v_mov_b32_e32 v1, v27
	s_swappc_b64 s[30:31], s[34:35]
	s_add_u32 s4, s36, s26
	s_addc_u32 s5, s37, s27
	v_mov_b32_e32 v26, v0
	v_mov_b32_e32 v27, v1
	global_store_dwordx4 v28, v[20:23], s[4:5]
	global_store_dwordx4 v28, v[24:27], s[4:5] offset:16
	s_mov_b64 s[4:5], 0
.LBB12_2:
	s_andn2_b64 vcc, exec, s[4:5]
	s_cbranch_vccnz .LBB12_23
; %bb.3:
	v_cmp_gt_i32_e64 s[26:27], s33, v32
	v_mov_b32_e32 v21, 0
	v_or_b32_e32 v33, s28, v32
	v_mov_b32_e32 v1, 0
	v_mov_b32_e32 v0, 0
	;; [unrolled: 1-line block ×3, first 2 shown]
	s_and_saveexec_b64 s[4:5], s[26:27]
	s_cbranch_execz .LBB12_5
; %bb.4:
	v_mov_b32_e32 v34, 0
	v_lshlrev_b64 v[0:1], 3, v[33:34]
	v_mov_b32_e32 v2, s39
	v_add_co_u32_e32 v0, vcc, s38, v0
	v_addc_co_u32_e32 v1, vcc, v2, v1, vcc
	global_load_dwordx2 v[0:1], v[0:1], off
	v_or_b32_e32 v2, 0x100, v32
.LBB12_5:
	s_or_b64 exec, exec, s[4:5]
	v_cmp_gt_i32_e32 vcc, s33, v2
	v_mov_b32_e32 v20, 0
	s_and_saveexec_b64 s[4:5], vcc
	s_cbranch_execz .LBB12_7
; %bb.6:
	v_add_u32_e32 v3, s28, v2
	v_mov_b32_e32 v4, 0
	v_lshlrev_b64 v[3:4], 3, v[3:4]
	v_mov_b32_e32 v5, s39
	v_add_co_u32_e32 v3, vcc, s38, v3
	v_addc_co_u32_e32 v4, vcc, v5, v4, vcc
	global_load_dwordx2 v[20:21], v[3:4], off
	v_add_u32_e32 v2, 0x100, v2
.LBB12_7:
	s_or_b64 exec, exec, s[4:5]
	v_cmp_gt_i32_e32 vcc, s33, v2
	v_mov_b32_e32 v25, 0
	v_mov_b32_e32 v31, 0
	;; [unrolled: 1-line block ×3, first 2 shown]
	s_and_saveexec_b64 s[4:5], vcc
	s_cbranch_execz .LBB12_9
; %bb.8:
	v_add_u32_e32 v3, s28, v2
	v_mov_b32_e32 v4, 0
	v_lshlrev_b64 v[3:4], 3, v[3:4]
	v_mov_b32_e32 v5, s39
	v_add_co_u32_e32 v3, vcc, s38, v3
	v_addc_co_u32_e32 v4, vcc, v5, v4, vcc
	global_load_dwordx2 v[30:31], v[3:4], off
	v_add_u32_e32 v2, 0x100, v2
.LBB12_9:
	s_or_b64 exec, exec, s[4:5]
	v_cmp_gt_i32_e32 vcc, s33, v2
	v_mov_b32_e32 v24, 0
	s_and_saveexec_b64 s[4:5], vcc
	s_cbranch_execz .LBB12_11
; %bb.10:
	v_add_u32_e32 v2, s28, v2
	v_mov_b32_e32 v3, 0
	v_lshlrev_b64 v[2:3], 3, v[2:3]
	v_mov_b32_e32 v4, s39
	v_add_co_u32_e32 v2, vcc, s38, v2
	v_addc_co_u32_e32 v3, vcc, v4, v3, vcc
	global_load_dwordx2 v[24:25], v[2:3], off
.LBB12_11:
	s_or_b64 exec, exec, s[4:5]
	v_mov_b32_e32 v23, 0
	v_mov_b32_e32 v27, 0
	v_mov_b32_e32 v26, 0
	s_and_saveexec_b64 s[34:35], s[26:27]
	s_cbranch_execz .LBB12_13
; %bb.12:
	s_getpc_b64 s[4:5]
	s_add_u32 s4, s4, _ZN3c104guts5applyIRZZZN2at6native16asin_kernel_cudaERNS2_18TensorIteratorBaseEENKUlvE_clEvENKUlvE0_clEvEUlNS_7complexIfEEE_RSt5tupleIJS9_EEEEDaOT_OT0_@rel32@lo+4
	s_addc_u32 s5, s5, _ZN3c104guts5applyIRZZZN2at6native16asin_kernel_cudaERNS2_18TensorIteratorBaseEENKUlvE_clEvENKUlvE0_clEvEUlNS_7complexIfEEE_RSt5tupleIJS9_EEEEDaOT_OT0_@rel32@hi+12
	s_swappc_b64 s[30:31], s[4:5]
	v_mov_b32_e32 v26, v0
	v_mov_b32_e32 v27, v1
.LBB12_13:
	s_or_b64 exec, exec, s[34:35]
	v_or_b32_e32 v35, 0x100, v32
	v_cmp_gt_i32_e32 vcc, s33, v35
	v_mov_b32_e32 v22, 0
	s_and_saveexec_b64 s[34:35], vcc
	s_cbranch_execz .LBB12_15
; %bb.14:
	s_getpc_b64 s[4:5]
	s_add_u32 s4, s4, _ZN3c104guts5applyIRZZZN2at6native16asin_kernel_cudaERNS2_18TensorIteratorBaseEENKUlvE_clEvENKUlvE0_clEvEUlNS_7complexIfEEE_RSt5tupleIJS9_EEEEDaOT_OT0_@rel32@lo+4
	s_addc_u32 s5, s5, _ZN3c104guts5applyIRZZZN2at6native16asin_kernel_cudaERNS2_18TensorIteratorBaseEENKUlvE_clEvENKUlvE0_clEvEUlNS_7complexIfEEE_RSt5tupleIJS9_EEEEDaOT_OT0_@rel32@hi+12
	s_waitcnt vmcnt(0)
	v_mov_b32_e32 v0, v20
	v_mov_b32_e32 v1, v21
	s_swappc_b64 s[30:31], s[4:5]
	v_mov_b32_e32 v22, v0
	v_mov_b32_e32 v23, v1
.LBB12_15:
	s_or_b64 exec, exec, s[34:35]
	s_waitcnt vmcnt(0)
	v_or_b32_e32 v0, 0x200, v32
	v_cmp_gt_i32_e32 vcc, s33, v0
	v_mov_b32_e32 v21, 0
	v_mov_b32_e32 v29, 0
	;; [unrolled: 1-line block ×3, first 2 shown]
	s_and_saveexec_b64 s[34:35], vcc
	s_cbranch_execz .LBB12_17
; %bb.16:
	s_getpc_b64 s[4:5]
	s_add_u32 s4, s4, _ZN3c104guts5applyIRZZZN2at6native16asin_kernel_cudaERNS2_18TensorIteratorBaseEENKUlvE_clEvENKUlvE0_clEvEUlNS_7complexIfEEE_RSt5tupleIJS9_EEEEDaOT_OT0_@rel32@lo+4
	s_addc_u32 s5, s5, _ZN3c104guts5applyIRZZZN2at6native16asin_kernel_cudaERNS2_18TensorIteratorBaseEENKUlvE_clEvENKUlvE0_clEvEUlNS_7complexIfEEE_RSt5tupleIJS9_EEEEDaOT_OT0_@rel32@hi+12
	v_mov_b32_e32 v0, v30
	v_mov_b32_e32 v1, v31
	s_swappc_b64 s[30:31], s[4:5]
	v_mov_b32_e32 v28, v0
	v_mov_b32_e32 v29, v1
.LBB12_17:
	s_or_b64 exec, exec, s[34:35]
	v_or_b32_e32 v0, 0x300, v32
	v_cmp_gt_i32_e32 vcc, s33, v0
	v_mov_b32_e32 v20, 0
	s_and_saveexec_b64 s[34:35], vcc
	s_cbranch_execnz .LBB12_24
; %bb.18:
	s_or_b64 exec, exec, s[34:35]
	s_and_saveexec_b64 s[4:5], s[26:27]
	s_xor_b64 s[4:5], exec, s[4:5]
	s_cbranch_execnz .LBB12_25
.LBB12_19:
	s_or_b64 exec, exec, s[4:5]
	v_cmp_gt_i32_e32 vcc, s33, v32
	s_and_saveexec_b64 s[4:5], vcc
	s_cbranch_execnz .LBB12_26
.LBB12_20:
	s_or_b64 exec, exec, s[4:5]
	v_cmp_gt_i32_e32 vcc, s33, v32
	s_and_saveexec_b64 s[4:5], vcc
	s_cbranch_execnz .LBB12_27
.LBB12_21:
	s_or_b64 exec, exec, s[4:5]
	v_cmp_gt_i32_e32 vcc, s33, v32
	s_and_saveexec_b64 s[4:5], vcc
	s_cbranch_execz .LBB12_23
.LBB12_22:
	v_add_u32_e32 v0, s28, v32
	v_mov_b32_e32 v1, 0
	v_lshlrev_b64 v[0:1], 3, v[0:1]
	v_mov_b32_e32 v2, s37
	v_add_co_u32_e32 v0, vcc, s36, v0
	v_addc_co_u32_e32 v1, vcc, v2, v1, vcc
	global_store_dwordx2 v[0:1], v[20:21], off
.LBB12_23:
	s_endpgm
.LBB12_24:
	s_getpc_b64 s[4:5]
	s_add_u32 s4, s4, _ZN3c104guts5applyIRZZZN2at6native16asin_kernel_cudaERNS2_18TensorIteratorBaseEENKUlvE_clEvENKUlvE0_clEvEUlNS_7complexIfEEE_RSt5tupleIJS9_EEEEDaOT_OT0_@rel32@lo+4
	s_addc_u32 s5, s5, _ZN3c104guts5applyIRZZZN2at6native16asin_kernel_cudaERNS2_18TensorIteratorBaseEENKUlvE_clEvENKUlvE0_clEvEUlNS_7complexIfEEE_RSt5tupleIJS9_EEEEDaOT_OT0_@rel32@hi+12
	v_mov_b32_e32 v0, v24
	v_mov_b32_e32 v1, v25
	s_swappc_b64 s[30:31], s[4:5]
	v_mov_b32_e32 v20, v0
	v_mov_b32_e32 v21, v1
	s_or_b64 exec, exec, s[34:35]
	s_and_saveexec_b64 s[4:5], s[26:27]
	s_xor_b64 s[4:5], exec, s[4:5]
	s_cbranch_execz .LBB12_19
.LBB12_25:
	v_mov_b32_e32 v34, 0
	v_lshlrev_b64 v[0:1], 3, v[33:34]
	v_mov_b32_e32 v2, s37
	v_add_co_u32_e32 v0, vcc, s36, v0
	v_addc_co_u32_e32 v1, vcc, v2, v1, vcc
	v_mov_b32_e32 v32, v35
	global_store_dwordx2 v[0:1], v[26:27], off
	s_or_b64 exec, exec, s[4:5]
	v_cmp_gt_i32_e32 vcc, s33, v32
	s_and_saveexec_b64 s[4:5], vcc
	s_cbranch_execz .LBB12_20
.LBB12_26:
	v_add_u32_e32 v0, s28, v32
	v_mov_b32_e32 v1, 0
	v_lshlrev_b64 v[0:1], 3, v[0:1]
	v_add_u32_e32 v2, 0x100, v32
	v_mov_b32_e32 v3, s37
	v_add_co_u32_e32 v0, vcc, s36, v0
	v_addc_co_u32_e32 v1, vcc, v3, v1, vcc
	v_mov_b32_e32 v32, v2
	global_store_dwordx2 v[0:1], v[22:23], off
	s_or_b64 exec, exec, s[4:5]
	v_cmp_gt_i32_e32 vcc, s33, v32
	s_and_saveexec_b64 s[4:5], vcc
	s_cbranch_execz .LBB12_21
.LBB12_27:
	v_add_u32_e32 v0, s28, v32
	v_mov_b32_e32 v1, 0
	v_lshlrev_b64 v[0:1], 3, v[0:1]
	v_add_u32_e32 v2, 0x100, v32
	v_mov_b32_e32 v3, s37
	v_add_co_u32_e32 v0, vcc, s36, v0
	v_addc_co_u32_e32 v1, vcc, v3, v1, vcc
	v_mov_b32_e32 v32, v2
	global_store_dwordx2 v[0:1], v[28:29], off
	s_or_b64 exec, exec, s[4:5]
	v_cmp_gt_i32_e32 vcc, s33, v32
	s_and_saveexec_b64 s[4:5], vcc
	s_cbranch_execnz .LBB12_22
	s_branch .LBB12_23
	.section	.rodata,"a",@progbits
	.p2align	6, 0x0
	.amdhsa_kernel _ZN2at6native29vectorized_elementwise_kernelILi4EZZZNS0_16asin_kernel_cudaERNS_18TensorIteratorBaseEENKUlvE_clEvENKUlvE0_clEvEUlN3c107complexIfEEE_St5arrayIPcLm2EEEEviT0_T1_
		.amdhsa_group_segment_fixed_size 0
		.amdhsa_private_segment_fixed_size 12
		.amdhsa_kernarg_size 24
		.amdhsa_user_sgpr_count 8
		.amdhsa_user_sgpr_private_segment_buffer 1
		.amdhsa_user_sgpr_dispatch_ptr 0
		.amdhsa_user_sgpr_queue_ptr 0
		.amdhsa_user_sgpr_kernarg_segment_ptr 1
		.amdhsa_user_sgpr_dispatch_id 0
		.amdhsa_user_sgpr_flat_scratch_init 1
		.amdhsa_user_sgpr_private_segment_size 0
		.amdhsa_uses_dynamic_stack 0
		.amdhsa_system_sgpr_private_segment_wavefront_offset 1
		.amdhsa_system_sgpr_workgroup_id_x 1
		.amdhsa_system_sgpr_workgroup_id_y 0
		.amdhsa_system_sgpr_workgroup_id_z 0
		.amdhsa_system_sgpr_workgroup_info 0
		.amdhsa_system_vgpr_workitem_id 0
		.amdhsa_next_free_vgpr 36
		.amdhsa_next_free_sgpr 40
		.amdhsa_reserve_vcc 1
		.amdhsa_reserve_flat_scratch 1
		.amdhsa_float_round_mode_32 0
		.amdhsa_float_round_mode_16_64 0
		.amdhsa_float_denorm_mode_32 3
		.amdhsa_float_denorm_mode_16_64 3
		.amdhsa_dx10_clamp 1
		.amdhsa_ieee_mode 1
		.amdhsa_fp16_overflow 0
		.amdhsa_exception_fp_ieee_invalid_op 0
		.amdhsa_exception_fp_denorm_src 0
		.amdhsa_exception_fp_ieee_div_zero 0
		.amdhsa_exception_fp_ieee_overflow 0
		.amdhsa_exception_fp_ieee_underflow 0
		.amdhsa_exception_fp_ieee_inexact 0
		.amdhsa_exception_int_div_zero 0
	.end_amdhsa_kernel
	.section	.text._ZN2at6native29vectorized_elementwise_kernelILi4EZZZNS0_16asin_kernel_cudaERNS_18TensorIteratorBaseEENKUlvE_clEvENKUlvE0_clEvEUlN3c107complexIfEEE_St5arrayIPcLm2EEEEviT0_T1_,"axG",@progbits,_ZN2at6native29vectorized_elementwise_kernelILi4EZZZNS0_16asin_kernel_cudaERNS_18TensorIteratorBaseEENKUlvE_clEvENKUlvE0_clEvEUlN3c107complexIfEEE_St5arrayIPcLm2EEEEviT0_T1_,comdat
.Lfunc_end12:
	.size	_ZN2at6native29vectorized_elementwise_kernelILi4EZZZNS0_16asin_kernel_cudaERNS_18TensorIteratorBaseEENKUlvE_clEvENKUlvE0_clEvEUlN3c107complexIfEEE_St5arrayIPcLm2EEEEviT0_T1_, .Lfunc_end12-_ZN2at6native29vectorized_elementwise_kernelILi4EZZZNS0_16asin_kernel_cudaERNS_18TensorIteratorBaseEENKUlvE_clEvENKUlvE0_clEvEUlN3c107complexIfEEE_St5arrayIPcLm2EEEEviT0_T1_
                                        ; -- End function
	.set _ZN2at6native29vectorized_elementwise_kernelILi4EZZZNS0_16asin_kernel_cudaERNS_18TensorIteratorBaseEENKUlvE_clEvENKUlvE0_clEvEUlN3c107complexIfEEE_St5arrayIPcLm2EEEEviT0_T1_.num_vgpr, max(36, .L_ZN3c104guts5applyIRZZZN2at6native16asin_kernel_cudaERNS2_18TensorIteratorBaseEENKUlvE_clEvENKUlvE0_clEvEUlNS_7complexIfEEE_RSt5tupleIJS9_EEEEDaOT_OT0_.num_vgpr)
	.set _ZN2at6native29vectorized_elementwise_kernelILi4EZZZNS0_16asin_kernel_cudaERNS_18TensorIteratorBaseEENKUlvE_clEvENKUlvE0_clEvEUlN3c107complexIfEEE_St5arrayIPcLm2EEEEviT0_T1_.num_agpr, max(0, .L_ZN3c104guts5applyIRZZZN2at6native16asin_kernel_cudaERNS2_18TensorIteratorBaseEENKUlvE_clEvENKUlvE0_clEvEUlNS_7complexIfEEE_RSt5tupleIJS9_EEEEDaOT_OT0_.num_agpr)
	.set _ZN2at6native29vectorized_elementwise_kernelILi4EZZZNS0_16asin_kernel_cudaERNS_18TensorIteratorBaseEENKUlvE_clEvENKUlvE0_clEvEUlN3c107complexIfEEE_St5arrayIPcLm2EEEEviT0_T1_.numbered_sgpr, max(40, .L_ZN3c104guts5applyIRZZZN2at6native16asin_kernel_cudaERNS2_18TensorIteratorBaseEENKUlvE_clEvENKUlvE0_clEvEUlNS_7complexIfEEE_RSt5tupleIJS9_EEEEDaOT_OT0_.numbered_sgpr)
	.set _ZN2at6native29vectorized_elementwise_kernelILi4EZZZNS0_16asin_kernel_cudaERNS_18TensorIteratorBaseEENKUlvE_clEvENKUlvE0_clEvEUlN3c107complexIfEEE_St5arrayIPcLm2EEEEviT0_T1_.num_named_barrier, max(0, .L_ZN3c104guts5applyIRZZZN2at6native16asin_kernel_cudaERNS2_18TensorIteratorBaseEENKUlvE_clEvENKUlvE0_clEvEUlNS_7complexIfEEE_RSt5tupleIJS9_EEEEDaOT_OT0_.num_named_barrier)
	.set _ZN2at6native29vectorized_elementwise_kernelILi4EZZZNS0_16asin_kernel_cudaERNS_18TensorIteratorBaseEENKUlvE_clEvENKUlvE0_clEvEUlN3c107complexIfEEE_St5arrayIPcLm2EEEEviT0_T1_.private_seg_size, 0+max(.L_ZN3c104guts5applyIRZZZN2at6native16asin_kernel_cudaERNS2_18TensorIteratorBaseEENKUlvE_clEvENKUlvE0_clEvEUlNS_7complexIfEEE_RSt5tupleIJS9_EEEEDaOT_OT0_.private_seg_size)
	.set _ZN2at6native29vectorized_elementwise_kernelILi4EZZZNS0_16asin_kernel_cudaERNS_18TensorIteratorBaseEENKUlvE_clEvENKUlvE0_clEvEUlN3c107complexIfEEE_St5arrayIPcLm2EEEEviT0_T1_.uses_vcc, or(1, .L_ZN3c104guts5applyIRZZZN2at6native16asin_kernel_cudaERNS2_18TensorIteratorBaseEENKUlvE_clEvENKUlvE0_clEvEUlNS_7complexIfEEE_RSt5tupleIJS9_EEEEDaOT_OT0_.uses_vcc)
	.set _ZN2at6native29vectorized_elementwise_kernelILi4EZZZNS0_16asin_kernel_cudaERNS_18TensorIteratorBaseEENKUlvE_clEvENKUlvE0_clEvEUlN3c107complexIfEEE_St5arrayIPcLm2EEEEviT0_T1_.uses_flat_scratch, or(1, .L_ZN3c104guts5applyIRZZZN2at6native16asin_kernel_cudaERNS2_18TensorIteratorBaseEENKUlvE_clEvENKUlvE0_clEvEUlNS_7complexIfEEE_RSt5tupleIJS9_EEEEDaOT_OT0_.uses_flat_scratch)
	.set _ZN2at6native29vectorized_elementwise_kernelILi4EZZZNS0_16asin_kernel_cudaERNS_18TensorIteratorBaseEENKUlvE_clEvENKUlvE0_clEvEUlN3c107complexIfEEE_St5arrayIPcLm2EEEEviT0_T1_.has_dyn_sized_stack, or(0, .L_ZN3c104guts5applyIRZZZN2at6native16asin_kernel_cudaERNS2_18TensorIteratorBaseEENKUlvE_clEvENKUlvE0_clEvEUlNS_7complexIfEEE_RSt5tupleIJS9_EEEEDaOT_OT0_.has_dyn_sized_stack)
	.set _ZN2at6native29vectorized_elementwise_kernelILi4EZZZNS0_16asin_kernel_cudaERNS_18TensorIteratorBaseEENKUlvE_clEvENKUlvE0_clEvEUlN3c107complexIfEEE_St5arrayIPcLm2EEEEviT0_T1_.has_recursion, or(0, .L_ZN3c104guts5applyIRZZZN2at6native16asin_kernel_cudaERNS2_18TensorIteratorBaseEENKUlvE_clEvENKUlvE0_clEvEUlNS_7complexIfEEE_RSt5tupleIJS9_EEEEDaOT_OT0_.has_recursion)
	.set _ZN2at6native29vectorized_elementwise_kernelILi4EZZZNS0_16asin_kernel_cudaERNS_18TensorIteratorBaseEENKUlvE_clEvENKUlvE0_clEvEUlN3c107complexIfEEE_St5arrayIPcLm2EEEEviT0_T1_.has_indirect_call, or(0, .L_ZN3c104guts5applyIRZZZN2at6native16asin_kernel_cudaERNS2_18TensorIteratorBaseEENKUlvE_clEvENKUlvE0_clEvEUlNS_7complexIfEEE_RSt5tupleIJS9_EEEEDaOT_OT0_.has_indirect_call)
	.section	.AMDGPU.csdata,"",@progbits
; Kernel info:
; codeLenInByte = 1088
; TotalNumSgprs: 46
; NumVgprs: 36
; ScratchSize: 12
; MemoryBound: 0
; FloatMode: 240
; IeeeMode: 1
; LDSByteSize: 0 bytes/workgroup (compile time only)
; SGPRBlocks: 5
; VGPRBlocks: 8
; NumSGPRsForWavesPerEU: 46
; NumVGPRsForWavesPerEU: 36
; Occupancy: 7
; WaveLimiterHint : 0
; COMPUTE_PGM_RSRC2:SCRATCH_EN: 1
; COMPUTE_PGM_RSRC2:USER_SGPR: 8
; COMPUTE_PGM_RSRC2:TRAP_HANDLER: 0
; COMPUTE_PGM_RSRC2:TGID_X_EN: 1
; COMPUTE_PGM_RSRC2:TGID_Y_EN: 0
; COMPUTE_PGM_RSRC2:TGID_Z_EN: 0
; COMPUTE_PGM_RSRC2:TIDIG_COMP_CNT: 0
	.section	.text._ZN2at6native29vectorized_elementwise_kernelILi2EZZZNS0_16asin_kernel_cudaERNS_18TensorIteratorBaseEENKUlvE_clEvENKUlvE0_clEvEUlN3c107complexIfEEE_St5arrayIPcLm2EEEEviT0_T1_,"axG",@progbits,_ZN2at6native29vectorized_elementwise_kernelILi2EZZZNS0_16asin_kernel_cudaERNS_18TensorIteratorBaseEENKUlvE_clEvENKUlvE0_clEvEUlN3c107complexIfEEE_St5arrayIPcLm2EEEEviT0_T1_,comdat
	.globl	_ZN2at6native29vectorized_elementwise_kernelILi2EZZZNS0_16asin_kernel_cudaERNS_18TensorIteratorBaseEENKUlvE_clEvENKUlvE0_clEvEUlN3c107complexIfEEE_St5arrayIPcLm2EEEEviT0_T1_ ; -- Begin function _ZN2at6native29vectorized_elementwise_kernelILi2EZZZNS0_16asin_kernel_cudaERNS_18TensorIteratorBaseEENKUlvE_clEvENKUlvE0_clEvEUlN3c107complexIfEEE_St5arrayIPcLm2EEEEviT0_T1_
	.p2align	8
	.type	_ZN2at6native29vectorized_elementwise_kernelILi2EZZZNS0_16asin_kernel_cudaERNS_18TensorIteratorBaseEENKUlvE_clEvENKUlvE0_clEvEUlN3c107complexIfEEE_St5arrayIPcLm2EEEEviT0_T1_,@function
_ZN2at6native29vectorized_elementwise_kernelILi2EZZZNS0_16asin_kernel_cudaERNS_18TensorIteratorBaseEENKUlvE_clEvENKUlvE0_clEvEUlN3c107complexIfEEE_St5arrayIPcLm2EEEEviT0_T1_: ; @_ZN2at6native29vectorized_elementwise_kernelILi2EZZZNS0_16asin_kernel_cudaERNS_18TensorIteratorBaseEENKUlvE_clEvENKUlvE0_clEvEUlN3c107complexIfEEE_St5arrayIPcLm2EEEEviT0_T1_
; %bb.0:
	s_add_u32 flat_scratch_lo, s6, s9
	s_load_dword s6, s[4:5], 0x0
	s_load_dwordx4 s[36:39], s[4:5], 0x8
	s_addc_u32 flat_scratch_hi, s7, 0
	s_add_u32 s0, s0, s9
	s_addc_u32 s1, s1, 0
	s_lshl_b32 s28, s8, 10
	s_waitcnt lgkmcnt(0)
	s_sub_i32 s33, s6, s28
	v_mov_b32_e32 v32, v0
	s_cmpk_gt_i32 s33, 0x3ff
	s_mov_b64 s[4:5], -1
	s_mov_b32 s32, 0
	s_cbranch_scc0 .LBB13_2
; %bb.1:
	s_ashr_i32 s29, s28, 31
	s_lshl_b64 s[26:27], s[28:29], 3
	s_add_u32 s4, s38, s26
	s_addc_u32 s5, s39, s27
	v_lshlrev_b32_e32 v28, 4, v32
	v_mov_b32_e32 v0, s5
	v_add_co_u32_e32 v1, vcc, s4, v28
	v_addc_co_u32_e32 v2, vcc, 0, v0, vcc
	global_load_dwordx4 v[20:23], v28, s[4:5]
	v_add_co_u32_e32 v0, vcc, 0x1000, v1
	v_addc_co_u32_e32 v1, vcc, 0, v2, vcc
	global_load_dwordx4 v[24:27], v[0:1], off
	s_getpc_b64 s[34:35]
	s_add_u32 s34, s34, _ZN3c104guts5applyIRZZZN2at6native16asin_kernel_cudaERNS2_18TensorIteratorBaseEENKUlvE_clEvENKUlvE0_clEvEUlNS_7complexIfEEE_RSt5tupleIJS9_EEEEDaOT_OT0_@rel32@lo+4
	s_addc_u32 s35, s35, _ZN3c104guts5applyIRZZZN2at6native16asin_kernel_cudaERNS2_18TensorIteratorBaseEENKUlvE_clEvENKUlvE0_clEvEUlNS_7complexIfEEE_RSt5tupleIJS9_EEEEDaOT_OT0_@rel32@hi+12
	s_waitcnt vmcnt(1)
	v_mov_b32_e32 v0, v20
	v_mov_b32_e32 v1, v21
	s_swappc_b64 s[30:31], s[34:35]
	v_mov_b32_e32 v20, v0
	v_mov_b32_e32 v21, v1
	v_mov_b32_e32 v0, v22
	v_mov_b32_e32 v1, v23
	s_swappc_b64 s[30:31], s[34:35]
	v_mov_b32_e32 v22, v0
	v_mov_b32_e32 v23, v1
	;; [unrolled: 5-line block ×3, first 2 shown]
	v_mov_b32_e32 v0, v26
	v_mov_b32_e32 v1, v27
	s_swappc_b64 s[30:31], s[34:35]
	s_add_u32 s4, s36, s26
	s_addc_u32 s5, s37, s27
	v_mov_b32_e32 v26, v0
	v_mov_b32_e32 v27, v1
	;; [unrolled: 1-line block ×3, first 2 shown]
	v_add_co_u32_e32 v1, vcc, s4, v28
	v_addc_co_u32_e32 v2, vcc, 0, v0, vcc
	v_add_co_u32_e32 v0, vcc, 0x1000, v1
	v_addc_co_u32_e32 v1, vcc, 0, v2, vcc
	global_store_dwordx4 v28, v[20:23], s[4:5]
	global_store_dwordx4 v[0:1], v[24:27], off
	s_mov_b64 s[4:5], 0
.LBB13_2:
	s_andn2_b64 vcc, exec, s[4:5]
	s_cbranch_vccnz .LBB13_23
; %bb.3:
	v_cmp_gt_i32_e64 s[26:27], s33, v32
	v_mov_b32_e32 v21, 0
	v_or_b32_e32 v33, s28, v32
	v_mov_b32_e32 v1, 0
	v_mov_b32_e32 v0, 0
	;; [unrolled: 1-line block ×3, first 2 shown]
	s_and_saveexec_b64 s[4:5], s[26:27]
	s_cbranch_execz .LBB13_5
; %bb.4:
	v_mov_b32_e32 v34, 0
	v_lshlrev_b64 v[0:1], 3, v[33:34]
	v_mov_b32_e32 v2, s39
	v_add_co_u32_e32 v0, vcc, s38, v0
	v_addc_co_u32_e32 v1, vcc, v2, v1, vcc
	global_load_dwordx2 v[0:1], v[0:1], off
	v_or_b32_e32 v2, 0x100, v32
.LBB13_5:
	s_or_b64 exec, exec, s[4:5]
	v_cmp_gt_i32_e32 vcc, s33, v2
	v_mov_b32_e32 v20, 0
	s_and_saveexec_b64 s[4:5], vcc
	s_cbranch_execz .LBB13_7
; %bb.6:
	v_add_u32_e32 v3, s28, v2
	v_mov_b32_e32 v4, 0
	v_lshlrev_b64 v[3:4], 3, v[3:4]
	v_mov_b32_e32 v5, s39
	v_add_co_u32_e32 v3, vcc, s38, v3
	v_addc_co_u32_e32 v4, vcc, v5, v4, vcc
	global_load_dwordx2 v[20:21], v[3:4], off
	v_add_u32_e32 v2, 0x100, v2
.LBB13_7:
	s_or_b64 exec, exec, s[4:5]
	v_cmp_gt_i32_e32 vcc, s33, v2
	v_mov_b32_e32 v25, 0
	v_mov_b32_e32 v31, 0
	;; [unrolled: 1-line block ×3, first 2 shown]
	s_and_saveexec_b64 s[4:5], vcc
	s_cbranch_execz .LBB13_9
; %bb.8:
	v_add_u32_e32 v3, s28, v2
	v_mov_b32_e32 v4, 0
	v_lshlrev_b64 v[3:4], 3, v[3:4]
	v_mov_b32_e32 v5, s39
	v_add_co_u32_e32 v3, vcc, s38, v3
	v_addc_co_u32_e32 v4, vcc, v5, v4, vcc
	global_load_dwordx2 v[30:31], v[3:4], off
	v_add_u32_e32 v2, 0x100, v2
.LBB13_9:
	s_or_b64 exec, exec, s[4:5]
	v_cmp_gt_i32_e32 vcc, s33, v2
	v_mov_b32_e32 v24, 0
	s_and_saveexec_b64 s[4:5], vcc
	s_cbranch_execz .LBB13_11
; %bb.10:
	v_add_u32_e32 v2, s28, v2
	v_mov_b32_e32 v3, 0
	v_lshlrev_b64 v[2:3], 3, v[2:3]
	v_mov_b32_e32 v4, s39
	v_add_co_u32_e32 v2, vcc, s38, v2
	v_addc_co_u32_e32 v3, vcc, v4, v3, vcc
	global_load_dwordx2 v[24:25], v[2:3], off
.LBB13_11:
	s_or_b64 exec, exec, s[4:5]
	v_mov_b32_e32 v23, 0
	v_mov_b32_e32 v27, 0
	;; [unrolled: 1-line block ×3, first 2 shown]
	s_and_saveexec_b64 s[34:35], s[26:27]
	s_cbranch_execz .LBB13_13
; %bb.12:
	s_getpc_b64 s[4:5]
	s_add_u32 s4, s4, _ZN3c104guts5applyIRZZZN2at6native16asin_kernel_cudaERNS2_18TensorIteratorBaseEENKUlvE_clEvENKUlvE0_clEvEUlNS_7complexIfEEE_RSt5tupleIJS9_EEEEDaOT_OT0_@rel32@lo+4
	s_addc_u32 s5, s5, _ZN3c104guts5applyIRZZZN2at6native16asin_kernel_cudaERNS2_18TensorIteratorBaseEENKUlvE_clEvENKUlvE0_clEvEUlNS_7complexIfEEE_RSt5tupleIJS9_EEEEDaOT_OT0_@rel32@hi+12
	s_swappc_b64 s[30:31], s[4:5]
	v_mov_b32_e32 v26, v0
	v_mov_b32_e32 v27, v1
.LBB13_13:
	s_or_b64 exec, exec, s[34:35]
	v_or_b32_e32 v35, 0x100, v32
	v_cmp_gt_i32_e32 vcc, s33, v35
	v_mov_b32_e32 v22, 0
	s_and_saveexec_b64 s[34:35], vcc
	s_cbranch_execz .LBB13_15
; %bb.14:
	s_getpc_b64 s[4:5]
	s_add_u32 s4, s4, _ZN3c104guts5applyIRZZZN2at6native16asin_kernel_cudaERNS2_18TensorIteratorBaseEENKUlvE_clEvENKUlvE0_clEvEUlNS_7complexIfEEE_RSt5tupleIJS9_EEEEDaOT_OT0_@rel32@lo+4
	s_addc_u32 s5, s5, _ZN3c104guts5applyIRZZZN2at6native16asin_kernel_cudaERNS2_18TensorIteratorBaseEENKUlvE_clEvENKUlvE0_clEvEUlNS_7complexIfEEE_RSt5tupleIJS9_EEEEDaOT_OT0_@rel32@hi+12
	s_waitcnt vmcnt(0)
	v_mov_b32_e32 v0, v20
	v_mov_b32_e32 v1, v21
	s_swappc_b64 s[30:31], s[4:5]
	v_mov_b32_e32 v22, v0
	v_mov_b32_e32 v23, v1
.LBB13_15:
	s_or_b64 exec, exec, s[34:35]
	s_waitcnt vmcnt(0)
	v_or_b32_e32 v0, 0x200, v32
	v_cmp_gt_i32_e32 vcc, s33, v0
	v_mov_b32_e32 v21, 0
	v_mov_b32_e32 v29, 0
	;; [unrolled: 1-line block ×3, first 2 shown]
	s_and_saveexec_b64 s[34:35], vcc
	s_cbranch_execz .LBB13_17
; %bb.16:
	s_getpc_b64 s[4:5]
	s_add_u32 s4, s4, _ZN3c104guts5applyIRZZZN2at6native16asin_kernel_cudaERNS2_18TensorIteratorBaseEENKUlvE_clEvENKUlvE0_clEvEUlNS_7complexIfEEE_RSt5tupleIJS9_EEEEDaOT_OT0_@rel32@lo+4
	s_addc_u32 s5, s5, _ZN3c104guts5applyIRZZZN2at6native16asin_kernel_cudaERNS2_18TensorIteratorBaseEENKUlvE_clEvENKUlvE0_clEvEUlNS_7complexIfEEE_RSt5tupleIJS9_EEEEDaOT_OT0_@rel32@hi+12
	v_mov_b32_e32 v0, v30
	v_mov_b32_e32 v1, v31
	s_swappc_b64 s[30:31], s[4:5]
	v_mov_b32_e32 v28, v0
	v_mov_b32_e32 v29, v1
.LBB13_17:
	s_or_b64 exec, exec, s[34:35]
	v_or_b32_e32 v0, 0x300, v32
	v_cmp_gt_i32_e32 vcc, s33, v0
	v_mov_b32_e32 v20, 0
	s_and_saveexec_b64 s[34:35], vcc
	s_cbranch_execnz .LBB13_24
; %bb.18:
	s_or_b64 exec, exec, s[34:35]
	s_and_saveexec_b64 s[4:5], s[26:27]
	s_xor_b64 s[4:5], exec, s[4:5]
	s_cbranch_execnz .LBB13_25
.LBB13_19:
	s_or_b64 exec, exec, s[4:5]
	v_cmp_gt_i32_e32 vcc, s33, v32
	s_and_saveexec_b64 s[4:5], vcc
	s_cbranch_execnz .LBB13_26
.LBB13_20:
	s_or_b64 exec, exec, s[4:5]
	v_cmp_gt_i32_e32 vcc, s33, v32
	s_and_saveexec_b64 s[4:5], vcc
	s_cbranch_execnz .LBB13_27
.LBB13_21:
	s_or_b64 exec, exec, s[4:5]
	v_cmp_gt_i32_e32 vcc, s33, v32
	s_and_saveexec_b64 s[4:5], vcc
	s_cbranch_execz .LBB13_23
.LBB13_22:
	v_add_u32_e32 v0, s28, v32
	v_mov_b32_e32 v1, 0
	v_lshlrev_b64 v[0:1], 3, v[0:1]
	v_mov_b32_e32 v2, s37
	v_add_co_u32_e32 v0, vcc, s36, v0
	v_addc_co_u32_e32 v1, vcc, v2, v1, vcc
	global_store_dwordx2 v[0:1], v[20:21], off
.LBB13_23:
	s_endpgm
.LBB13_24:
	s_getpc_b64 s[4:5]
	s_add_u32 s4, s4, _ZN3c104guts5applyIRZZZN2at6native16asin_kernel_cudaERNS2_18TensorIteratorBaseEENKUlvE_clEvENKUlvE0_clEvEUlNS_7complexIfEEE_RSt5tupleIJS9_EEEEDaOT_OT0_@rel32@lo+4
	s_addc_u32 s5, s5, _ZN3c104guts5applyIRZZZN2at6native16asin_kernel_cudaERNS2_18TensorIteratorBaseEENKUlvE_clEvENKUlvE0_clEvEUlNS_7complexIfEEE_RSt5tupleIJS9_EEEEDaOT_OT0_@rel32@hi+12
	v_mov_b32_e32 v0, v24
	v_mov_b32_e32 v1, v25
	s_swappc_b64 s[30:31], s[4:5]
	v_mov_b32_e32 v20, v0
	v_mov_b32_e32 v21, v1
	s_or_b64 exec, exec, s[34:35]
	s_and_saveexec_b64 s[4:5], s[26:27]
	s_xor_b64 s[4:5], exec, s[4:5]
	s_cbranch_execz .LBB13_19
.LBB13_25:
	v_mov_b32_e32 v34, 0
	v_lshlrev_b64 v[0:1], 3, v[33:34]
	v_mov_b32_e32 v2, s37
	v_add_co_u32_e32 v0, vcc, s36, v0
	v_addc_co_u32_e32 v1, vcc, v2, v1, vcc
	v_mov_b32_e32 v32, v35
	global_store_dwordx2 v[0:1], v[26:27], off
	s_or_b64 exec, exec, s[4:5]
	v_cmp_gt_i32_e32 vcc, s33, v32
	s_and_saveexec_b64 s[4:5], vcc
	s_cbranch_execz .LBB13_20
.LBB13_26:
	v_add_u32_e32 v0, s28, v32
	v_mov_b32_e32 v1, 0
	v_lshlrev_b64 v[0:1], 3, v[0:1]
	v_add_u32_e32 v2, 0x100, v32
	v_mov_b32_e32 v3, s37
	v_add_co_u32_e32 v0, vcc, s36, v0
	v_addc_co_u32_e32 v1, vcc, v3, v1, vcc
	v_mov_b32_e32 v32, v2
	global_store_dwordx2 v[0:1], v[22:23], off
	s_or_b64 exec, exec, s[4:5]
	v_cmp_gt_i32_e32 vcc, s33, v32
	s_and_saveexec_b64 s[4:5], vcc
	s_cbranch_execz .LBB13_21
.LBB13_27:
	v_add_u32_e32 v0, s28, v32
	v_mov_b32_e32 v1, 0
	v_lshlrev_b64 v[0:1], 3, v[0:1]
	v_add_u32_e32 v2, 0x100, v32
	v_mov_b32_e32 v3, s37
	v_add_co_u32_e32 v0, vcc, s36, v0
	v_addc_co_u32_e32 v1, vcc, v3, v1, vcc
	v_mov_b32_e32 v32, v2
	global_store_dwordx2 v[0:1], v[28:29], off
	s_or_b64 exec, exec, s[4:5]
	v_cmp_gt_i32_e32 vcc, s33, v32
	s_and_saveexec_b64 s[4:5], vcc
	s_cbranch_execnz .LBB13_22
	s_branch .LBB13_23
	.section	.rodata,"a",@progbits
	.p2align	6, 0x0
	.amdhsa_kernel _ZN2at6native29vectorized_elementwise_kernelILi2EZZZNS0_16asin_kernel_cudaERNS_18TensorIteratorBaseEENKUlvE_clEvENKUlvE0_clEvEUlN3c107complexIfEEE_St5arrayIPcLm2EEEEviT0_T1_
		.amdhsa_group_segment_fixed_size 0
		.amdhsa_private_segment_fixed_size 12
		.amdhsa_kernarg_size 24
		.amdhsa_user_sgpr_count 8
		.amdhsa_user_sgpr_private_segment_buffer 1
		.amdhsa_user_sgpr_dispatch_ptr 0
		.amdhsa_user_sgpr_queue_ptr 0
		.amdhsa_user_sgpr_kernarg_segment_ptr 1
		.amdhsa_user_sgpr_dispatch_id 0
		.amdhsa_user_sgpr_flat_scratch_init 1
		.amdhsa_user_sgpr_private_segment_size 0
		.amdhsa_uses_dynamic_stack 0
		.amdhsa_system_sgpr_private_segment_wavefront_offset 1
		.amdhsa_system_sgpr_workgroup_id_x 1
		.amdhsa_system_sgpr_workgroup_id_y 0
		.amdhsa_system_sgpr_workgroup_id_z 0
		.amdhsa_system_sgpr_workgroup_info 0
		.amdhsa_system_vgpr_workitem_id 0
		.amdhsa_next_free_vgpr 36
		.amdhsa_next_free_sgpr 40
		.amdhsa_reserve_vcc 1
		.amdhsa_reserve_flat_scratch 1
		.amdhsa_float_round_mode_32 0
		.amdhsa_float_round_mode_16_64 0
		.amdhsa_float_denorm_mode_32 3
		.amdhsa_float_denorm_mode_16_64 3
		.amdhsa_dx10_clamp 1
		.amdhsa_ieee_mode 1
		.amdhsa_fp16_overflow 0
		.amdhsa_exception_fp_ieee_invalid_op 0
		.amdhsa_exception_fp_denorm_src 0
		.amdhsa_exception_fp_ieee_div_zero 0
		.amdhsa_exception_fp_ieee_overflow 0
		.amdhsa_exception_fp_ieee_underflow 0
		.amdhsa_exception_fp_ieee_inexact 0
		.amdhsa_exception_int_div_zero 0
	.end_amdhsa_kernel
	.section	.text._ZN2at6native29vectorized_elementwise_kernelILi2EZZZNS0_16asin_kernel_cudaERNS_18TensorIteratorBaseEENKUlvE_clEvENKUlvE0_clEvEUlN3c107complexIfEEE_St5arrayIPcLm2EEEEviT0_T1_,"axG",@progbits,_ZN2at6native29vectorized_elementwise_kernelILi2EZZZNS0_16asin_kernel_cudaERNS_18TensorIteratorBaseEENKUlvE_clEvENKUlvE0_clEvEUlN3c107complexIfEEE_St5arrayIPcLm2EEEEviT0_T1_,comdat
.Lfunc_end13:
	.size	_ZN2at6native29vectorized_elementwise_kernelILi2EZZZNS0_16asin_kernel_cudaERNS_18TensorIteratorBaseEENKUlvE_clEvENKUlvE0_clEvEUlN3c107complexIfEEE_St5arrayIPcLm2EEEEviT0_T1_, .Lfunc_end13-_ZN2at6native29vectorized_elementwise_kernelILi2EZZZNS0_16asin_kernel_cudaERNS_18TensorIteratorBaseEENKUlvE_clEvENKUlvE0_clEvEUlN3c107complexIfEEE_St5arrayIPcLm2EEEEviT0_T1_
                                        ; -- End function
	.set _ZN2at6native29vectorized_elementwise_kernelILi2EZZZNS0_16asin_kernel_cudaERNS_18TensorIteratorBaseEENKUlvE_clEvENKUlvE0_clEvEUlN3c107complexIfEEE_St5arrayIPcLm2EEEEviT0_T1_.num_vgpr, max(36, .L_ZN3c104guts5applyIRZZZN2at6native16asin_kernel_cudaERNS2_18TensorIteratorBaseEENKUlvE_clEvENKUlvE0_clEvEUlNS_7complexIfEEE_RSt5tupleIJS9_EEEEDaOT_OT0_.num_vgpr)
	.set _ZN2at6native29vectorized_elementwise_kernelILi2EZZZNS0_16asin_kernel_cudaERNS_18TensorIteratorBaseEENKUlvE_clEvENKUlvE0_clEvEUlN3c107complexIfEEE_St5arrayIPcLm2EEEEviT0_T1_.num_agpr, max(0, .L_ZN3c104guts5applyIRZZZN2at6native16asin_kernel_cudaERNS2_18TensorIteratorBaseEENKUlvE_clEvENKUlvE0_clEvEUlNS_7complexIfEEE_RSt5tupleIJS9_EEEEDaOT_OT0_.num_agpr)
	.set _ZN2at6native29vectorized_elementwise_kernelILi2EZZZNS0_16asin_kernel_cudaERNS_18TensorIteratorBaseEENKUlvE_clEvENKUlvE0_clEvEUlN3c107complexIfEEE_St5arrayIPcLm2EEEEviT0_T1_.numbered_sgpr, max(40, .L_ZN3c104guts5applyIRZZZN2at6native16asin_kernel_cudaERNS2_18TensorIteratorBaseEENKUlvE_clEvENKUlvE0_clEvEUlNS_7complexIfEEE_RSt5tupleIJS9_EEEEDaOT_OT0_.numbered_sgpr)
	.set _ZN2at6native29vectorized_elementwise_kernelILi2EZZZNS0_16asin_kernel_cudaERNS_18TensorIteratorBaseEENKUlvE_clEvENKUlvE0_clEvEUlN3c107complexIfEEE_St5arrayIPcLm2EEEEviT0_T1_.num_named_barrier, max(0, .L_ZN3c104guts5applyIRZZZN2at6native16asin_kernel_cudaERNS2_18TensorIteratorBaseEENKUlvE_clEvENKUlvE0_clEvEUlNS_7complexIfEEE_RSt5tupleIJS9_EEEEDaOT_OT0_.num_named_barrier)
	.set _ZN2at6native29vectorized_elementwise_kernelILi2EZZZNS0_16asin_kernel_cudaERNS_18TensorIteratorBaseEENKUlvE_clEvENKUlvE0_clEvEUlN3c107complexIfEEE_St5arrayIPcLm2EEEEviT0_T1_.private_seg_size, 0+max(.L_ZN3c104guts5applyIRZZZN2at6native16asin_kernel_cudaERNS2_18TensorIteratorBaseEENKUlvE_clEvENKUlvE0_clEvEUlNS_7complexIfEEE_RSt5tupleIJS9_EEEEDaOT_OT0_.private_seg_size)
	.set _ZN2at6native29vectorized_elementwise_kernelILi2EZZZNS0_16asin_kernel_cudaERNS_18TensorIteratorBaseEENKUlvE_clEvENKUlvE0_clEvEUlN3c107complexIfEEE_St5arrayIPcLm2EEEEviT0_T1_.uses_vcc, or(1, .L_ZN3c104guts5applyIRZZZN2at6native16asin_kernel_cudaERNS2_18TensorIteratorBaseEENKUlvE_clEvENKUlvE0_clEvEUlNS_7complexIfEEE_RSt5tupleIJS9_EEEEDaOT_OT0_.uses_vcc)
	.set _ZN2at6native29vectorized_elementwise_kernelILi2EZZZNS0_16asin_kernel_cudaERNS_18TensorIteratorBaseEENKUlvE_clEvENKUlvE0_clEvEUlN3c107complexIfEEE_St5arrayIPcLm2EEEEviT0_T1_.uses_flat_scratch, or(1, .L_ZN3c104guts5applyIRZZZN2at6native16asin_kernel_cudaERNS2_18TensorIteratorBaseEENKUlvE_clEvENKUlvE0_clEvEUlNS_7complexIfEEE_RSt5tupleIJS9_EEEEDaOT_OT0_.uses_flat_scratch)
	.set _ZN2at6native29vectorized_elementwise_kernelILi2EZZZNS0_16asin_kernel_cudaERNS_18TensorIteratorBaseEENKUlvE_clEvENKUlvE0_clEvEUlN3c107complexIfEEE_St5arrayIPcLm2EEEEviT0_T1_.has_dyn_sized_stack, or(0, .L_ZN3c104guts5applyIRZZZN2at6native16asin_kernel_cudaERNS2_18TensorIteratorBaseEENKUlvE_clEvENKUlvE0_clEvEUlNS_7complexIfEEE_RSt5tupleIJS9_EEEEDaOT_OT0_.has_dyn_sized_stack)
	.set _ZN2at6native29vectorized_elementwise_kernelILi2EZZZNS0_16asin_kernel_cudaERNS_18TensorIteratorBaseEENKUlvE_clEvENKUlvE0_clEvEUlN3c107complexIfEEE_St5arrayIPcLm2EEEEviT0_T1_.has_recursion, or(0, .L_ZN3c104guts5applyIRZZZN2at6native16asin_kernel_cudaERNS2_18TensorIteratorBaseEENKUlvE_clEvENKUlvE0_clEvEUlNS_7complexIfEEE_RSt5tupleIJS9_EEEEDaOT_OT0_.has_recursion)
	.set _ZN2at6native29vectorized_elementwise_kernelILi2EZZZNS0_16asin_kernel_cudaERNS_18TensorIteratorBaseEENKUlvE_clEvENKUlvE0_clEvEUlN3c107complexIfEEE_St5arrayIPcLm2EEEEviT0_T1_.has_indirect_call, or(0, .L_ZN3c104guts5applyIRZZZN2at6native16asin_kernel_cudaERNS2_18TensorIteratorBaseEENKUlvE_clEvENKUlvE0_clEvEUlNS_7complexIfEEE_RSt5tupleIJS9_EEEEDaOT_OT0_.has_indirect_call)
	.section	.AMDGPU.csdata,"",@progbits
; Kernel info:
; codeLenInByte = 1136
; TotalNumSgprs: 46
; NumVgprs: 36
; ScratchSize: 12
; MemoryBound: 0
; FloatMode: 240
; IeeeMode: 1
; LDSByteSize: 0 bytes/workgroup (compile time only)
; SGPRBlocks: 5
; VGPRBlocks: 8
; NumSGPRsForWavesPerEU: 46
; NumVGPRsForWavesPerEU: 36
; Occupancy: 7
; WaveLimiterHint : 1
; COMPUTE_PGM_RSRC2:SCRATCH_EN: 1
; COMPUTE_PGM_RSRC2:USER_SGPR: 8
; COMPUTE_PGM_RSRC2:TRAP_HANDLER: 0
; COMPUTE_PGM_RSRC2:TGID_X_EN: 1
; COMPUTE_PGM_RSRC2:TGID_Y_EN: 0
; COMPUTE_PGM_RSRC2:TGID_Z_EN: 0
; COMPUTE_PGM_RSRC2:TIDIG_COMP_CNT: 0
	.section	.text._ZN2at6native27unrolled_elementwise_kernelIZZZNS0_16asin_kernel_cudaERNS_18TensorIteratorBaseEENKUlvE_clEvENKUlvE0_clEvEUlN3c107complexIfEEE_St5arrayIPcLm2EELi4E23TrivialOffsetCalculatorILi1EjESE_NS0_6memory15LoadWithoutCastENSF_16StoreWithoutCastEEEviT_T0_T2_T3_T4_T5_,"axG",@progbits,_ZN2at6native27unrolled_elementwise_kernelIZZZNS0_16asin_kernel_cudaERNS_18TensorIteratorBaseEENKUlvE_clEvENKUlvE0_clEvEUlN3c107complexIfEEE_St5arrayIPcLm2EELi4E23TrivialOffsetCalculatorILi1EjESE_NS0_6memory15LoadWithoutCastENSF_16StoreWithoutCastEEEviT_T0_T2_T3_T4_T5_,comdat
	.globl	_ZN2at6native27unrolled_elementwise_kernelIZZZNS0_16asin_kernel_cudaERNS_18TensorIteratorBaseEENKUlvE_clEvENKUlvE0_clEvEUlN3c107complexIfEEE_St5arrayIPcLm2EELi4E23TrivialOffsetCalculatorILi1EjESE_NS0_6memory15LoadWithoutCastENSF_16StoreWithoutCastEEEviT_T0_T2_T3_T4_T5_ ; -- Begin function _ZN2at6native27unrolled_elementwise_kernelIZZZNS0_16asin_kernel_cudaERNS_18TensorIteratorBaseEENKUlvE_clEvENKUlvE0_clEvEUlN3c107complexIfEEE_St5arrayIPcLm2EELi4E23TrivialOffsetCalculatorILi1EjESE_NS0_6memory15LoadWithoutCastENSF_16StoreWithoutCastEEEviT_T0_T2_T3_T4_T5_
	.p2align	8
	.type	_ZN2at6native27unrolled_elementwise_kernelIZZZNS0_16asin_kernel_cudaERNS_18TensorIteratorBaseEENKUlvE_clEvENKUlvE0_clEvEUlN3c107complexIfEEE_St5arrayIPcLm2EELi4E23TrivialOffsetCalculatorILi1EjESE_NS0_6memory15LoadWithoutCastENSF_16StoreWithoutCastEEEviT_T0_T2_T3_T4_T5_,@function
_ZN2at6native27unrolled_elementwise_kernelIZZZNS0_16asin_kernel_cudaERNS_18TensorIteratorBaseEENKUlvE_clEvENKUlvE0_clEvEUlN3c107complexIfEEE_St5arrayIPcLm2EELi4E23TrivialOffsetCalculatorILi1EjESE_NS0_6memory15LoadWithoutCastENSF_16StoreWithoutCastEEEviT_T0_T2_T3_T4_T5_: ; @_ZN2at6native27unrolled_elementwise_kernelIZZZNS0_16asin_kernel_cudaERNS_18TensorIteratorBaseEENKUlvE_clEvENKUlvE0_clEvEUlN3c107complexIfEEE_St5arrayIPcLm2EELi4E23TrivialOffsetCalculatorILi1EjESE_NS0_6memory15LoadWithoutCastENSF_16StoreWithoutCastEEEviT_T0_T2_T3_T4_T5_
; %bb.0:
	s_add_u32 flat_scratch_lo, s6, s9
	s_load_dword s6, s[4:5], 0x0
	s_load_dwordx4 s[28:31], s[4:5], 0x8
	s_addc_u32 flat_scratch_hi, s7, 0
	s_add_u32 s0, s0, s9
	s_addc_u32 s1, s1, 0
	s_lshl_b32 s33, s8, 10
	v_mov_b32_e32 v32, v0
	s_waitcnt lgkmcnt(0)
	s_sub_i32 s36, s6, s33
	v_cmp_gt_i32_e64 s[26:27], s36, v32
	v_mov_b32_e32 v21, 0
	v_or_b32_e32 v33, s33, v32
	v_mov_b32_e32 v1, 0
	v_mov_b32_e32 v0, 0
	;; [unrolled: 1-line block ×3, first 2 shown]
	s_mov_b32 s32, 0
	s_and_saveexec_b64 s[4:5], s[26:27]
	s_cbranch_execz .LBB14_2
; %bb.1:
	v_mov_b32_e32 v34, 0
	v_lshlrev_b64 v[0:1], 3, v[33:34]
	v_mov_b32_e32 v2, s31
	v_add_co_u32_e32 v0, vcc, s30, v0
	v_addc_co_u32_e32 v1, vcc, v2, v1, vcc
	global_load_dwordx2 v[0:1], v[0:1], off
	v_or_b32_e32 v2, 0x100, v32
.LBB14_2:
	s_or_b64 exec, exec, s[4:5]
	v_cmp_gt_i32_e32 vcc, s36, v2
	v_mov_b32_e32 v20, 0
	s_and_saveexec_b64 s[4:5], vcc
	s_cbranch_execz .LBB14_4
; %bb.3:
	v_add_u32_e32 v3, s33, v2
	v_mov_b32_e32 v4, 0
	v_lshlrev_b64 v[3:4], 3, v[3:4]
	v_mov_b32_e32 v5, s31
	v_add_co_u32_e32 v3, vcc, s30, v3
	v_addc_co_u32_e32 v4, vcc, v5, v4, vcc
	global_load_dwordx2 v[20:21], v[3:4], off
	v_add_u32_e32 v2, 0x100, v2
.LBB14_4:
	s_or_b64 exec, exec, s[4:5]
	v_cmp_gt_i32_e32 vcc, s36, v2
	v_mov_b32_e32 v25, 0
	v_mov_b32_e32 v31, 0
	;; [unrolled: 1-line block ×3, first 2 shown]
	s_and_saveexec_b64 s[4:5], vcc
	s_cbranch_execz .LBB14_6
; %bb.5:
	v_add_u32_e32 v3, s33, v2
	v_mov_b32_e32 v4, 0
	v_lshlrev_b64 v[3:4], 3, v[3:4]
	v_mov_b32_e32 v5, s31
	v_add_co_u32_e32 v3, vcc, s30, v3
	v_addc_co_u32_e32 v4, vcc, v5, v4, vcc
	global_load_dwordx2 v[30:31], v[3:4], off
	v_add_u32_e32 v2, 0x100, v2
.LBB14_6:
	s_or_b64 exec, exec, s[4:5]
	v_cmp_gt_i32_e32 vcc, s36, v2
	v_mov_b32_e32 v24, 0
	s_and_saveexec_b64 s[4:5], vcc
	s_cbranch_execz .LBB14_8
; %bb.7:
	v_add_u32_e32 v2, s33, v2
	v_mov_b32_e32 v3, 0
	v_lshlrev_b64 v[2:3], 3, v[2:3]
	v_mov_b32_e32 v4, s31
	v_add_co_u32_e32 v2, vcc, s30, v2
	v_addc_co_u32_e32 v3, vcc, v4, v3, vcc
	global_load_dwordx2 v[24:25], v[2:3], off
.LBB14_8:
	s_or_b64 exec, exec, s[4:5]
	v_mov_b32_e32 v23, 0
	v_mov_b32_e32 v27, 0
	v_mov_b32_e32 v26, 0
	s_and_saveexec_b64 s[34:35], s[26:27]
	s_cbranch_execz .LBB14_10
; %bb.9:
	s_getpc_b64 s[4:5]
	s_add_u32 s4, s4, _ZN3c104guts5applyIRZZZN2at6native16asin_kernel_cudaERNS2_18TensorIteratorBaseEENKUlvE_clEvENKUlvE0_clEvEUlNS_7complexIfEEE_RSt5tupleIJS9_EEEEDaOT_OT0_@rel32@lo+4
	s_addc_u32 s5, s5, _ZN3c104guts5applyIRZZZN2at6native16asin_kernel_cudaERNS2_18TensorIteratorBaseEENKUlvE_clEvENKUlvE0_clEvEUlNS_7complexIfEEE_RSt5tupleIJS9_EEEEDaOT_OT0_@rel32@hi+12
	s_swappc_b64 s[30:31], s[4:5]
	v_mov_b32_e32 v26, v0
	v_mov_b32_e32 v27, v1
.LBB14_10:
	s_or_b64 exec, exec, s[34:35]
	v_or_b32_e32 v35, 0x100, v32
	v_cmp_gt_i32_e32 vcc, s36, v35
	v_mov_b32_e32 v22, 0
	s_and_saveexec_b64 s[34:35], vcc
	s_cbranch_execz .LBB14_12
; %bb.11:
	s_getpc_b64 s[4:5]
	s_add_u32 s4, s4, _ZN3c104guts5applyIRZZZN2at6native16asin_kernel_cudaERNS2_18TensorIteratorBaseEENKUlvE_clEvENKUlvE0_clEvEUlNS_7complexIfEEE_RSt5tupleIJS9_EEEEDaOT_OT0_@rel32@lo+4
	s_addc_u32 s5, s5, _ZN3c104guts5applyIRZZZN2at6native16asin_kernel_cudaERNS2_18TensorIteratorBaseEENKUlvE_clEvENKUlvE0_clEvEUlNS_7complexIfEEE_RSt5tupleIJS9_EEEEDaOT_OT0_@rel32@hi+12
	s_waitcnt vmcnt(0)
	v_mov_b32_e32 v0, v20
	v_mov_b32_e32 v1, v21
	s_swappc_b64 s[30:31], s[4:5]
	v_mov_b32_e32 v22, v0
	v_mov_b32_e32 v23, v1
.LBB14_12:
	s_or_b64 exec, exec, s[34:35]
	s_waitcnt vmcnt(0)
	v_or_b32_e32 v0, 0x200, v32
	v_cmp_gt_i32_e32 vcc, s36, v0
	v_mov_b32_e32 v21, 0
	v_mov_b32_e32 v29, 0
	;; [unrolled: 1-line block ×3, first 2 shown]
	s_and_saveexec_b64 s[34:35], vcc
	s_cbranch_execz .LBB14_14
; %bb.13:
	s_getpc_b64 s[4:5]
	s_add_u32 s4, s4, _ZN3c104guts5applyIRZZZN2at6native16asin_kernel_cudaERNS2_18TensorIteratorBaseEENKUlvE_clEvENKUlvE0_clEvEUlNS_7complexIfEEE_RSt5tupleIJS9_EEEEDaOT_OT0_@rel32@lo+4
	s_addc_u32 s5, s5, _ZN3c104guts5applyIRZZZN2at6native16asin_kernel_cudaERNS2_18TensorIteratorBaseEENKUlvE_clEvENKUlvE0_clEvEUlNS_7complexIfEEE_RSt5tupleIJS9_EEEEDaOT_OT0_@rel32@hi+12
	v_mov_b32_e32 v0, v30
	v_mov_b32_e32 v1, v31
	s_swappc_b64 s[30:31], s[4:5]
	v_mov_b32_e32 v28, v0
	v_mov_b32_e32 v29, v1
.LBB14_14:
	s_or_b64 exec, exec, s[34:35]
	v_or_b32_e32 v0, 0x300, v32
	v_cmp_gt_i32_e32 vcc, s36, v0
	v_mov_b32_e32 v20, 0
	s_and_saveexec_b64 s[34:35], vcc
	s_cbranch_execnz .LBB14_20
; %bb.15:
	s_or_b64 exec, exec, s[34:35]
	s_and_saveexec_b64 s[4:5], s[26:27]
	s_xor_b64 s[4:5], exec, s[4:5]
	s_cbranch_execnz .LBB14_21
.LBB14_16:
	s_or_b64 exec, exec, s[4:5]
	v_cmp_gt_i32_e32 vcc, s36, v32
	s_and_saveexec_b64 s[4:5], vcc
	s_cbranch_execnz .LBB14_22
.LBB14_17:
	s_or_b64 exec, exec, s[4:5]
	v_cmp_gt_i32_e32 vcc, s36, v32
	s_and_saveexec_b64 s[4:5], vcc
	s_cbranch_execnz .LBB14_23
.LBB14_18:
	s_or_b64 exec, exec, s[4:5]
	v_cmp_gt_i32_e32 vcc, s36, v32
	s_and_saveexec_b64 s[4:5], vcc
	s_cbranch_execnz .LBB14_24
.LBB14_19:
	s_endpgm
.LBB14_20:
	s_getpc_b64 s[4:5]
	s_add_u32 s4, s4, _ZN3c104guts5applyIRZZZN2at6native16asin_kernel_cudaERNS2_18TensorIteratorBaseEENKUlvE_clEvENKUlvE0_clEvEUlNS_7complexIfEEE_RSt5tupleIJS9_EEEEDaOT_OT0_@rel32@lo+4
	s_addc_u32 s5, s5, _ZN3c104guts5applyIRZZZN2at6native16asin_kernel_cudaERNS2_18TensorIteratorBaseEENKUlvE_clEvENKUlvE0_clEvEUlNS_7complexIfEEE_RSt5tupleIJS9_EEEEDaOT_OT0_@rel32@hi+12
	v_mov_b32_e32 v0, v24
	v_mov_b32_e32 v1, v25
	s_swappc_b64 s[30:31], s[4:5]
	v_mov_b32_e32 v20, v0
	v_mov_b32_e32 v21, v1
	s_or_b64 exec, exec, s[34:35]
	s_and_saveexec_b64 s[4:5], s[26:27]
	s_xor_b64 s[4:5], exec, s[4:5]
	s_cbranch_execz .LBB14_16
.LBB14_21:
	v_mov_b32_e32 v34, 0
	v_lshlrev_b64 v[0:1], 3, v[33:34]
	v_mov_b32_e32 v2, s29
	v_add_co_u32_e32 v0, vcc, s28, v0
	v_addc_co_u32_e32 v1, vcc, v2, v1, vcc
	v_mov_b32_e32 v32, v35
	global_store_dwordx2 v[0:1], v[26:27], off
	s_or_b64 exec, exec, s[4:5]
	v_cmp_gt_i32_e32 vcc, s36, v32
	s_and_saveexec_b64 s[4:5], vcc
	s_cbranch_execz .LBB14_17
.LBB14_22:
	v_add_u32_e32 v0, s33, v32
	v_mov_b32_e32 v1, 0
	v_lshlrev_b64 v[0:1], 3, v[0:1]
	v_mov_b32_e32 v2, s29
	v_add_co_u32_e32 v0, vcc, s28, v0
	v_addc_co_u32_e32 v1, vcc, v2, v1, vcc
	v_add_u32_e32 v32, 0x100, v32
	global_store_dwordx2 v[0:1], v[22:23], off
	s_or_b64 exec, exec, s[4:5]
	v_cmp_gt_i32_e32 vcc, s36, v32
	s_and_saveexec_b64 s[4:5], vcc
	s_cbranch_execz .LBB14_18
.LBB14_23:
	v_add_u32_e32 v0, s33, v32
	v_mov_b32_e32 v1, 0
	v_lshlrev_b64 v[0:1], 3, v[0:1]
	v_mov_b32_e32 v2, s29
	v_add_co_u32_e32 v0, vcc, s28, v0
	v_addc_co_u32_e32 v1, vcc, v2, v1, vcc
	v_add_u32_e32 v32, 0x100, v32
	global_store_dwordx2 v[0:1], v[28:29], off
	s_or_b64 exec, exec, s[4:5]
	v_cmp_gt_i32_e32 vcc, s36, v32
	s_and_saveexec_b64 s[4:5], vcc
	s_cbranch_execz .LBB14_19
.LBB14_24:
	v_add_u32_e32 v0, s33, v32
	v_mov_b32_e32 v1, 0
	v_lshlrev_b64 v[0:1], 3, v[0:1]
	v_mov_b32_e32 v2, s29
	v_add_co_u32_e32 v0, vcc, s28, v0
	v_addc_co_u32_e32 v1, vcc, v2, v1, vcc
	global_store_dwordx2 v[0:1], v[20:21], off
	s_endpgm
	.section	.rodata,"a",@progbits
	.p2align	6, 0x0
	.amdhsa_kernel _ZN2at6native27unrolled_elementwise_kernelIZZZNS0_16asin_kernel_cudaERNS_18TensorIteratorBaseEENKUlvE_clEvENKUlvE0_clEvEUlN3c107complexIfEEE_St5arrayIPcLm2EELi4E23TrivialOffsetCalculatorILi1EjESE_NS0_6memory15LoadWithoutCastENSF_16StoreWithoutCastEEEviT_T0_T2_T3_T4_T5_
		.amdhsa_group_segment_fixed_size 0
		.amdhsa_private_segment_fixed_size 12
		.amdhsa_kernarg_size 28
		.amdhsa_user_sgpr_count 8
		.amdhsa_user_sgpr_private_segment_buffer 1
		.amdhsa_user_sgpr_dispatch_ptr 0
		.amdhsa_user_sgpr_queue_ptr 0
		.amdhsa_user_sgpr_kernarg_segment_ptr 1
		.amdhsa_user_sgpr_dispatch_id 0
		.amdhsa_user_sgpr_flat_scratch_init 1
		.amdhsa_user_sgpr_private_segment_size 0
		.amdhsa_uses_dynamic_stack 0
		.amdhsa_system_sgpr_private_segment_wavefront_offset 1
		.amdhsa_system_sgpr_workgroup_id_x 1
		.amdhsa_system_sgpr_workgroup_id_y 0
		.amdhsa_system_sgpr_workgroup_id_z 0
		.amdhsa_system_sgpr_workgroup_info 0
		.amdhsa_system_vgpr_workitem_id 0
		.amdhsa_next_free_vgpr 36
		.amdhsa_next_free_sgpr 37
		.amdhsa_reserve_vcc 1
		.amdhsa_reserve_flat_scratch 1
		.amdhsa_float_round_mode_32 0
		.amdhsa_float_round_mode_16_64 0
		.amdhsa_float_denorm_mode_32 3
		.amdhsa_float_denorm_mode_16_64 3
		.amdhsa_dx10_clamp 1
		.amdhsa_ieee_mode 1
		.amdhsa_fp16_overflow 0
		.amdhsa_exception_fp_ieee_invalid_op 0
		.amdhsa_exception_fp_denorm_src 0
		.amdhsa_exception_fp_ieee_div_zero 0
		.amdhsa_exception_fp_ieee_overflow 0
		.amdhsa_exception_fp_ieee_underflow 0
		.amdhsa_exception_fp_ieee_inexact 0
		.amdhsa_exception_int_div_zero 0
	.end_amdhsa_kernel
	.section	.text._ZN2at6native27unrolled_elementwise_kernelIZZZNS0_16asin_kernel_cudaERNS_18TensorIteratorBaseEENKUlvE_clEvENKUlvE0_clEvEUlN3c107complexIfEEE_St5arrayIPcLm2EELi4E23TrivialOffsetCalculatorILi1EjESE_NS0_6memory15LoadWithoutCastENSF_16StoreWithoutCastEEEviT_T0_T2_T3_T4_T5_,"axG",@progbits,_ZN2at6native27unrolled_elementwise_kernelIZZZNS0_16asin_kernel_cudaERNS_18TensorIteratorBaseEENKUlvE_clEvENKUlvE0_clEvEUlN3c107complexIfEEE_St5arrayIPcLm2EELi4E23TrivialOffsetCalculatorILi1EjESE_NS0_6memory15LoadWithoutCastENSF_16StoreWithoutCastEEEviT_T0_T2_T3_T4_T5_,comdat
.Lfunc_end14:
	.size	_ZN2at6native27unrolled_elementwise_kernelIZZZNS0_16asin_kernel_cudaERNS_18TensorIteratorBaseEENKUlvE_clEvENKUlvE0_clEvEUlN3c107complexIfEEE_St5arrayIPcLm2EELi4E23TrivialOffsetCalculatorILi1EjESE_NS0_6memory15LoadWithoutCastENSF_16StoreWithoutCastEEEviT_T0_T2_T3_T4_T5_, .Lfunc_end14-_ZN2at6native27unrolled_elementwise_kernelIZZZNS0_16asin_kernel_cudaERNS_18TensorIteratorBaseEENKUlvE_clEvENKUlvE0_clEvEUlN3c107complexIfEEE_St5arrayIPcLm2EELi4E23TrivialOffsetCalculatorILi1EjESE_NS0_6memory15LoadWithoutCastENSF_16StoreWithoutCastEEEviT_T0_T2_T3_T4_T5_
                                        ; -- End function
	.set _ZN2at6native27unrolled_elementwise_kernelIZZZNS0_16asin_kernel_cudaERNS_18TensorIteratorBaseEENKUlvE_clEvENKUlvE0_clEvEUlN3c107complexIfEEE_St5arrayIPcLm2EELi4E23TrivialOffsetCalculatorILi1EjESE_NS0_6memory15LoadWithoutCastENSF_16StoreWithoutCastEEEviT_T0_T2_T3_T4_T5_.num_vgpr, max(36, .L_ZN3c104guts5applyIRZZZN2at6native16asin_kernel_cudaERNS2_18TensorIteratorBaseEENKUlvE_clEvENKUlvE0_clEvEUlNS_7complexIfEEE_RSt5tupleIJS9_EEEEDaOT_OT0_.num_vgpr)
	.set _ZN2at6native27unrolled_elementwise_kernelIZZZNS0_16asin_kernel_cudaERNS_18TensorIteratorBaseEENKUlvE_clEvENKUlvE0_clEvEUlN3c107complexIfEEE_St5arrayIPcLm2EELi4E23TrivialOffsetCalculatorILi1EjESE_NS0_6memory15LoadWithoutCastENSF_16StoreWithoutCastEEEviT_T0_T2_T3_T4_T5_.num_agpr, max(0, .L_ZN3c104guts5applyIRZZZN2at6native16asin_kernel_cudaERNS2_18TensorIteratorBaseEENKUlvE_clEvENKUlvE0_clEvEUlNS_7complexIfEEE_RSt5tupleIJS9_EEEEDaOT_OT0_.num_agpr)
	.set _ZN2at6native27unrolled_elementwise_kernelIZZZNS0_16asin_kernel_cudaERNS_18TensorIteratorBaseEENKUlvE_clEvENKUlvE0_clEvEUlN3c107complexIfEEE_St5arrayIPcLm2EELi4E23TrivialOffsetCalculatorILi1EjESE_NS0_6memory15LoadWithoutCastENSF_16StoreWithoutCastEEEviT_T0_T2_T3_T4_T5_.numbered_sgpr, max(37, .L_ZN3c104guts5applyIRZZZN2at6native16asin_kernel_cudaERNS2_18TensorIteratorBaseEENKUlvE_clEvENKUlvE0_clEvEUlNS_7complexIfEEE_RSt5tupleIJS9_EEEEDaOT_OT0_.numbered_sgpr)
	.set _ZN2at6native27unrolled_elementwise_kernelIZZZNS0_16asin_kernel_cudaERNS_18TensorIteratorBaseEENKUlvE_clEvENKUlvE0_clEvEUlN3c107complexIfEEE_St5arrayIPcLm2EELi4E23TrivialOffsetCalculatorILi1EjESE_NS0_6memory15LoadWithoutCastENSF_16StoreWithoutCastEEEviT_T0_T2_T3_T4_T5_.num_named_barrier, max(0, .L_ZN3c104guts5applyIRZZZN2at6native16asin_kernel_cudaERNS2_18TensorIteratorBaseEENKUlvE_clEvENKUlvE0_clEvEUlNS_7complexIfEEE_RSt5tupleIJS9_EEEEDaOT_OT0_.num_named_barrier)
	.set _ZN2at6native27unrolled_elementwise_kernelIZZZNS0_16asin_kernel_cudaERNS_18TensorIteratorBaseEENKUlvE_clEvENKUlvE0_clEvEUlN3c107complexIfEEE_St5arrayIPcLm2EELi4E23TrivialOffsetCalculatorILi1EjESE_NS0_6memory15LoadWithoutCastENSF_16StoreWithoutCastEEEviT_T0_T2_T3_T4_T5_.private_seg_size, 0+max(.L_ZN3c104guts5applyIRZZZN2at6native16asin_kernel_cudaERNS2_18TensorIteratorBaseEENKUlvE_clEvENKUlvE0_clEvEUlNS_7complexIfEEE_RSt5tupleIJS9_EEEEDaOT_OT0_.private_seg_size)
	.set _ZN2at6native27unrolled_elementwise_kernelIZZZNS0_16asin_kernel_cudaERNS_18TensorIteratorBaseEENKUlvE_clEvENKUlvE0_clEvEUlN3c107complexIfEEE_St5arrayIPcLm2EELi4E23TrivialOffsetCalculatorILi1EjESE_NS0_6memory15LoadWithoutCastENSF_16StoreWithoutCastEEEviT_T0_T2_T3_T4_T5_.uses_vcc, or(1, .L_ZN3c104guts5applyIRZZZN2at6native16asin_kernel_cudaERNS2_18TensorIteratorBaseEENKUlvE_clEvENKUlvE0_clEvEUlNS_7complexIfEEE_RSt5tupleIJS9_EEEEDaOT_OT0_.uses_vcc)
	.set _ZN2at6native27unrolled_elementwise_kernelIZZZNS0_16asin_kernel_cudaERNS_18TensorIteratorBaseEENKUlvE_clEvENKUlvE0_clEvEUlN3c107complexIfEEE_St5arrayIPcLm2EELi4E23TrivialOffsetCalculatorILi1EjESE_NS0_6memory15LoadWithoutCastENSF_16StoreWithoutCastEEEviT_T0_T2_T3_T4_T5_.uses_flat_scratch, or(1, .L_ZN3c104guts5applyIRZZZN2at6native16asin_kernel_cudaERNS2_18TensorIteratorBaseEENKUlvE_clEvENKUlvE0_clEvEUlNS_7complexIfEEE_RSt5tupleIJS9_EEEEDaOT_OT0_.uses_flat_scratch)
	.set _ZN2at6native27unrolled_elementwise_kernelIZZZNS0_16asin_kernel_cudaERNS_18TensorIteratorBaseEENKUlvE_clEvENKUlvE0_clEvEUlN3c107complexIfEEE_St5arrayIPcLm2EELi4E23TrivialOffsetCalculatorILi1EjESE_NS0_6memory15LoadWithoutCastENSF_16StoreWithoutCastEEEviT_T0_T2_T3_T4_T5_.has_dyn_sized_stack, or(0, .L_ZN3c104guts5applyIRZZZN2at6native16asin_kernel_cudaERNS2_18TensorIteratorBaseEENKUlvE_clEvENKUlvE0_clEvEUlNS_7complexIfEEE_RSt5tupleIJS9_EEEEDaOT_OT0_.has_dyn_sized_stack)
	.set _ZN2at6native27unrolled_elementwise_kernelIZZZNS0_16asin_kernel_cudaERNS_18TensorIteratorBaseEENKUlvE_clEvENKUlvE0_clEvEUlN3c107complexIfEEE_St5arrayIPcLm2EELi4E23TrivialOffsetCalculatorILi1EjESE_NS0_6memory15LoadWithoutCastENSF_16StoreWithoutCastEEEviT_T0_T2_T3_T4_T5_.has_recursion, or(0, .L_ZN3c104guts5applyIRZZZN2at6native16asin_kernel_cudaERNS2_18TensorIteratorBaseEENKUlvE_clEvENKUlvE0_clEvEUlNS_7complexIfEEE_RSt5tupleIJS9_EEEEDaOT_OT0_.has_recursion)
	.set _ZN2at6native27unrolled_elementwise_kernelIZZZNS0_16asin_kernel_cudaERNS_18TensorIteratorBaseEENKUlvE_clEvENKUlvE0_clEvEUlN3c107complexIfEEE_St5arrayIPcLm2EELi4E23TrivialOffsetCalculatorILi1EjESE_NS0_6memory15LoadWithoutCastENSF_16StoreWithoutCastEEEviT_T0_T2_T3_T4_T5_.has_indirect_call, or(0, .L_ZN3c104guts5applyIRZZZN2at6native16asin_kernel_cudaERNS2_18TensorIteratorBaseEENKUlvE_clEvENKUlvE0_clEvEUlNS_7complexIfEEE_RSt5tupleIJS9_EEEEDaOT_OT0_.has_indirect_call)
	.section	.AMDGPU.csdata,"",@progbits
; Kernel info:
; codeLenInByte = 892
; TotalNumSgprs: 43
; NumVgprs: 36
; ScratchSize: 12
; MemoryBound: 0
; FloatMode: 240
; IeeeMode: 1
; LDSByteSize: 0 bytes/workgroup (compile time only)
; SGPRBlocks: 5
; VGPRBlocks: 8
; NumSGPRsForWavesPerEU: 43
; NumVGPRsForWavesPerEU: 36
; Occupancy: 7
; WaveLimiterHint : 0
; COMPUTE_PGM_RSRC2:SCRATCH_EN: 1
; COMPUTE_PGM_RSRC2:USER_SGPR: 8
; COMPUTE_PGM_RSRC2:TRAP_HANDLER: 0
; COMPUTE_PGM_RSRC2:TGID_X_EN: 1
; COMPUTE_PGM_RSRC2:TGID_Y_EN: 0
; COMPUTE_PGM_RSRC2:TGID_Z_EN: 0
; COMPUTE_PGM_RSRC2:TIDIG_COMP_CNT: 0
	.text
	.p2align	2                               ; -- Begin function _ZN2at6native6invokeIZZZNS0_16asin_kernel_cudaERNS_18TensorIteratorBaseEENKUlvE_clEvENKUlvE0_clEvEUlN3c107complexIfEEE_j15function_traitsIS9_EEENT1_11result_typeERKT_PrKPcPKT0_i
	.type	_ZN2at6native6invokeIZZZNS0_16asin_kernel_cudaERNS_18TensorIteratorBaseEENKUlvE_clEvENKUlvE0_clEvEUlN3c107complexIfEEE_j15function_traitsIS9_EEENT1_11result_typeERKT_PrKPcPKT0_i,@function
_ZN2at6native6invokeIZZZNS0_16asin_kernel_cudaERNS_18TensorIteratorBaseEENKUlvE_clEvENKUlvE0_clEvEUlN3c107complexIfEEE_j15function_traitsIS9_EEENT1_11result_typeERKT_PrKPcPKT0_i: ; @_ZN2at6native6invokeIZZZNS0_16asin_kernel_cudaERNS_18TensorIteratorBaseEENKUlvE_clEvENKUlvE0_clEvEUlN3c107complexIfEEE_j15function_traitsIS9_EEENT1_11result_typeERKT_PrKPcPKT0_i
; %bb.0:
	s_waitcnt vmcnt(0) expcnt(0) lgkmcnt(0)
	v_add_co_u32_e32 v0, vcc, v0, v2
	v_addc_co_u32_e32 v1, vcc, 0, v1, vcc
	flat_load_dwordx2 v[0:1], v[0:1]
	s_waitcnt vmcnt(0) lgkmcnt(0)
	v_cmp_o_f32_e32 vcc, v1, v0
	s_and_saveexec_b64 s[4:5], vcc
	s_xor_b64 s[8:9], exec, s[4:5]
	s_cbranch_execnz .LBB15_3
; %bb.1:
	s_andn2_saveexec_b64 s[4:5], s[8:9]
	s_cbranch_execnz .LBB15_86
.LBB15_2:
	s_or_b64 exec, exec, s[4:5]
	s_waitcnt lgkmcnt(0)
	s_setpc_b64 s[30:31]
.LBB15_3:
	v_max_f32_e64 v5, |v1|, |v1|
	v_max_f32_e64 v2, |v0|, |v0|
	v_max_f32_e32 v4, v2, v5
	s_mov_b32 s4, 0x4b000000
	v_cmp_nlt_f32_e32 vcc, s4, v4
	s_and_saveexec_b64 s[4:5], vcc
	s_xor_b64 s[6:7], exec, s[4:5]
	s_cbranch_execz .LBB15_63
; %bb.4:
	v_cmp_neq_f32_e32 vcc, 0, v1
	v_cmp_neq_f32_e64 s[4:5], 0, v0
	s_or_b64 s[4:5], vcc, s[4:5]
	s_and_saveexec_b64 s[10:11], s[4:5]
	s_cbranch_execz .LBB15_62
; %bb.5:
	s_mov_b64 s[4:5], src_private_base
	s_lshr_b32 s4, s32, 6
	v_mov_b32_e32 v2, s4
	v_mov_b32_e32 v4, 0xd800000
	;; [unrolled: 1-line block ×3, first 2 shown]
	flat_store_dword v[2:3], v4
	s_waitcnt vmcnt(0)
	flat_load_dword v2, v[2:3] glc
	s_waitcnt vmcnt(0)
	s_lshr_b32 s4, s32, 6
	s_add_i32 s4, s4, 4
	s_mov_b32 s12, 0x395db3d7
	s_waitcnt lgkmcnt(0)
	v_add_f32_e32 v4, 1.0, v2
	v_mov_b32_e32 v2, s4
	v_mov_b32_e32 v3, s5
	flat_store_dword v[2:3], v4
	s_waitcnt vmcnt(0)
	flat_load_dword v2, v[2:3] glc
	s_waitcnt vmcnt(0)
	v_cmp_nlt_f32_e64 s[4:5], |v1|, s12
	v_cmp_nlt_f32_e64 s[12:13], |v0|, s12
	s_or_b64 s[4:5], s[12:13], s[4:5]
	s_and_saveexec_b64 s[12:13], s[4:5]
	s_cbranch_execz .LBB15_61
; %bb.6:
	v_add_f32_e64 v4, |v0|, 1.0
	s_waitcnt lgkmcnt(0)
	v_max_f32_e32 v2, v5, v4
	v_add_f32_e64 v3, |v0|, -1.0
	v_cvt_f64_f32_e32 v[6:7], v2
	v_max_f32_e64 v5, v5, |v3|
	v_cvt_f64_f32_e32 v[8:9], v5
	s_mov_b32 s16, 0x7f800000
	v_frexp_exp_i32_f64_e32 v6, v[6:7]
	v_cmp_neq_f32_e32 vcc, s16, v2
	v_frexp_exp_i32_f64_e32 v8, v[8:9]
	v_mov_b32_e32 v9, 0x7f800000
	s_mov_b32 s4, 0x41200000
	v_sub_u32_e32 v7, 0, v6
	v_ldexp_f32 v11, |v1|, v7
	v_sub_u32_e32 v10, 0, v8
	v_ldexp_f32 v7, v4, v7
	v_ldexp_f32 v12, |v1|, v10
	v_ldexp_f32 v10, |v3|, v10
	v_mul_f32_e32 v7, v7, v7
	v_fmac_f32_e32 v7, v11, v11
	v_mul_f32_e32 v10, v10, v10
	v_sqrt_f32_e32 v7, v7
	v_fmac_f32_e32 v10, v12, v12
	v_sqrt_f32_e32 v10, v10
	v_ldexp_f32 v6, v7, v6
	v_cndmask_b32_e32 v7, v9, v6, vcc
	v_ldexp_f32 v2, v10, v8
	v_cmp_neq_f32_e32 vcc, s16, v5
	v_cndmask_b32_e32 v5, v9, v2, vcc
	v_add_f32_e32 v2, v7, v5
	v_mul_f32_e32 v2, 0.5, v2
	v_cmp_ngt_f32_e32 vcc, 1.0, v2
	v_cndmask_b32_e32 v2, 1.0, v2, vcc
	v_cmp_ngt_f32_e32 vcc, s4, v2
                                        ; implicit-def: $vgpr8
	s_and_saveexec_b64 s[4:5], vcc
	s_xor_b64 s[14:15], exec, s[4:5]
	s_cbranch_execz .LBB15_8
; %bb.7:
	v_fma_f32 v6, v2, v2, -1.0
	s_mov_b32 s4, 0xf800000
	v_mul_f32_e32 v8, 0x4f800000, v6
	v_cmp_gt_f32_e32 vcc, s4, v6
	v_cndmask_b32_e32 v6, v6, v8, vcc
	v_sqrt_f32_e32 v8, v6
	v_add_u32_e32 v9, -1, v8
	v_fma_f32 v10, -v9, v8, v6
	v_cmp_ge_f32_e64 s[4:5], 0, v10
	v_add_u32_e32 v10, 1, v8
	v_cndmask_b32_e64 v9, v8, v9, s[4:5]
	v_fma_f32 v8, -v10, v8, v6
	v_cmp_lt_f32_e64 s[4:5], 0, v8
	v_cndmask_b32_e64 v8, v9, v10, s[4:5]
	v_mul_f32_e32 v9, 0x37800000, v8
	v_cndmask_b32_e32 v8, v8, v9, vcc
	v_mov_b32_e32 v9, 0x260
	v_cmp_class_f32_e32 vcc, v6, v9
	v_cndmask_b32_e32 v6, v8, v6, vcc
	v_add_f32_e32 v6, v2, v6
	s_mov_b32 s4, 0x800000
	v_cmp_gt_f32_e32 vcc, s4, v6
	v_cndmask_b32_e64 v8, 0, 32, vcc
	v_ldexp_f32 v6, v6, v8
	v_log_f32_e32 v6, v6
	s_mov_b32 s4, 0x3f317217
	v_mul_f32_e32 v8, 0x3f317217, v6
	v_fma_f32 v8, v6, s4, -v8
	v_fmac_f32_e32 v8, 0x3377d1cf, v6
	v_fmac_f32_e32 v8, 0x3f317217, v6
	v_cmp_lt_f32_e64 s[4:5], |v6|, s16
	v_cndmask_b32_e64 v6, v6, v8, s[4:5]
	v_mov_b32_e32 v8, 0x41b17218
	v_cndmask_b32_e32 v8, 0, v8, vcc
	v_sub_f32_e32 v8, v6, v8
.LBB15_8:
	s_or_saveexec_b64 s[14:15], s[14:15]
	v_and_b32_e32 v6, 0x7fffffff, v1
	s_xor_b64 exec, exec, s[14:15]
	s_cbranch_execz .LBB15_30
; %bb.9:
	s_mov_b32 s16, 0x25000000
	v_cmp_neq_f32_e64 s[4:5], |v0|, 1.0
	v_cmp_nlt_f32_e64 s[16:17], |v1|, s16
	s_or_b64 s[4:5], s[4:5], s[16:17]
                                        ; implicit-def: $vgpr8
	s_and_saveexec_b64 s[16:17], s[4:5]
	s_xor_b64 s[16:17], exec, s[16:17]
	s_cbranch_execz .LBB15_27
; %bb.10:
	s_brev_b32 s4, 44
	v_mul_f32_e64 v8, |v3|, s4
	v_cmp_ge_f32_e64 s[4:5], |v1|, v8
                                        ; implicit-def: $vgpr8
	s_and_saveexec_b64 s[18:19], s[4:5]
	s_xor_b64 s[18:19], exec, s[18:19]
	s_cbranch_execz .LBB15_20
; %bb.11:
	v_cmp_neq_f32_e32 vcc, 0, v4
	v_mov_b32_e32 v8, v6
	s_and_saveexec_b64 s[4:5], vcc
	s_cbranch_execz .LBB15_13
; %bb.12:
	v_mul_f32_e32 v8, v1, v1
	v_add_f32_e32 v9, v4, v7
	v_div_scale_f32 v10, s[20:21], v9, v9, v8
	v_div_scale_f32 v11, vcc, v8, v9, v8
	v_rcp_f32_e32 v12, v10
	v_fma_f32 v13, -v10, v12, 1.0
	v_fmac_f32_e32 v12, v13, v12
	v_mul_f32_e32 v13, v11, v12
	v_fma_f32 v14, -v10, v13, v11
	v_fmac_f32_e32 v13, v14, v12
	v_fma_f32 v10, -v10, v13, v11
	v_div_fmas_f32 v10, v10, v12, v13
	v_div_fixup_f32 v8, v10, v9, v8
.LBB15_13:
	s_or_b64 exec, exec, s[4:5]
	v_sub_f32_e64 v10, 1.0, |v0|
	v_cmp_ngt_f32_e32 vcc, 0, v10
                                        ; implicit-def: $vgpr9
	s_and_saveexec_b64 s[4:5], vcc
	s_xor_b64 s[4:5], exec, s[4:5]
	s_cbranch_execz .LBB15_17
; %bb.14:
	v_cmp_neq_f32_e32 vcc, 0, v10
	v_mov_b32_e32 v9, v6
	s_and_saveexec_b64 s[20:21], vcc
	s_cbranch_execz .LBB15_16
; %bb.15:
	v_mul_f32_e32 v9, v1, v1
	v_add_f32_e32 v10, v10, v5
	v_div_scale_f32 v11, s[22:23], v10, v10, v9
	v_div_scale_f32 v12, vcc, v9, v10, v9
	v_rcp_f32_e32 v13, v11
	v_fma_f32 v14, -v11, v13, 1.0
	v_fmac_f32_e32 v13, v14, v13
	v_mul_f32_e32 v14, v12, v13
	v_fma_f32 v15, -v11, v14, v12
	v_fmac_f32_e32 v14, v15, v13
	v_fma_f32 v11, -v11, v14, v12
	v_div_fmas_f32 v11, v11, v13, v14
	v_div_fixup_f32 v9, v11, v10, v9
.LBB15_16:
	s_or_b64 exec, exec, s[20:21]
                                        ; implicit-def: $vgpr10
.LBB15_17:
	s_andn2_saveexec_b64 s[4:5], s[4:5]
; %bb.18:
	v_sub_f32_e32 v9, v5, v10
; %bb.19:
	s_or_b64 exec, exec, s[4:5]
	v_mul_f32_e32 v9, 0.5, v9
	v_fmac_f32_e32 v9, 0.5, v8
	v_add_f32_e32 v8, 1.0, v2
	v_mul_f32_e32 v8, v8, v9
	s_mov_b32 s4, 0xf800000
	v_mul_f32_e32 v10, 0x4f800000, v8
	v_cmp_gt_f32_e32 vcc, s4, v8
	v_cndmask_b32_e32 v8, v8, v10, vcc
	v_sqrt_f32_e32 v10, v8
	v_add_u32_e32 v11, -1, v10
	v_fma_f32 v12, -v11, v10, v8
	v_cmp_ge_f32_e64 s[4:5], 0, v12
	v_add_u32_e32 v12, 1, v10
	v_cndmask_b32_e64 v11, v10, v11, s[4:5]
	v_fma_f32 v10, -v12, v10, v8
	v_cmp_lt_f32_e64 s[4:5], 0, v10
	v_cndmask_b32_e64 v10, v11, v12, s[4:5]
	v_mul_f32_e32 v11, 0x37800000, v10
	v_cndmask_b32_e32 v10, v10, v11, vcc
	v_mov_b32_e32 v11, 0x260
	v_cmp_class_f32_e32 vcc, v8, v11
	v_cndmask_b32_e32 v8, v10, v8, vcc
	v_add_f32_e32 v8, v9, v8
	v_add_f32_e32 v11, 1.0, v8
	v_cvt_f64_f32_e32 v[9:10], v11
	v_add_f32_e32 v12, -1.0, v11
	v_sub_f32_e32 v13, v12, v11
	v_sub_f32_e32 v12, v8, v12
	v_frexp_exp_i32_f64_e32 v9, v[9:10]
	v_add_f32_e32 v10, 1.0, v13
	v_add_f32_e32 v10, v12, v10
	v_frexp_mant_f32_e32 v12, v11
	s_mov_b32 s4, 0x3f2aaaab
	v_cmp_gt_f32_e32 vcc, s4, v12
	s_mov_b32 s4, 0x3f317218
	v_subbrev_co_u32_e32 v9, vcc, 0, v9, vcc
	v_sub_u32_e32 v12, 0, v9
	v_ldexp_f32 v11, v11, v12
	v_ldexp_f32 v10, v10, v12
	v_add_f32_e32 v12, -1.0, v11
	v_add_f32_e32 v15, 1.0, v11
	v_add_f32_e32 v13, 1.0, v12
	v_add_f32_e32 v16, -1.0, v15
	v_sub_f32_e32 v13, v11, v13
	v_sub_f32_e32 v11, v11, v16
	v_add_f32_e32 v13, v10, v13
	v_add_f32_e32 v10, v10, v11
	v_add_f32_e32 v11, v15, v10
	v_rcp_f32_e32 v16, v11
	v_add_f32_e32 v14, v12, v13
	v_sub_f32_e32 v12, v14, v12
	v_sub_f32_e32 v12, v13, v12
	;; [unrolled: 1-line block ×4, first 2 shown]
	v_mul_f32_e32 v13, v14, v16
	v_mul_f32_e32 v15, v11, v13
	v_fma_f32 v17, v13, v11, -v15
	v_fmac_f32_e32 v17, v13, v10
	v_add_f32_e32 v18, v15, v17
	v_sub_f32_e32 v19, v14, v18
	v_sub_f32_e32 v14, v14, v19
	;; [unrolled: 1-line block ×4, first 2 shown]
	v_add_f32_e32 v12, v12, v14
	v_sub_f32_e32 v14, v15, v17
	v_add_f32_e32 v12, v14, v12
	v_add_f32_e32 v14, v19, v12
	v_mul_f32_e32 v15, v16, v14
	v_mul_f32_e32 v17, v11, v15
	v_fma_f32 v11, v15, v11, -v17
	v_fmac_f32_e32 v11, v15, v10
	v_sub_f32_e32 v10, v19, v14
	v_add_f32_e32 v10, v12, v10
	v_add_f32_e32 v12, v17, v11
	v_sub_f32_e32 v18, v14, v12
	v_sub_f32_e32 v14, v14, v18
	;; [unrolled: 1-line block ×4, first 2 shown]
	v_add_f32_e32 v10, v10, v12
	v_sub_f32_e32 v11, v17, v11
	v_add_f32_e32 v10, v11, v10
	v_add_f32_e32 v11, v13, v15
	v_add_f32_e32 v10, v18, v10
	v_sub_f32_e32 v12, v11, v13
	v_mul_f32_e32 v10, v16, v10
	v_sub_f32_e32 v12, v15, v12
	v_add_f32_e32 v10, v12, v10
	v_cvt_f32_i32_e32 v9, v9
	v_add_f32_e32 v12, v11, v10
	v_mul_f32_e32 v13, v12, v12
	v_mov_b32_e32 v14, 0x3ecc95a3
	v_fmac_f32_e32 v14, 0x3e9b6dac, v13
	v_mov_b32_e32 v15, 0x3f2aaada
	v_fmac_f32_e32 v15, v13, v14
	v_mul_f32_e32 v14, 0x3f317218, v9
	v_fma_f32 v16, v9, s4, -v14
	v_fmac_f32_e32 v16, 0xb102e308, v9
	v_sub_f32_e32 v9, v12, v11
	v_sub_f32_e32 v9, v10, v9
	v_add_f32_e32 v10, v14, v16
	v_sub_f32_e32 v11, v10, v14
	v_ldexp_f32 v14, v12, 1
	v_mul_f32_e32 v12, v12, v13
	v_mul_f32_e32 v12, v12, v15
	v_add_f32_e32 v13, v14, v12
	v_sub_f32_e32 v14, v13, v14
	v_ldexp_f32 v9, v9, 1
	v_sub_f32_e32 v12, v12, v14
	v_add_f32_e32 v9, v9, v12
	v_add_f32_e32 v12, v13, v9
	v_sub_f32_e32 v13, v12, v13
	v_sub_f32_e32 v9, v9, v13
	v_add_f32_e32 v13, v10, v12
	v_sub_f32_e32 v14, v13, v10
	v_sub_f32_e32 v15, v13, v14
	;; [unrolled: 1-line block ×5, first 2 shown]
	v_add_f32_e32 v10, v12, v10
	v_add_f32_e32 v12, v11, v9
	v_sub_f32_e32 v14, v12, v11
	v_sub_f32_e32 v15, v12, v14
	;; [unrolled: 1-line block ×4, first 2 shown]
	v_add_f32_e32 v10, v12, v10
	v_add_f32_e32 v9, v9, v11
	v_add_f32_e32 v11, v13, v10
	v_sub_f32_e32 v12, v11, v13
	v_sub_f32_e32 v10, v10, v12
	v_add_f32_e32 v9, v9, v10
	s_mov_b32 s4, 0x7f800000
	v_add_f32_e32 v9, v11, v9
	v_mov_b32_e32 v10, 0x7f800000
	v_cmp_neq_f32_e32 vcc, s4, v8
	v_cndmask_b32_e32 v9, v10, v9, vcc
	v_mov_b32_e32 v10, 0x7fc00000
	v_cmp_ngt_f32_e32 vcc, -1.0, v8
	v_cndmask_b32_e32 v9, v10, v9, vcc
	v_mov_b32_e32 v10, 0xff800000
	v_cmp_neq_f32_e32 vcc, -1.0, v8
	s_mov_b32 s4, 0x33800000
	v_cndmask_b32_e32 v9, v10, v9, vcc
	v_cmp_lt_f32_e64 vcc, |v8|, s4
	v_cndmask_b32_e32 v8, v9, v8, vcc
.LBB15_20:
	s_andn2_saveexec_b64 s[18:19], s[18:19]
	s_cbranch_execz .LBB15_26
; %bb.21:
	v_cmp_nlt_f32_e64 s[4:5], |v0|, 1.0
                                        ; implicit-def: $vgpr8
	s_and_saveexec_b64 s[20:21], s[4:5]
	s_xor_b64 s[20:21], exec, s[20:21]
	s_cbranch_execz .LBB15_23
; %bb.22:
	v_mul_f32_e32 v8, v3, v4
	s_mov_b32 s4, 0xf800000
	v_mul_f32_e32 v9, 0x4f800000, v8
	v_cmp_gt_f32_e32 vcc, s4, v8
	v_cndmask_b32_e32 v8, v8, v9, vcc
	v_sqrt_f32_e32 v9, v8
	v_add_u32_e32 v10, -1, v9
	v_fma_f32 v11, -v10, v9, v8
	v_cmp_ge_f32_e64 s[4:5], 0, v11
	v_add_u32_e32 v11, 1, v9
	v_cndmask_b32_e64 v10, v9, v10, s[4:5]
	v_fma_f32 v9, -v11, v9, v8
	v_cmp_lt_f32_e64 s[4:5], 0, v9
	v_cndmask_b32_e64 v9, v10, v11, s[4:5]
	v_mul_f32_e32 v10, 0x37800000, v9
	v_cndmask_b32_e32 v9, v9, v10, vcc
	v_mov_b32_e32 v10, 0x260
	v_cmp_class_f32_e32 vcc, v8, v10
	v_cndmask_b32_e32 v8, v9, v8, vcc
	v_add_f32_e32 v8, v3, v8
	v_add_f32_e32 v11, 1.0, v8
	v_cvt_f64_f32_e32 v[9:10], v11
	v_add_f32_e32 v12, -1.0, v11
	v_sub_f32_e32 v13, v12, v11
	v_sub_f32_e32 v12, v8, v12
	v_frexp_exp_i32_f64_e32 v9, v[9:10]
	v_add_f32_e32 v10, 1.0, v13
	v_add_f32_e32 v10, v12, v10
	v_frexp_mant_f32_e32 v12, v11
	s_mov_b32 s4, 0x3f2aaaab
	v_cmp_gt_f32_e32 vcc, s4, v12
	s_mov_b32 s4, 0x3f317218
	v_subbrev_co_u32_e32 v9, vcc, 0, v9, vcc
	v_sub_u32_e32 v12, 0, v9
	v_ldexp_f32 v11, v11, v12
	v_ldexp_f32 v10, v10, v12
	v_add_f32_e32 v12, -1.0, v11
	v_add_f32_e32 v15, 1.0, v11
	v_add_f32_e32 v13, 1.0, v12
	v_add_f32_e32 v16, -1.0, v15
	v_sub_f32_e32 v13, v11, v13
	v_sub_f32_e32 v11, v11, v16
	v_add_f32_e32 v13, v10, v13
	v_add_f32_e32 v10, v10, v11
	;; [unrolled: 1-line block ×3, first 2 shown]
	v_rcp_f32_e32 v16, v11
	v_add_f32_e32 v14, v12, v13
	v_sub_f32_e32 v12, v14, v12
	v_sub_f32_e32 v12, v13, v12
	;; [unrolled: 1-line block ×4, first 2 shown]
	v_mul_f32_e32 v13, v14, v16
	v_mul_f32_e32 v15, v11, v13
	v_fma_f32 v17, v13, v11, -v15
	v_fmac_f32_e32 v17, v13, v10
	v_add_f32_e32 v18, v15, v17
	v_sub_f32_e32 v19, v14, v18
	v_sub_f32_e32 v14, v14, v19
	;; [unrolled: 1-line block ×4, first 2 shown]
	v_add_f32_e32 v12, v12, v14
	v_sub_f32_e32 v14, v15, v17
	v_add_f32_e32 v12, v14, v12
	v_add_f32_e32 v14, v19, v12
	v_mul_f32_e32 v15, v16, v14
	v_mul_f32_e32 v17, v11, v15
	v_fma_f32 v11, v15, v11, -v17
	v_fmac_f32_e32 v11, v15, v10
	v_sub_f32_e32 v10, v19, v14
	v_add_f32_e32 v10, v12, v10
	v_add_f32_e32 v12, v17, v11
	v_sub_f32_e32 v18, v14, v12
	v_sub_f32_e32 v14, v14, v18
	;; [unrolled: 1-line block ×4, first 2 shown]
	v_add_f32_e32 v10, v10, v12
	v_sub_f32_e32 v11, v17, v11
	v_add_f32_e32 v10, v11, v10
	v_add_f32_e32 v11, v13, v15
	;; [unrolled: 1-line block ×3, first 2 shown]
	v_sub_f32_e32 v12, v11, v13
	v_mul_f32_e32 v10, v16, v10
	v_sub_f32_e32 v12, v15, v12
	v_add_f32_e32 v10, v12, v10
	v_cvt_f32_i32_e32 v9, v9
	v_add_f32_e32 v12, v11, v10
	v_mul_f32_e32 v13, v12, v12
	v_mov_b32_e32 v14, 0x3ecc95a3
	v_fmac_f32_e32 v14, 0x3e9b6dac, v13
	v_mov_b32_e32 v15, 0x3f2aaada
	v_fmac_f32_e32 v15, v13, v14
	v_mul_f32_e32 v14, 0x3f317218, v9
	v_fma_f32 v16, v9, s4, -v14
	v_fmac_f32_e32 v16, 0xb102e308, v9
	v_sub_f32_e32 v9, v12, v11
	v_sub_f32_e32 v9, v10, v9
	v_add_f32_e32 v10, v14, v16
	v_sub_f32_e32 v11, v10, v14
	v_ldexp_f32 v14, v12, 1
	v_mul_f32_e32 v12, v12, v13
	v_mul_f32_e32 v12, v12, v15
	v_add_f32_e32 v13, v14, v12
	v_sub_f32_e32 v14, v13, v14
	v_ldexp_f32 v9, v9, 1
	v_sub_f32_e32 v12, v12, v14
	v_add_f32_e32 v9, v9, v12
	v_add_f32_e32 v12, v13, v9
	v_sub_f32_e32 v13, v12, v13
	v_sub_f32_e32 v9, v9, v13
	v_add_f32_e32 v13, v10, v12
	v_sub_f32_e32 v14, v13, v10
	v_sub_f32_e32 v15, v13, v14
	;; [unrolled: 1-line block ×5, first 2 shown]
	v_add_f32_e32 v10, v12, v10
	v_add_f32_e32 v12, v11, v9
	v_sub_f32_e32 v14, v12, v11
	v_sub_f32_e32 v15, v12, v14
	;; [unrolled: 1-line block ×4, first 2 shown]
	v_add_f32_e32 v10, v12, v10
	v_add_f32_e32 v9, v9, v11
	;; [unrolled: 1-line block ×3, first 2 shown]
	v_sub_f32_e32 v12, v11, v13
	v_sub_f32_e32 v10, v10, v12
	v_add_f32_e32 v9, v9, v10
	s_mov_b32 s4, 0x7f800000
	v_add_f32_e32 v9, v11, v9
	v_mov_b32_e32 v10, 0x7f800000
	v_cmp_neq_f32_e32 vcc, s4, v8
	v_cndmask_b32_e32 v9, v10, v9, vcc
	v_mov_b32_e32 v10, 0x7fc00000
	v_cmp_ngt_f32_e32 vcc, -1.0, v8
	v_cndmask_b32_e32 v9, v10, v9, vcc
	v_mov_b32_e32 v10, 0xff800000
	v_cmp_neq_f32_e32 vcc, -1.0, v8
	s_mov_b32 s4, 0x33800000
	v_cndmask_b32_e32 v9, v10, v9, vcc
	v_cmp_lt_f32_e64 vcc, |v8|, s4
	v_cndmask_b32_e32 v8, v9, v8, vcc
.LBB15_23:
	s_andn2_saveexec_b64 s[20:21], s[20:21]
	s_cbranch_execz .LBB15_25
; %bb.24:
	v_sub_f32_e64 v8, 1.0, |v0|
	v_mul_f32_e32 v8, v8, v4
	s_mov_b32 s4, 0xf800000
	v_mul_f32_e32 v9, 0x4f800000, v8
	v_cmp_gt_f32_e32 vcc, s4, v8
	v_cndmask_b32_e32 v8, v8, v9, vcc
	v_sqrt_f32_e32 v9, v8
	v_add_u32_e32 v10, -1, v9
	v_fma_f32 v11, -v10, v9, v8
	v_cmp_ge_f32_e64 s[4:5], 0, v11
	v_add_u32_e32 v11, 1, v9
	v_cndmask_b32_e64 v10, v9, v10, s[4:5]
	v_fma_f32 v9, -v11, v9, v8
	v_cmp_lt_f32_e64 s[4:5], 0, v9
	v_cndmask_b32_e64 v9, v10, v11, s[4:5]
	v_mul_f32_e32 v10, 0x37800000, v9
	v_cndmask_b32_e32 v9, v9, v10, vcc
	v_mov_b32_e32 v10, 0x260
	v_cmp_class_f32_e32 vcc, v8, v10
	v_cndmask_b32_e32 v8, v9, v8, vcc
	v_and_b32_e32 v9, 0x7fffffff, v1
	v_div_scale_f32 v10, s[4:5], v8, v8, v9
	v_div_scale_f32 v9, vcc, v9, v8, v9
	v_rcp_f32_e32 v11, v10
	v_fma_f32 v12, -v10, v11, 1.0
	v_fmac_f32_e32 v11, v12, v11
	v_mul_f32_e32 v12, v9, v11
	v_fma_f32 v13, -v10, v12, v9
	v_fmac_f32_e32 v12, v13, v11
	v_fma_f32 v9, -v10, v12, v9
	v_div_fmas_f32 v9, v9, v11, v12
	v_div_fixup_f32 v8, v9, v8, |v1|
.LBB15_25:
	s_or_b64 exec, exec, s[20:21]
.LBB15_26:
	s_or_b64 exec, exec, s[18:19]
.LBB15_27:
	s_andn2_saveexec_b64 s[16:17], s[16:17]
	s_cbranch_execz .LBB15_29
; %bb.28:
	s_mov_b32 s4, 0xf800000
	s_mov_b32 s5, 0x4f800000
	v_mul_f32_e64 v8, |v1|, s5
	v_cmp_lt_f32_e64 vcc, |v1|, s4
	v_cndmask_b32_e64 v8, |v1|, v8, vcc
	v_sqrt_f32_e32 v9, v8
	v_add_u32_e32 v10, -1, v9
	v_fma_f32 v11, -v10, v9, v8
	v_cmp_ge_f32_e64 s[4:5], 0, v11
	v_add_u32_e32 v11, 1, v9
	v_cndmask_b32_e64 v10, v9, v10, s[4:5]
	v_fma_f32 v9, -v11, v9, v8
	v_cmp_lt_f32_e64 s[4:5], 0, v9
	v_cndmask_b32_e64 v9, v10, v11, s[4:5]
	v_mul_f32_e32 v10, 0x37800000, v9
	v_cndmask_b32_e32 v9, v9, v10, vcc
	v_mov_b32_e32 v10, 0x260
	v_cmp_class_f32_e32 vcc, v8, v10
	v_cndmask_b32_e32 v8, v9, v8, vcc
.LBB15_29:
	s_or_b64 exec, exec, s[16:17]
.LBB15_30:
	s_or_b64 exec, exec, s[14:15]
	s_mov_b32 s4, 0x21000000
	v_cmp_nlt_f32_e64 s[14:15], |v0|, s4
                                        ; implicit-def: $sgpr4_sgpr5
                                        ; implicit-def: $vgpr9
                                        ; implicit-def: $vgpr11
                                        ; implicit-def: $vgpr10
	s_and_saveexec_b64 s[16:17], s[14:15]
	s_xor_b64 s[14:15], exec, s[16:17]
	s_cbranch_execz .LBB15_54
; %bb.31:
	v_and_b32_e32 v10, 0x7fffffff, v0
	v_div_scale_f32 v9, s[4:5], v2, v2, v10
	v_div_scale_f32 v11, vcc, v10, v2, v10
	s_mov_b32 s4, 0x3f244674
	v_rcp_f32_e32 v12, v9
	v_fma_f32 v13, -v9, v12, 1.0
	v_fmac_f32_e32 v12, v13, v12
	v_mul_f32_e32 v13, v11, v12
	v_fma_f32 v14, -v9, v13, v11
	v_fmac_f32_e32 v13, v14, v12
	v_fma_f32 v9, -v9, v13, v11
	v_div_fmas_f32 v9, v9, v12, v13
                                        ; implicit-def: $vgpr11
	v_div_fixup_f32 v9, v9, v2, |v0|
	v_cmp_lt_f32_e32 vcc, s4, v9
	s_mov_b64 s[4:5], 0
	s_and_saveexec_b64 s[16:17], vcc
	s_cbranch_execz .LBB15_53
; %bb.32:
	s_mov_b32 s18, 0x30800000
	v_cmp_neq_f32_e64 s[4:5], |v0|, 1.0
	v_cmp_nlt_f32_e64 s[18:19], |v1|, s18
	s_or_b64 s[4:5], s[4:5], s[18:19]
                                        ; implicit-def: $vgpr11
	s_and_saveexec_b64 s[18:19], s[4:5]
	s_xor_b64 s[18:19], exec, s[18:19]
	s_cbranch_execz .LBB15_50
; %bb.33:
	s_brev_b32 s4, 44
	v_mul_f32_e64 v11, |v3|, s4
	v_cmp_ge_f32_e64 s[4:5], |v1|, v11
                                        ; implicit-def: $vgpr11
	s_and_saveexec_b64 s[20:21], s[4:5]
	s_xor_b64 s[20:21], exec, s[20:21]
	s_cbranch_execz .LBB15_43
; %bb.34:
	v_cmp_neq_f32_e32 vcc, 0, v4
	v_mov_b32_e32 v11, v6
	s_and_saveexec_b64 s[4:5], vcc
	s_cbranch_execz .LBB15_36
; %bb.35:
	v_mul_f32_e32 v11, v1, v1
	v_add_f32_e32 v4, v4, v7
	v_div_scale_f32 v7, s[22:23], v4, v4, v11
	v_div_scale_f32 v12, vcc, v11, v4, v11
	v_rcp_f32_e32 v13, v7
	v_fma_f32 v14, -v7, v13, 1.0
	v_fmac_f32_e32 v13, v14, v13
	v_mul_f32_e32 v14, v12, v13
	v_fma_f32 v15, -v7, v14, v12
	v_fmac_f32_e32 v14, v15, v13
	v_fma_f32 v7, -v7, v14, v12
	v_div_fmas_f32 v7, v7, v13, v14
	v_div_fixup_f32 v11, v7, v4, v11
.LBB15_36:
	s_or_b64 exec, exec, s[4:5]
	v_cmp_ngt_f32_e32 vcc, 0, v3
	s_and_saveexec_b64 s[4:5], vcc
	s_xor_b64 s[4:5], exec, s[4:5]
	s_cbranch_execz .LBB15_40
; %bb.37:
	v_cmp_neq_f32_e32 vcc, 0, v3
	s_and_saveexec_b64 s[22:23], vcc
	s_cbranch_execz .LBB15_39
; %bb.38:
	v_mul_f32_e32 v4, v1, v1
	v_add_f32_e32 v3, v3, v5
	v_div_scale_f32 v5, s[24:25], v3, v3, v4
	v_div_scale_f32 v6, vcc, v4, v3, v4
	v_rcp_f32_e32 v7, v5
	v_fma_f32 v12, -v5, v7, 1.0
	v_fmac_f32_e32 v7, v12, v7
	v_mul_f32_e32 v12, v6, v7
	v_fma_f32 v13, -v5, v12, v6
	v_fmac_f32_e32 v12, v13, v7
	v_fma_f32 v5, -v5, v12, v6
	v_div_fmas_f32 v5, v5, v7, v12
	v_div_fixup_f32 v6, v5, v3, v4
.LBB15_39:
	s_or_b64 exec, exec, s[22:23]
                                        ; implicit-def: $vgpr5
                                        ; implicit-def: $vgpr3
.LBB15_40:
	s_andn2_saveexec_b64 s[4:5], s[4:5]
; %bb.41:
	v_sub_f32_e32 v6, v5, v3
; %bb.42:
	s_or_b64 exec, exec, s[4:5]
	v_mul_f32_e32 v3, 0.5, v6
	v_fmac_f32_e32 v3, 0.5, v11
	v_add_f32_e64 v2, |v0|, v2
	v_mul_f32_e32 v2, v2, v3
	s_mov_b32 s4, 0xf800000
	v_mul_f32_e32 v3, 0x4f800000, v2
	v_cmp_gt_f32_e32 vcc, s4, v2
	v_cndmask_b32_e32 v2, v2, v3, vcc
	v_sqrt_f32_e32 v3, v2
	v_add_u32_e32 v4, -1, v3
	v_fma_f32 v5, -v4, v3, v2
	v_cmp_ge_f32_e64 s[4:5], 0, v5
	v_add_u32_e32 v5, 1, v3
	v_cndmask_b32_e64 v4, v3, v4, s[4:5]
	v_fma_f32 v3, -v5, v3, v2
	v_cmp_lt_f32_e64 s[4:5], 0, v3
	v_cndmask_b32_e64 v3, v4, v5, s[4:5]
	v_mul_f32_e32 v4, 0x37800000, v3
	v_cndmask_b32_e32 v3, v3, v4, vcc
	v_mov_b32_e32 v4, 0x260
	v_cmp_class_f32_e32 vcc, v2, v4
	v_cndmask_b32_e32 v11, v3, v2, vcc
                                        ; implicit-def: $vgpr4
                                        ; implicit-def: $vgpr3
.LBB15_43:
	s_andn2_saveexec_b64 s[20:21], s[20:21]
	s_cbranch_execz .LBB15_49
; %bb.44:
	v_cmp_ngt_f32_e64 s[4:5], |v0|, 1.0
                                        ; implicit-def: $vgpr11
	s_and_saveexec_b64 s[22:23], s[4:5]
	s_xor_b64 s[22:23], exec, s[22:23]
	s_cbranch_execz .LBB15_46
; %bb.45:
	v_sub_f32_e64 v2, 1.0, |v0|
	v_mul_f32_e32 v2, v2, v4
	s_mov_b32 s4, 0xf800000
	v_mul_f32_e32 v3, 0x4f800000, v2
	v_cmp_gt_f32_e32 vcc, s4, v2
	v_cndmask_b32_e32 v2, v2, v3, vcc
	v_sqrt_f32_e32 v3, v2
	v_add_u32_e32 v4, -1, v3
	v_fma_f32 v5, -v4, v3, v2
	v_cmp_ge_f32_e64 s[4:5], 0, v5
	v_add_u32_e32 v5, 1, v3
	v_cndmask_b32_e64 v4, v3, v4, s[4:5]
	v_fma_f32 v3, -v5, v3, v2
	v_cmp_lt_f32_e64 s[4:5], 0, v3
	v_cndmask_b32_e64 v3, v4, v5, s[4:5]
	v_mul_f32_e32 v4, 0x37800000, v3
	v_cndmask_b32_e32 v3, v3, v4, vcc
	v_mov_b32_e32 v4, 0x260
	v_cmp_class_f32_e32 vcc, v2, v4
	v_cndmask_b32_e32 v11, v3, v2, vcc
                                        ; implicit-def: $vgpr4
                                        ; implicit-def: $vgpr3
.LBB15_46:
	s_andn2_saveexec_b64 s[22:23], s[22:23]
	s_cbranch_execz .LBB15_48
; %bb.47:
	v_mul_f32_e32 v2, v4, v3
	s_mov_b32 s4, 0xf800000
	v_mul_f32_e32 v3, 0x4f800000, v2
	v_cmp_gt_f32_e32 vcc, s4, v2
	v_cndmask_b32_e32 v2, v2, v3, vcc
	v_sqrt_f32_e32 v3, v2
	s_mov_b32 s24, 0x57800000
	v_mul_f32_e64 v4, |v1|, s24
	v_mul_f32_e64 v4, |v0|, v4
	v_add_u32_e32 v5, -1, v3
	v_fma_f32 v6, -v5, v3, v2
	v_cmp_ge_f32_e64 s[4:5], 0, v6
	v_add_u32_e32 v6, 1, v3
	v_cndmask_b32_e64 v5, v3, v5, s[4:5]
	v_fma_f32 v3, -v6, v3, v2
	v_cmp_lt_f32_e64 s[4:5], 0, v3
	v_cndmask_b32_e64 v3, v5, v6, s[4:5]
	v_mul_f32_e32 v5, 0x37800000, v3
	v_cndmask_b32_e32 v3, v3, v5, vcc
	v_mov_b32_e32 v5, 0x260
	v_cmp_class_f32_e32 vcc, v2, v5
	v_cndmask_b32_e32 v2, v3, v2, vcc
	v_div_scale_f32 v3, s[4:5], v2, v2, v4
	v_div_scale_f32 v5, vcc, v4, v2, v4
	v_rcp_f32_e32 v6, v3
	v_fma_f32 v7, -v3, v6, 1.0
	v_fmac_f32_e32 v6, v7, v6
	v_mul_f32_e32 v7, v5, v6
	v_fma_f32 v10, -v3, v7, v5
	v_fmac_f32_e32 v7, v10, v6
	v_fma_f32 v3, -v3, v7, v5
	v_div_fmas_f32 v3, v3, v6, v7
	v_mul_f32_e64 v10, |v0|, s24
	v_div_fixup_f32 v11, v3, v2, v4
.LBB15_48:
	s_or_b64 exec, exec, s[22:23]
.LBB15_49:
	s_or_b64 exec, exec, s[20:21]
                                        ; implicit-def: $vgpr2
.LBB15_50:
	s_andn2_saveexec_b64 s[18:19], s[18:19]
	s_cbranch_execz .LBB15_52
; %bb.51:
	s_mov_b32 s20, 0xf800000
	s_mov_b32 s4, 0x4f800000
	v_mul_f32_e64 v3, |v1|, s4
	v_cmp_lt_f32_e64 vcc, |v1|, s20
	v_cndmask_b32_e64 v3, |v1|, v3, vcc
	v_sqrt_f32_e32 v4, v3
	v_add_f32_e32 v2, 1.0, v2
	v_mul_f32_e32 v2, 0.5, v2
	v_mov_b32_e32 v10, 1.0
	v_add_u32_e32 v5, -1, v4
	v_fma_f32 v6, -v5, v4, v3
	v_cmp_ge_f32_e64 s[4:5], 0, v6
	v_add_u32_e32 v6, 1, v4
	v_cndmask_b32_e64 v5, v4, v5, s[4:5]
	v_fma_f32 v4, -v6, v4, v3
	v_cmp_lt_f32_e64 s[4:5], 0, v4
	v_cndmask_b32_e64 v4, v5, v6, s[4:5]
	v_mul_f32_e32 v5, 0x37800000, v4
	v_cndmask_b32_e32 v4, v4, v5, vcc
	v_mul_f32_e32 v6, 0x4f800000, v2
	v_cmp_gt_f32_e32 vcc, s20, v2
	v_cndmask_b32_e32 v2, v2, v6, vcc
	v_sqrt_f32_e32 v6, v2
	v_mov_b32_e32 v5, 0x260
	v_cmp_class_f32_e64 s[4:5], v3, v5
	v_cndmask_b32_e64 v3, v4, v3, s[4:5]
	v_add_u32_e32 v4, -1, v6
	v_fma_f32 v7, -v4, v6, v2
	v_cmp_ge_f32_e64 s[4:5], 0, v7
	v_add_u32_e32 v7, 1, v6
	v_cndmask_b32_e64 v4, v6, v4, s[4:5]
	v_fma_f32 v6, -v7, v6, v2
	v_cmp_lt_f32_e64 s[4:5], 0, v6
	v_cndmask_b32_e64 v4, v4, v7, s[4:5]
	v_mul_f32_e32 v6, 0x37800000, v4
	v_cndmask_b32_e32 v4, v4, v6, vcc
	v_cmp_class_f32_e32 vcc, v2, v5
	v_cndmask_b32_e32 v2, v4, v2, vcc
	v_mul_f32_e32 v11, v3, v2
.LBB15_52:
	s_or_b64 exec, exec, s[18:19]
	s_mov_b64 s[4:5], exec
.LBB15_53:
	s_or_b64 exec, exec, s[16:17]
                                        ; implicit-def: $vgpr2
.LBB15_54:
	s_andn2_saveexec_b64 s[14:15], s[14:15]
; %bb.55:
	s_mov_b32 s16, 0x4b800000
	v_mul_f32_e32 v11, 0x4b800000, v2
	v_mul_f32_e64 v10, |v0|, s16
	s_or_b64 s[4:5], s[4:5], exec
                                        ; implicit-def: $vgpr9
; %bb.56:
	s_or_b64 exec, exec, s[14:15]
	s_xor_b64 s[4:5], s[4:5], -1
                                        ; implicit-def: $vgpr2
	s_and_saveexec_b64 s[14:15], s[4:5]
	s_xor_b64 s[4:5], exec, s[14:15]
	s_cbranch_execz .LBB15_58
; %bb.57:
	v_fma_f32 v2, |v9|, -0.5, 0.5
	v_mul_f32_e32 v3, v9, v9
	v_cmp_ge_f32_e64 vcc, |v9|, 0.5
	v_cndmask_b32_e32 v2, v3, v2, vcc
	v_mov_b32_e32 v3, 0x3c5fc5da
	v_fmac_f32_e32 v3, 0x3d1c21a7, v2
	v_mov_b32_e32 v4, 0x3d034c3c
	v_fmac_f32_e32 v4, v2, v3
	;; [unrolled: 2-line block ×4, first 2 shown]
	v_sqrt_f32_e32 v3, v2
	v_mov_b32_e32 v5, 0x3e2aaaac
	v_fmac_f32_e32 v5, v2, v4
	v_mul_f32_e32 v2, v2, v5
	v_fmac_f32_e32 v3, v3, v2
	v_add_f32_e32 v3, v3, v3
	v_sub_f32_e32 v3, 0x3fc90fdb, v3
	v_fma_f32 v2, |v9|, v2, |v9|
	v_cmp_lt_f32_e64 vcc, |v9|, 0.5
	v_cndmask_b32_e32 v2, v3, v2, vcc
	s_brev_b32 s14, -2
	v_bfi_b32 v2, s14, v2, v9
                                        ; implicit-def: $vgpr10
                                        ; implicit-def: $vgpr11
.LBB15_58:
	s_andn2_saveexec_b64 s[14:15], s[4:5]
	s_cbranch_execz .LBB15_60
; %bb.59:
	v_max_f32_e32 v2, v10, v10
	v_max_f32_e64 v3, |v11|, |v11|
	v_min_f32_e32 v4, v3, v2
	v_max_f32_e32 v2, v3, v2
	v_frexp_mant_f32_e32 v3, v2
	v_rcp_f32_e32 v3, v3
	v_frexp_exp_i32_f32_e32 v2, v2
	v_frexp_exp_i32_f32_e32 v5, v4
	v_frexp_mant_f32_e32 v4, v4
	v_mul_f32_e32 v3, v4, v3
	v_sub_u32_e32 v2, v5, v2
	v_ldexp_f32 v2, v3, v2
	v_mul_f32_e32 v3, v2, v2
	v_mov_b32_e32 v4, 0xbc7a590c
	v_fmac_f32_e32 v4, 0x3b2d2a58, v3
	v_mov_b32_e32 v5, 0x3d29fb3f
	v_fmac_f32_e32 v5, v3, v4
	;; [unrolled: 2-line block ×7, first 2 shown]
	v_mul_f32_e32 v3, v3, v4
	v_fmac_f32_e32 v2, v2, v3
	v_sub_f32_e32 v3, 0x3fc90fdb, v2
	v_cmp_gt_f32_e64 vcc, v10, |v11|
	v_cndmask_b32_e32 v2, v2, v3, vcc
	v_sub_f32_e32 v3, 0x40490fdb, v2
	v_cmp_gt_f32_e32 vcc, 0, v11
	v_cndmask_b32_e32 v2, v2, v3, vcc
	v_mov_b32_e32 v3, 0x40490fdb
	v_cmp_gt_i32_e64 s[4:5], 0, v11
	v_cndmask_b32_e64 v3, 0, v3, s[4:5]
	s_movk_i32 s4, 0x204
	v_mov_b32_e32 v4, 0x3f490fdb
	v_mov_b32_e32 v5, 0x4016cbe4
	v_cmp_class_f32_e64 s[16:17], v11, s4
	s_mov_b32 s4, 0x7f800000
	v_cndmask_b32_e32 v4, v4, v5, vcc
	v_cmp_eq_f32_e32 vcc, s4, v10
	v_cmp_eq_f32_e64 s[4:5], 0, v10
	v_cndmask_b32_e64 v2, |v2|, v3, s[4:5]
	s_and_b64 vcc, vcc, s[16:17]
	v_cndmask_b32_e32 v2, v2, v4, vcc
	v_mov_b32_e32 v3, 0x7fc00000
	v_cmp_o_f32_e32 vcc, v11, v11
	v_cndmask_b32_e32 v2, v3, v2, vcc
.LBB15_60:
	s_or_b64 exec, exec, s[14:15]
	s_brev_b32 s4, -2
	v_bfi_b32 v1, s4, v8, v1
	v_bfi_b32 v0, s4, v2, v0
.LBB15_61:
	s_or_b64 exec, exec, s[12:13]
.LBB15_62:
	s_or_b64 exec, exec, s[10:11]
                                        ; implicit-def: $vgpr2
                                        ; implicit-def: $vgpr5
                                        ; implicit-def: $vgpr4
.LBB15_63:
	s_andn2_saveexec_b64 s[10:11], s[6:7]
	s_cbranch_execz .LBB15_85
; %bb.64:
	v_cmp_lt_i32_e32 vcc, -1, v1
                                        ; implicit-def: $sgpr12_sgpr13
                                        ; implicit-def: $vgpr3
                                        ; implicit-def: $vgpr6
	s_and_saveexec_b64 s[4:5], vcc
	s_xor_b64 s[14:15], exec, s[4:5]
	s_cbranch_execz .LBB15_74
; %bb.65:
	v_cmp_lt_f32_e64 s[4:5], |v1|, |v0|
	v_cndmask_b32_e64 v7, |v1|, |v0|, s[4:5]
	s_mov_b32 s6, 0x7effffff
	v_cmp_nlt_f32_e32 vcc, s6, v7
                                        ; implicit-def: $vgpr3
                                        ; implicit-def: $vgpr6
	s_and_saveexec_b64 s[6:7], vcc
	s_xor_b64 s[12:13], exec, s[6:7]
	s_cbranch_execz .LBB15_71
; %bb.66:
	s_mov_b32 s6, 0x5e000000
	v_cndmask_b32_e64 v8, |v0|, |v1|, s[4:5]
	v_cmp_nlt_f32_e32 vcc, s6, v7
	s_brev_b32 s6, 4
	v_cmp_ngt_f32_e64 s[6:7], s6, v8
	s_and_b64 s[6:7], vcc, s[6:7]
                                        ; implicit-def: $vgpr3
                                        ; implicit-def: $vgpr6
	s_and_saveexec_b64 s[16:17], s[6:7]
	s_xor_b64 s[16:17], exec, s[16:17]
	s_cbranch_execz .LBB15_68
; %bb.67:
	v_mul_f32_e32 v3, v8, v8
	v_fmac_f32_e32 v3, v7, v7
	s_mov_b32 s6, 0x800000
	v_cmp_gt_f32_e32 vcc, s6, v3
	v_cndmask_b32_e64 v6, 0, 32, vcc
	v_ldexp_f32 v3, v3, v6
	v_log_f32_e32 v3, v3
	s_mov_b32 s6, 0x3f317217
	s_waitcnt lgkmcnt(0)
	v_min_f32_e32 v2, v5, v2
	v_frexp_mant_f32_e32 v5, v4
	v_mul_f32_e32 v6, 0x3f317217, v3
	v_fma_f32 v6, v3, s6, -v6
	v_fmac_f32_e32 v6, 0x3377d1cf, v3
	s_mov_b32 s6, 0x7f800000
	v_fmac_f32_e32 v6, 0x3f317217, v3
	v_cmp_lt_f32_e64 s[6:7], |v3|, s6
	v_rcp_f32_e32 v5, v5
	v_cndmask_b32_e64 v3, v3, v6, s[6:7]
	v_mov_b32_e32 v6, 0x41b17218
	v_cndmask_b32_e32 v6, 0, v6, vcc
	v_sub_f32_e32 v3, v3, v6
	v_frexp_exp_i32_f32_e32 v4, v4
	v_frexp_exp_i32_f32_e32 v6, v2
	v_frexp_mant_f32_e32 v2, v2
	v_mul_f32_e32 v2, v2, v5
	v_sub_u32_e32 v4, v6, v4
	v_ldexp_f32 v6, v2, v4
	v_mul_f32_e32 v2, v6, v6
	v_mov_b32_e32 v4, 0xbc7a590c
	v_fmac_f32_e32 v4, 0x3b2d2a58, v2
	v_mov_b32_e32 v5, 0x3d29fb3f
	v_fmac_f32_e32 v5, v2, v4
	;; [unrolled: 2-line block ×7, first 2 shown]
	v_mul_f32_e32 v2, v2, v4
	v_mul_f32_e32 v3, 0.5, v3
	v_fmac_f32_e32 v6, v6, v2
                                        ; implicit-def: $vgpr4
                                        ; implicit-def: $vgpr5
                                        ; implicit-def: $vgpr2
.LBB15_68:
	s_andn2_saveexec_b64 s[6:7], s[16:17]
	s_cbranch_execz .LBB15_70
; %bb.69:
	v_cvt_f64_f32_e32 v[6:7], v4
	s_waitcnt lgkmcnt(0)
	v_min_f32_e32 v2, v5, v2
	s_mov_b32 s16, 0x7f800000
	v_cmp_neq_f32_e32 vcc, s16, v4
	v_frexp_exp_i32_f64_e32 v3, v[6:7]
	v_mov_b32_e32 v6, 0x7f800000
	s_mov_b32 s17, 0x800000
	v_frexp_mant_f32_e32 v9, v4
	v_rcp_f32_e32 v9, v9
	s_mov_b32 s18, 0x3f317217
	v_mov_b32_e32 v7, 0x41b17218
	v_sub_u32_e32 v5, 0, v3
	v_ldexp_f32 v8, |v1|, v5
	v_ldexp_f32 v5, |v0|, v5
	v_mul_f32_e32 v5, v5, v5
	v_fmac_f32_e32 v5, v8, v8
	v_sqrt_f32_e32 v5, v5
	v_frexp_exp_i32_f32_e32 v8, v4
	v_ldexp_f32 v3, v5, v3
	v_cndmask_b32_e32 v3, v6, v3, vcc
	v_cmp_gt_f32_e32 vcc, s17, v3
	v_cndmask_b32_e64 v4, 0, 32, vcc
	v_ldexp_f32 v3, v3, v4
	v_log_f32_e32 v3, v3
	v_frexp_exp_i32_f32_e32 v4, v2
	v_frexp_mant_f32_e32 v2, v2
	v_cndmask_b32_e32 v5, 0, v7, vcc
	v_mul_f32_e32 v6, 0x3f317217, v3
	v_fma_f32 v6, v3, s18, -v6
	v_fmac_f32_e32 v6, 0x3377d1cf, v3
	v_fmac_f32_e32 v6, 0x3f317217, v3
	v_cmp_lt_f32_e64 vcc, |v3|, s16
	v_mul_f32_e32 v2, v2, v9
	v_sub_u32_e32 v4, v4, v8
	v_cndmask_b32_e32 v3, v3, v6, vcc
	v_ldexp_f32 v6, v2, v4
	v_mul_f32_e32 v2, v6, v6
	v_mov_b32_e32 v4, 0xbc7a590c
	v_sub_f32_e32 v3, v3, v5
	v_fmac_f32_e32 v4, 0x3b2d2a58, v2
	v_mov_b32_e32 v5, 0x3d29fb3f
	v_fmac_f32_e32 v5, v2, v4
	v_mov_b32_e32 v4, 0xbd97d4d7
	;; [unrolled: 2-line block ×6, first 2 shown]
	v_fmac_f32_e32 v4, v2, v5
	v_mul_f32_e32 v2, v2, v4
	v_fmac_f32_e32 v6, v6, v2
.LBB15_70:
	s_or_b64 exec, exec, s[6:7]
                                        ; implicit-def: $vgpr5
                                        ; implicit-def: $vgpr2
                                        ; implicit-def: $vgpr4
.LBB15_71:
	s_andn2_saveexec_b64 s[12:13], s[12:13]
	s_cbranch_execz .LBB15_73
; %bb.72:
	s_mov_b32 s16, 0x402df854
	v_div_scale_f32 v3, s[6:7], s16, s16, v1
	v_div_scale_f32 v6, s[6:7], s16, s16, v0
	v_div_scale_f32 v7, vcc, v1, s16, v1
	v_div_scale_f32 v8, s[6:7], v0, s16, v0
	s_waitcnt lgkmcnt(0)
	v_min_f32_e32 v5, v5, v2
	s_mov_b32 s17, 0x3f317217
	v_mov_b32_e32 v17, 0xbe1160e6
	v_mov_b32_e32 v18, 0x3e4cb8bf
	v_rcp_f32_e32 v9, v3
	v_rcp_f32_e32 v10, v6
	v_fma_f32 v11, -v3, v9, 1.0
	v_fmac_f32_e32 v9, v11, v9
	v_fma_f32 v12, -v6, v10, 1.0
	v_fmac_f32_e32 v10, v12, v10
	v_mul_f32_e32 v11, v7, v9
	v_mul_f32_e32 v12, v8, v10
	v_fma_f32 v13, -v3, v11, v7
	v_fma_f32 v14, -v6, v12, v8
	v_fmac_f32_e32 v11, v13, v9
	v_fmac_f32_e32 v12, v14, v10
	v_fma_f32 v3, -v3, v11, v7
	v_fma_f32 v6, -v6, v12, v8
	v_div_fmas_f32 v3, v3, v9, v11
	s_mov_b64 vcc, s[6:7]
	v_div_fmas_f32 v6, v6, v10, v12
	v_frexp_exp_i32_f32_e32 v9, v4
	v_frexp_mant_f32_e32 v4, v4
	v_rcp_f32_e32 v4, v4
	s_mov_b32 s6, 0x7f800000
	v_mov_b32_e32 v7, 0x7f800000
	s_mov_b32 s7, 0x800000
	v_mov_b32_e32 v10, 0xbc7a590c
	v_mov_b32_e32 v11, 0x3d29fb3f
	;; [unrolled: 1-line block ×5, first 2 shown]
	v_div_fixup_f32 v14, v3, s16, v1
	v_div_fixup_f32 v15, v6, s16, v0
	v_max_f32_e64 v16, v14, |v15|
	v_cvt_f64_f32_e32 v[2:3], v16
	v_cmp_neq_f32_e32 vcc, s6, v16
	v_frexp_exp_i32_f64_e32 v2, v[2:3]
	v_frexp_exp_i32_f32_e32 v3, v5
	v_frexp_mant_f32_e32 v5, v5
	v_sub_u32_e32 v3, v3, v9
	v_mul_f32_e32 v4, v5, v4
	v_ldexp_f32 v6, v4, v3
	v_mul_f32_e32 v4, v6, v6
	v_fmac_f32_e32 v10, 0x3b2d2a58, v4
	v_sub_u32_e32 v3, 0, v2
	v_ldexp_f32 v5, v14, v3
	v_ldexp_f32 v3, |v15|, v3
	v_mul_f32_e32 v3, v3, v3
	v_fmac_f32_e32 v3, v5, v5
	v_sqrt_f32_e32 v3, v3
	v_fmac_f32_e32 v11, v4, v10
	v_fmac_f32_e32 v12, v4, v11
	;; [unrolled: 1-line block ×3, first 2 shown]
	v_ldexp_f32 v2, v3, v2
	v_cndmask_b32_e32 v2, v7, v2, vcc
	v_cmp_gt_f32_e32 vcc, s7, v2
	v_cndmask_b32_e64 v3, 0, 32, vcc
	v_ldexp_f32 v2, v2, v3
	v_log_f32_e32 v2, v2
	v_cndmask_b32_e32 v3, 0, v8, vcc
	v_fmac_f32_e32 v17, v4, v13
	v_fmac_f32_e32 v18, v4, v17
	v_mul_f32_e32 v5, 0x3f317217, v2
	v_fma_f32 v5, v2, s17, -v5
	v_fmac_f32_e32 v5, 0x3377d1cf, v2
	v_fmac_f32_e32 v5, 0x3f317217, v2
	v_cmp_lt_f32_e64 vcc, |v2|, s6
	v_cndmask_b32_e32 v2, v2, v5, vcc
	v_sub_f32_e32 v2, v2, v3
	v_add_f32_e32 v3, 1.0, v2
	v_mov_b32_e32 v2, 0xbeaaaa62
	v_fmac_f32_e32 v2, v4, v18
	v_mul_f32_e32 v2, v4, v2
	v_fmac_f32_e32 v6, v6, v2
.LBB15_73:
	s_or_b64 exec, exec, s[12:13]
	s_waitcnt lgkmcnt(0)
	v_sub_f32_e32 v2, 0x3fc90fdb, v6
	v_cndmask_b32_e64 v2, v6, v2, s[4:5]
	v_cmp_neq_f32_e32 vcc, 0, v0
	s_movk_i32 s4, 0x204
	v_cndmask_b32_e32 v6, 0, v2, vcc
	v_cmp_class_f32_e64 s[12:13], v1, s4
                                        ; implicit-def: $vgpr2
.LBB15_74:
	s_andn2_saveexec_b64 s[14:15], s[14:15]
	s_cbranch_execz .LBB15_84
; %bb.75:
	v_cmp_gt_f32_e64 s[4:5], |v0|, -v1
	v_cndmask_b32_e64 v5, -v1, |v0|, s[4:5]
	s_mov_b32 s6, 0x7effffff
	v_cmp_nlt_f32_e32 vcc, s6, v5
                                        ; implicit-def: $vgpr3
                                        ; implicit-def: $vgpr4
	s_and_saveexec_b64 s[6:7], vcc
	s_xor_b64 s[16:17], exec, s[6:7]
	s_cbranch_execz .LBB15_81
; %bb.76:
	v_xor_b32_e32 v3, 0x80000000, v1
	s_mov_b32 s6, 0x5e000000
	v_cndmask_b32_e64 v6, |v0|, v3, s[4:5]
	v_cmp_nlt_f32_e32 vcc, s6, v5
	s_brev_b32 s6, 4
	v_cmp_ngt_f32_e64 s[6:7], s6, v6
	s_and_b64 s[6:7], vcc, s[6:7]
                                        ; implicit-def: $vgpr3
                                        ; implicit-def: $vgpr4
	s_and_saveexec_b64 s[18:19], s[6:7]
	s_xor_b64 s[18:19], exec, s[18:19]
	s_cbranch_execz .LBB15_78
; %bb.77:
	v_mul_f32_e32 v3, v6, v6
	v_fmac_f32_e32 v3, v5, v5
	s_mov_b32 s6, 0x800000
	v_cmp_gt_f32_e32 vcc, s6, v3
	v_cndmask_b32_e64 v4, 0, 32, vcc
	v_ldexp_f32 v3, v3, v4
	v_log_f32_e32 v3, v3
	s_mov_b32 s6, 0x3f317217
	v_mul_f32_e32 v4, 0x3f317217, v3
	v_fma_f32 v4, v3, s6, -v4
	v_fmac_f32_e32 v4, 0x3377d1cf, v3
	s_mov_b32 s6, 0x7f800000
	v_fmac_f32_e32 v4, 0x3f317217, v3
	v_cmp_lt_f32_e64 s[6:7], |v3|, s6
	v_cndmask_b32_e64 v3, v3, v4, s[6:7]
	v_mov_b32_e32 v4, 0x41b17218
	v_cndmask_b32_e32 v4, 0, v4, vcc
	v_sub_f32_e32 v3, v3, v4
	v_max_f32_e64 v4, -v1, -v1
	s_waitcnt lgkmcnt(0)
	v_min_f32_e32 v5, v4, v2
	v_max_f32_e32 v2, v4, v2
	v_frexp_mant_f32_e32 v4, v2
	v_rcp_f32_e32 v4, v4
	v_frexp_exp_i32_f32_e32 v2, v2
	v_frexp_exp_i32_f32_e32 v6, v5
	v_frexp_mant_f32_e32 v5, v5
	v_mul_f32_e32 v4, v5, v4
	v_sub_u32_e32 v2, v6, v2
	v_ldexp_f32 v4, v4, v2
	v_mul_f32_e32 v2, v4, v4
	v_mov_b32_e32 v5, 0xbc7a590c
	v_fmac_f32_e32 v5, 0x3b2d2a58, v2
	v_mov_b32_e32 v6, 0x3d29fb3f
	v_fmac_f32_e32 v6, v2, v5
	;; [unrolled: 2-line block ×7, first 2 shown]
	v_mul_f32_e32 v2, v2, v5
	v_mul_f32_e32 v3, 0.5, v3
	v_fmac_f32_e32 v4, v4, v2
                                        ; implicit-def: $vgpr2
.LBB15_78:
	s_andn2_saveexec_b64 s[6:7], s[18:19]
	s_cbranch_execz .LBB15_80
; %bb.79:
	v_max_f32_e64 v5, -v1, -v1
	s_waitcnt lgkmcnt(0)
	v_max_f32_e32 v6, v5, v2
	v_cvt_f64_f32_e32 v[3:4], v6
	v_min_f32_e32 v2, v5, v2
	s_mov_b32 s18, 0x7f800000
	v_cmp_neq_f32_e32 vcc, s18, v6
	v_frexp_exp_i32_f64_e32 v3, v[3:4]
	v_mov_b32_e32 v4, 0x7f800000
	s_mov_b32 s19, 0x800000
	v_frexp_mant_f32_e32 v9, v6
	s_mov_b32 s20, 0x3f317217
	v_mov_b32_e32 v7, 0x41b17218
	v_frexp_exp_i32_f32_e32 v10, v2
	v_frexp_mant_f32_e32 v2, v2
	v_sub_u32_e32 v5, 0, v3
	v_ldexp_f32 v8, -v1, v5
	v_ldexp_f32 v5, |v0|, v5
	v_mul_f32_e32 v5, v5, v5
	v_fmac_f32_e32 v5, v8, v8
	v_sqrt_f32_e32 v5, v5
	v_frexp_exp_i32_f32_e32 v8, v6
	v_ldexp_f32 v3, v5, v3
	v_cndmask_b32_e32 v3, v4, v3, vcc
	v_cmp_gt_f32_e32 vcc, s19, v3
	v_cndmask_b32_e64 v4, 0, 32, vcc
	v_ldexp_f32 v3, v3, v4
	v_log_f32_e32 v3, v3
	v_rcp_f32_e32 v4, v9
	v_cndmask_b32_e32 v5, 0, v7, vcc
	v_mul_f32_e32 v6, 0x3f317217, v3
	v_fma_f32 v6, v3, s20, -v6
	v_fmac_f32_e32 v6, 0x3377d1cf, v3
	v_fmac_f32_e32 v6, 0x3f317217, v3
	v_cmp_lt_f32_e64 vcc, |v3|, s18
	v_mul_f32_e32 v2, v2, v4
	v_sub_u32_e32 v4, v10, v8
	v_cndmask_b32_e32 v3, v3, v6, vcc
	v_ldexp_f32 v4, v2, v4
	v_sub_f32_e32 v3, v3, v5
	v_mul_f32_e32 v2, v4, v4
	v_mov_b32_e32 v5, 0xbc7a590c
	v_fmac_f32_e32 v5, 0x3b2d2a58, v2
	v_mov_b32_e32 v6, 0x3d29fb3f
	v_fmac_f32_e32 v6, v2, v5
	v_mov_b32_e32 v5, 0xbd97d4d7
	v_fmac_f32_e32 v5, v2, v6
	v_mov_b32_e32 v6, 0x3dd931b2
	v_fmac_f32_e32 v6, v2, v5
	v_mov_b32_e32 v5, 0xbe1160e6
	v_fmac_f32_e32 v5, v2, v6
	v_mov_b32_e32 v6, 0x3e4cb8bf
	v_fmac_f32_e32 v6, v2, v5
	v_mov_b32_e32 v5, 0xbeaaaa62
	v_fmac_f32_e32 v5, v2, v6
	v_mul_f32_e32 v2, v2, v5
	v_fmac_f32_e32 v4, v4, v2
.LBB15_80:
	s_or_b64 exec, exec, s[6:7]
                                        ; implicit-def: $vgpr2
.LBB15_81:
	s_andn2_saveexec_b64 s[16:17], s[16:17]
	s_cbranch_execz .LBB15_83
; %bb.82:
	s_mov_b32 s18, 0xc02df854
	v_div_scale_f32 v3, s[6:7], s18, s18, v1
	v_div_scale_f32 v4, s[6:7], s18, s18, v0
	v_div_scale_f32 v5, vcc, v1, s18, v1
	v_div_scale_f32 v6, s[6:7], v0, s18, v0
	s_mov_b32 s19, 0x3f317217
	v_rcp_f32_e32 v7, v3
	v_rcp_f32_e32 v8, v4
	v_fma_f32 v9, -v3, v7, 1.0
	v_fmac_f32_e32 v7, v9, v7
	v_fma_f32 v10, -v4, v8, 1.0
	v_fmac_f32_e32 v8, v10, v8
	v_mul_f32_e32 v9, v5, v7
	v_mul_f32_e32 v10, v6, v8
	v_fma_f32 v11, -v3, v9, v5
	v_fma_f32 v12, -v4, v10, v6
	v_fmac_f32_e32 v9, v11, v7
	v_fmac_f32_e32 v10, v12, v8
	v_fma_f32 v3, -v3, v9, v5
	v_fma_f32 v4, -v4, v10, v6
	v_div_fmas_f32 v3, v3, v7, v9
	s_mov_b64 vcc, s[6:7]
	v_div_fmas_f32 v4, v4, v8, v10
	v_max_f32_e64 v7, -v1, -v1
	s_waitcnt lgkmcnt(0)
	v_min_f32_e32 v13, v7, v2
	v_max_f32_e32 v2, v7, v2
	v_frexp_exp_i32_f32_e32 v7, v2
	v_frexp_mant_f32_e32 v2, v2
	v_rcp_f32_e32 v2, v2
	s_mov_b32 s6, 0x7f800000
	v_mov_b32_e32 v5, 0x7f800000
	s_mov_b32 s7, 0x800000
	v_mov_b32_e32 v6, 0x41b17218
	v_mov_b32_e32 v8, 0xbc7a590c
	;; [unrolled: 1-line block ×4, first 2 shown]
	v_div_fixup_f32 v14, v3, s18, v1
	v_mov_b32_e32 v11, 0x3dd931b2
	v_div_fixup_f32 v15, v4, s18, v0
	v_max_f32_e64 v16, |v14|, |v15|
	v_cvt_f64_f32_e32 v[3:4], v16
	v_cmp_neq_f32_e32 vcc, s6, v16
	v_mov_b32_e32 v12, 0xbe1160e6
	v_frexp_exp_i32_f64_e32 v3, v[3:4]
	v_frexp_exp_i32_f32_e32 v4, v13
	v_frexp_mant_f32_e32 v13, v13
	v_sub_u32_e32 v4, v4, v7
	v_mul_f32_e32 v2, v13, v2
	v_ldexp_f32 v4, v2, v4
	v_mul_f32_e32 v2, v4, v4
	v_fmac_f32_e32 v8, 0x3b2d2a58, v2
	v_sub_u32_e32 v7, 0, v3
	v_ldexp_f32 v13, |v14|, v7
	v_ldexp_f32 v7, |v15|, v7
	v_mul_f32_e32 v7, v7, v7
	v_fmac_f32_e32 v7, v13, v13
	v_sqrt_f32_e32 v7, v7
	v_fmac_f32_e32 v9, v2, v8
	v_fmac_f32_e32 v10, v2, v9
	;; [unrolled: 1-line block ×3, first 2 shown]
	v_ldexp_f32 v3, v7, v3
	v_cndmask_b32_e32 v3, v5, v3, vcc
	v_cmp_gt_f32_e32 vcc, s7, v3
	v_cndmask_b32_e64 v5, 0, 32, vcc
	v_ldexp_f32 v3, v3, v5
	v_log_f32_e32 v3, v3
	v_cndmask_b32_e32 v5, 0, v6, vcc
	v_fmac_f32_e32 v12, v2, v11
	v_mul_f32_e32 v6, 0x3f317217, v3
	v_fma_f32 v6, v3, s19, -v6
	v_fmac_f32_e32 v6, 0x3377d1cf, v3
	v_fmac_f32_e32 v6, 0x3f317217, v3
	v_cmp_lt_f32_e64 vcc, |v3|, s6
	v_cndmask_b32_e32 v3, v3, v6, vcc
	v_sub_f32_e32 v3, v3, v5
	v_mov_b32_e32 v5, 0x3e4cb8bf
	v_fmac_f32_e32 v5, v2, v12
	v_mov_b32_e32 v6, 0xbeaaaa62
	v_fmac_f32_e32 v6, v2, v5
	v_mul_f32_e32 v2, v2, v6
	v_add_f32_e32 v3, 1.0, v3
	v_fmac_f32_e32 v4, v4, v2
.LBB15_83:
	s_or_b64 exec, exec, s[16:17]
	s_waitcnt lgkmcnt(0)
	v_sub_f32_e32 v2, 0x3fc90fdb, v4
	v_cndmask_b32_e64 v2, v4, v2, s[4:5]
	v_cmp_neq_f32_e32 vcc, 0, v0
	s_mov_b32 s4, 0xff800000
	v_cndmask_b32_e32 v6, 0, v2, vcc
	v_cmp_eq_f32_e32 vcc, s4, v1
	s_andn2_b64 s[4:5], s[12:13], exec
	s_and_b64 s[6:7], vcc, exec
	s_or_b64 s[12:13], s[4:5], s[6:7]
.LBB15_84:
	s_or_b64 exec, exec, s[14:15]
	s_movk_i32 s4, 0x204
	v_cmp_class_f32_e64 s[4:5], v0, s4
	s_waitcnt lgkmcnt(0)
	v_mov_b32_e32 v2, 0x3f490fdb
	s_and_b64 vcc, s[4:5], s[12:13]
	v_cndmask_b32_e32 v2, v6, v2, vcc
	v_add_f32_e32 v3, 0x3f317218, v3
	s_brev_b32 s4, -2
	v_bfi_b32 v1, s4, v3, v1
	v_bfi_b32 v0, s4, v2, v0
.LBB15_85:
	s_or_b64 exec, exec, s[10:11]
	s_andn2_saveexec_b64 s[4:5], s[8:9]
	s_cbranch_execz .LBB15_2
.LBB15_86:
	s_mov_b32 s8, 0x7f800000
	v_cmp_neq_f32_e64 s[6:7], |v1|, s8
                                        ; implicit-def: $vgpr2
                                        ; implicit-def: $vgpr3
	s_and_saveexec_b64 s[10:11], s[6:7]
	s_xor_b64 s[6:7], exec, s[10:11]
	s_cbranch_execz .LBB15_96
; %bb.87:
	v_cmp_neq_f32_e64 s[8:9], |v0|, s8
                                        ; implicit-def: $vgpr2
                                        ; implicit-def: $vgpr3
	s_and_saveexec_b64 s[10:11], s[8:9]
	s_xor_b64 s[8:9], exec, s[10:11]
	s_cbranch_execz .LBB15_93
; %bb.88:
	v_cmp_neq_f32_e32 vcc, 0, v0
                                        ; implicit-def: $vgpr2
	s_and_saveexec_b64 s[10:11], vcc
	s_xor_b64 s[10:11], exec, s[10:11]
	s_cbranch_execz .LBB15_90
; %bb.89:
	v_add_f32_e32 v1, 0, v1
	s_waitcnt lgkmcnt(0)
	v_add_f32_e32 v2, v0, v1
                                        ; implicit-def: $vgpr0_vgpr1
.LBB15_90:
	s_or_saveexec_b64 s[10:11], s[10:11]
	s_waitcnt lgkmcnt(0)
	v_mov_b32_e32 v3, v2
	s_xor_b64 exec, exec, s[10:11]
; %bb.91:
	v_add_f32_e32 v3, v1, v1
	v_mov_b32_e32 v2, v0
; %bb.92:
	s_or_b64 exec, exec, s[10:11]
                                        ; implicit-def: $vgpr0_vgpr1
.LBB15_93:
	s_andn2_saveexec_b64 s[8:9], s[8:9]
	s_cbranch_execz .LBB15_95
; %bb.94:
	s_waitcnt lgkmcnt(0)
	v_add_f32_e32 v2, v1, v1
	v_mov_b32_e32 v3, v0
.LBB15_95:
	s_or_b64 exec, exec, s[8:9]
                                        ; implicit-def: $vgpr0_vgpr1
.LBB15_96:
	s_andn2_saveexec_b64 s[6:7], s[6:7]
	s_cbranch_execz .LBB15_98
; %bb.97:
	s_waitcnt lgkmcnt(0)
	v_add_f32_e32 v2, v0, v0
	v_mov_b32_e32 v3, v1
.LBB15_98:
	s_or_b64 exec, exec, s[6:7]
	v_mov_b32_e32 v1, v3
	s_waitcnt lgkmcnt(0)
	v_mov_b32_e32 v0, v2
	s_or_b64 exec, exec, s[4:5]
	s_setpc_b64 s[30:31]
.Lfunc_end15:
	.size	_ZN2at6native6invokeIZZZNS0_16asin_kernel_cudaERNS_18TensorIteratorBaseEENKUlvE_clEvENKUlvE0_clEvEUlN3c107complexIfEEE_j15function_traitsIS9_EEENT1_11result_typeERKT_PrKPcPKT0_i, .Lfunc_end15-_ZN2at6native6invokeIZZZNS0_16asin_kernel_cudaERNS_18TensorIteratorBaseEENKUlvE_clEvENKUlvE0_clEvEUlN3c107complexIfEEE_j15function_traitsIS9_EEENT1_11result_typeERKT_PrKPcPKT0_i
                                        ; -- End function
	.set .L_ZN2at6native6invokeIZZZNS0_16asin_kernel_cudaERNS_18TensorIteratorBaseEENKUlvE_clEvENKUlvE0_clEvEUlN3c107complexIfEEE_j15function_traitsIS9_EEENT1_11result_typeERKT_PrKPcPKT0_i.num_vgpr, 20
	.set .L_ZN2at6native6invokeIZZZNS0_16asin_kernel_cudaERNS_18TensorIteratorBaseEENKUlvE_clEvENKUlvE0_clEvEUlN3c107complexIfEEE_j15function_traitsIS9_EEENT1_11result_typeERKT_PrKPcPKT0_i.num_agpr, 0
	.set .L_ZN2at6native6invokeIZZZNS0_16asin_kernel_cudaERNS_18TensorIteratorBaseEENKUlvE_clEvENKUlvE0_clEvEUlN3c107complexIfEEE_j15function_traitsIS9_EEENT1_11result_typeERKT_PrKPcPKT0_i.numbered_sgpr, 33
	.set .L_ZN2at6native6invokeIZZZNS0_16asin_kernel_cudaERNS_18TensorIteratorBaseEENKUlvE_clEvENKUlvE0_clEvEUlN3c107complexIfEEE_j15function_traitsIS9_EEENT1_11result_typeERKT_PrKPcPKT0_i.num_named_barrier, 0
	.set .L_ZN2at6native6invokeIZZZNS0_16asin_kernel_cudaERNS_18TensorIteratorBaseEENKUlvE_clEvENKUlvE0_clEvEUlN3c107complexIfEEE_j15function_traitsIS9_EEENT1_11result_typeERKT_PrKPcPKT0_i.private_seg_size, 12
	.set .L_ZN2at6native6invokeIZZZNS0_16asin_kernel_cudaERNS_18TensorIteratorBaseEENKUlvE_clEvENKUlvE0_clEvEUlN3c107complexIfEEE_j15function_traitsIS9_EEENT1_11result_typeERKT_PrKPcPKT0_i.uses_vcc, 1
	.set .L_ZN2at6native6invokeIZZZNS0_16asin_kernel_cudaERNS_18TensorIteratorBaseEENKUlvE_clEvENKUlvE0_clEvEUlN3c107complexIfEEE_j15function_traitsIS9_EEENT1_11result_typeERKT_PrKPcPKT0_i.uses_flat_scratch, 0
	.set .L_ZN2at6native6invokeIZZZNS0_16asin_kernel_cudaERNS_18TensorIteratorBaseEENKUlvE_clEvENKUlvE0_clEvEUlN3c107complexIfEEE_j15function_traitsIS9_EEENT1_11result_typeERKT_PrKPcPKT0_i.has_dyn_sized_stack, 0
	.set .L_ZN2at6native6invokeIZZZNS0_16asin_kernel_cudaERNS_18TensorIteratorBaseEENKUlvE_clEvENKUlvE0_clEvEUlN3c107complexIfEEE_j15function_traitsIS9_EEENT1_11result_typeERKT_PrKPcPKT0_i.has_recursion, 0
	.set .L_ZN2at6native6invokeIZZZNS0_16asin_kernel_cudaERNS_18TensorIteratorBaseEENKUlvE_clEvENKUlvE0_clEvEUlN3c107complexIfEEE_j15function_traitsIS9_EEENT1_11result_typeERKT_PrKPcPKT0_i.has_indirect_call, 0
	.section	.AMDGPU.csdata,"",@progbits
; Function info:
; codeLenInByte = 7316
; TotalNumSgprs: 37
; NumVgprs: 20
; ScratchSize: 12
; MemoryBound: 0
	.section	.text._ZN2at6native32elementwise_kernel_manual_unrollILi128ELi4EZNS0_22gpu_kernel_impl_nocastIZZZNS0_16asin_kernel_cudaERNS_18TensorIteratorBaseEENKUlvE_clEvENKUlvE0_clEvEUlN3c107complexIfEEE_EEvS4_RKT_EUlibE_EEviT1_,"axG",@progbits,_ZN2at6native32elementwise_kernel_manual_unrollILi128ELi4EZNS0_22gpu_kernel_impl_nocastIZZZNS0_16asin_kernel_cudaERNS_18TensorIteratorBaseEENKUlvE_clEvENKUlvE0_clEvEUlN3c107complexIfEEE_EEvS4_RKT_EUlibE_EEviT1_,comdat
	.globl	_ZN2at6native32elementwise_kernel_manual_unrollILi128ELi4EZNS0_22gpu_kernel_impl_nocastIZZZNS0_16asin_kernel_cudaERNS_18TensorIteratorBaseEENKUlvE_clEvENKUlvE0_clEvEUlN3c107complexIfEEE_EEvS4_RKT_EUlibE_EEviT1_ ; -- Begin function _ZN2at6native32elementwise_kernel_manual_unrollILi128ELi4EZNS0_22gpu_kernel_impl_nocastIZZZNS0_16asin_kernel_cudaERNS_18TensorIteratorBaseEENKUlvE_clEvENKUlvE0_clEvEUlN3c107complexIfEEE_EEvS4_RKT_EUlibE_EEviT1_
	.p2align	8
	.type	_ZN2at6native32elementwise_kernel_manual_unrollILi128ELi4EZNS0_22gpu_kernel_impl_nocastIZZZNS0_16asin_kernel_cudaERNS_18TensorIteratorBaseEENKUlvE_clEvENKUlvE0_clEvEUlN3c107complexIfEEE_EEvS4_RKT_EUlibE_EEviT1_,@function
_ZN2at6native32elementwise_kernel_manual_unrollILi128ELi4EZNS0_22gpu_kernel_impl_nocastIZZZNS0_16asin_kernel_cudaERNS_18TensorIteratorBaseEENKUlvE_clEvENKUlvE0_clEvEUlN3c107complexIfEEE_EEvS4_RKT_EUlibE_EEviT1_: ; @_ZN2at6native32elementwise_kernel_manual_unrollILi128ELi4EZNS0_22gpu_kernel_impl_nocastIZZZNS0_16asin_kernel_cudaERNS_18TensorIteratorBaseEENKUlvE_clEvENKUlvE0_clEvEUlN3c107complexIfEEE_EEvS4_RKT_EUlibE_EEviT1_
; %bb.0:
	s_add_u32 flat_scratch_lo, s6, s9
	s_load_dword s59, s[4:5], 0x0
	s_load_dword s33, s[4:5], 0x8
	s_addc_u32 flat_scratch_hi, s7, 0
	s_add_u32 s0, s0, s9
	s_addc_u32 s1, s1, 0
	s_add_u32 s28, s4, 8
	s_addc_u32 s29, s5, 0
	v_lshl_or_b32 v22, s8, 9, v0
	s_waitcnt lgkmcnt(0)
	s_add_i32 s58, s33, -1
	v_or_b32_e32 v0, 0x180, v22
	s_cmp_gt_u32 s58, 1
	v_cmp_le_i32_e32 vcc, s59, v0
	s_cselect_b64 s[26:27], -1, 0
	s_mov_b64 s[40:41], 0
	s_mov_b32 s32, 0
                                        ; implicit-def: $vgpr31_vgpr32
                                        ; implicit-def: $vgpr1
	s_and_saveexec_b64 s[4:5], vcc
	s_xor_b64 s[34:35], exec, s[4:5]
	s_cbranch_execnz .LBB16_4
; %bb.1:
	s_andn2_saveexec_b64 s[34:35], s[34:35]
	s_cbranch_execnz .LBB16_69
.LBB16_2:
	s_or_b64 exec, exec, s[34:35]
	s_and_saveexec_b64 s[4:5], s[40:41]
	s_cbranch_execnz .LBB16_126
.LBB16_3:
	s_endpgm
.LBB16_4:
	s_load_dwordx4 s[44:47], s[28:29], 0x4
	s_load_dwordx2 s[48:49], s[28:29], 0x14
	s_load_dwordx4 s[40:43], s[28:29], 0xc4
	s_load_dwordx4 s[36:39], s[28:29], 0x148
	s_cmp_lg_u32 s33, 0
	s_cselect_b64 s[54:55], -1, 0
	s_add_u32 s52, s28, 0xc4
	s_addc_u32 s53, s29, 0
	s_min_u32 s60, s58, 15
	s_cmp_gt_u32 s33, 1
	s_cselect_b64 s[50:51], -1, 0
	v_cmp_gt_i32_e32 vcc, s59, v22
	s_and_saveexec_b64 s[56:57], vcc
	s_cbranch_execnz .LBB16_7
; %bb.5:
	s_or_b64 exec, exec, s[56:57]
	v_cmp_gt_i32_e32 vcc, s59, v22
	s_and_saveexec_b64 s[56:57], vcc
	s_cbranch_execnz .LBB16_22
.LBB16_6:
	s_or_b64 exec, exec, s[56:57]
	v_cmp_gt_i32_e32 vcc, s59, v22
	s_and_saveexec_b64 s[56:57], vcc
	s_cbranch_execnz .LBB16_37
	s_branch .LBB16_52
.LBB16_7:
	s_andn2_b64 vcc, exec, s[26:27]
	s_cbranch_vccnz .LBB16_12
; %bb.8:
	s_andn2_b64 vcc, exec, s[54:55]
	s_cbranch_vccnz .LBB16_13
; %bb.9:
	s_add_i32 s62, s60, 1
	s_cmp_eq_u32 s58, 2
	s_cbranch_scc1 .LBB16_14
; %bb.10:
	s_and_b32 s61, s62, 28
	v_mov_b32_e32 v2, 0
	s_mov_b32 s63, 0
	s_mov_b64 s[24:25], s[28:29]
	s_mov_b64 s[30:31], s[52:53]
	v_mov_b32_e32 v20, 0
	v_mov_b32_e32 v0, v22
.LBB16_11:                              ; =>This Inner Loop Header: Depth=1
	s_load_dwordx8 s[12:19], s[24:25], 0x4
	s_load_dwordx4 s[20:23], s[24:25], 0x24
	s_load_dwordx8 s[4:11], s[30:31], 0x0
	s_add_u32 s24, s24, 48
	s_addc_u32 s25, s25, 0
	s_waitcnt lgkmcnt(0)
	v_mul_hi_u32 v1, s13, v0
	s_add_i32 s63, s63, 4
	s_add_u32 s30, s30, 32
	s_addc_u32 s31, s31, 0
	v_add_u32_e32 v1, v0, v1
	v_lshrrev_b32_e32 v1, s14, v1
	v_mul_lo_u32 v3, v1, s12
	v_mul_hi_u32 v4, s16, v1
	s_cmp_lg_u32 s61, s63
	v_sub_u32_e32 v0, v0, v3
	v_add_u32_e32 v3, v1, v4
	v_mul_lo_u32 v4, v0, s4
	v_mul_lo_u32 v5, v0, s5
	v_lshrrev_b32_e32 v0, s17, v3
	v_mul_lo_u32 v3, v0, s15
	v_mul_hi_u32 v6, s19, v0
	v_sub_u32_e32 v1, v1, v3
	v_add_u32_e32 v3, v0, v6
	v_lshrrev_b32_e32 v3, s20, v3
	v_mul_hi_u32 v7, s22, v3
	v_mul_lo_u32 v8, v3, s18
	v_mul_lo_u32 v6, v1, s6
	;; [unrolled: 1-line block ×3, first 2 shown]
	v_sub_u32_e32 v8, v0, v8
	v_add_u32_e32 v0, v3, v7
	v_lshrrev_b32_e32 v0, s23, v0
	v_mul_lo_u32 v7, v0, s21
	v_mul_lo_u32 v9, v8, s8
	;; [unrolled: 1-line block ×3, first 2 shown]
	v_add3_u32 v4, v4, v20, v6
	v_sub_u32_e32 v3, v3, v7
	v_mul_lo_u32 v7, v3, s10
	v_mul_lo_u32 v3, v3, s11
	v_add3_u32 v1, v5, v2, v1
	v_add3_u32 v20, v9, v4, v7
	;; [unrolled: 1-line block ×3, first 2 shown]
	s_cbranch_scc1 .LBB16_11
	s_branch .LBB16_15
.LBB16_12:
                                        ; implicit-def: $vgpr20
                                        ; implicit-def: $vgpr2
	s_branch .LBB16_19
.LBB16_13:
	v_mov_b32_e32 v20, 0
	v_mov_b32_e32 v2, 0
	s_branch .LBB16_18
.LBB16_14:
	s_mov_b32 s61, 0
	v_mov_b32_e32 v20, 0
	v_mov_b32_e32 v2, 0
	v_mov_b32_e32 v0, v22
.LBB16_15:
	s_and_b32 s8, s62, 3
	s_cmp_eq_u32 s8, 0
	s_cbranch_scc1 .LBB16_18
; %bb.16:
	s_lshl_b32 s4, s61, 3
	s_add_u32 s4, s28, s4
	s_addc_u32 s5, s29, 0
	s_add_u32 s4, s4, 0xc4
	s_addc_u32 s5, s5, 0
	s_mul_i32 s6, s61, 12
	s_add_u32 s6, s28, s6
	s_addc_u32 s7, s29, 0
.LBB16_17:                              ; =>This Inner Loop Header: Depth=1
	s_load_dwordx2 s[10:11], s[6:7], 0x4
	s_load_dword s9, s[6:7], 0xc
	s_load_dwordx2 s[12:13], s[4:5], 0x0
	s_add_u32 s6, s6, 12
	s_addc_u32 s7, s7, 0
	s_waitcnt lgkmcnt(0)
	v_mul_hi_u32 v1, s11, v0
	s_add_u32 s4, s4, 8
	s_addc_u32 s5, s5, 0
	s_add_i32 s8, s8, -1
	v_add_u32_e32 v1, v0, v1
	v_lshrrev_b32_e32 v1, s9, v1
	v_mul_lo_u32 v3, v1, s10
	s_cmp_lg_u32 s8, 0
	v_sub_u32_e32 v0, v0, v3
	v_mad_u64_u32 v[20:21], s[10:11], v0, s12, v[20:21]
	v_mad_u64_u32 v[2:3], s[10:11], v0, s13, v[2:3]
	v_mov_b32_e32 v0, v1
	s_cbranch_scc1 .LBB16_17
.LBB16_18:
	s_cbranch_execnz .LBB16_21
.LBB16_19:
	s_waitcnt lgkmcnt(0)
	v_mul_hi_u32 v0, s45, v22
	s_andn2_b64 vcc, exec, s[50:51]
	v_add_u32_e32 v0, v22, v0
	v_lshrrev_b32_e32 v0, s46, v0
	v_mul_lo_u32 v1, v0, s44
	v_sub_u32_e32 v1, v22, v1
	v_mul_lo_u32 v20, v1, s40
	v_mul_lo_u32 v2, v1, s41
	s_cbranch_vccnz .LBB16_21
; %bb.20:
	v_mul_hi_u32 v1, s48, v0
	v_add_u32_e32 v1, v0, v1
	v_lshrrev_b32_e32 v1, s49, v1
	v_mul_lo_u32 v1, v1, s47
	v_sub_u32_e32 v0, v0, v1
	v_mad_u64_u32 v[20:21], s[4:5], v0, s42, v[20:21]
	v_mad_u64_u32 v[2:3], s[4:5], v0, s43, v[2:3]
.LBB16_21:
	s_getpc_b64 s[4:5]
	s_add_u32 s4, s4, _ZN2at6native6invokeIZZZNS0_16asin_kernel_cudaERNS_18TensorIteratorBaseEENKUlvE_clEvENKUlvE0_clEvEUlN3c107complexIfEEE_j15function_traitsIS9_EEENT1_11result_typeERKT_PrKPcPKT0_i@rel32@lo+4
	s_addc_u32 s5, s5, _ZN2at6native6invokeIZZZNS0_16asin_kernel_cudaERNS_18TensorIteratorBaseEENKUlvE_clEvENKUlvE0_clEvEUlN3c107complexIfEEE_j15function_traitsIS9_EEENT1_11result_typeERKT_PrKPcPKT0_i@rel32@hi+12
	s_waitcnt lgkmcnt(0)
	v_mov_b32_e32 v0, s38
	v_mov_b32_e32 v1, s39
	s_swappc_b64 s[30:31], s[4:5]
	v_add_u32_e32 v22, 0x80, v22
	global_store_dwordx2 v20, v[0:1], s[36:37]
	s_or_b64 exec, exec, s[56:57]
	v_cmp_gt_i32_e32 vcc, s59, v22
	s_and_saveexec_b64 s[56:57], vcc
	s_cbranch_execz .LBB16_6
.LBB16_22:
	s_andn2_b64 vcc, exec, s[26:27]
	s_cbranch_vccnz .LBB16_27
; %bb.23:
	s_andn2_b64 vcc, exec, s[54:55]
	s_cbranch_vccnz .LBB16_28
; %bb.24:
	s_add_i32 s62, s60, 1
	s_cmp_eq_u32 s58, 2
	s_cbranch_scc1 .LBB16_29
; %bb.25:
	s_and_b32 s61, s62, 28
	v_mov_b32_e32 v2, 0
	s_mov_b32 s63, 0
	s_mov_b64 s[24:25], s[28:29]
	s_mov_b64 s[30:31], s[52:53]
	v_mov_b32_e32 v20, 0
	v_mov_b32_e32 v0, v22
.LBB16_26:                              ; =>This Inner Loop Header: Depth=1
	s_load_dwordx8 s[12:19], s[24:25], 0x4
	s_load_dwordx4 s[20:23], s[24:25], 0x24
	s_load_dwordx8 s[4:11], s[30:31], 0x0
	s_add_u32 s24, s24, 48
	s_addc_u32 s25, s25, 0
	s_waitcnt lgkmcnt(0)
	v_mul_hi_u32 v1, s13, v0
	s_add_i32 s63, s63, 4
	s_add_u32 s30, s30, 32
	s_addc_u32 s31, s31, 0
	v_add_u32_e32 v1, v0, v1
	v_lshrrev_b32_e32 v1, s14, v1
	v_mul_lo_u32 v3, v1, s12
	v_mul_hi_u32 v4, s16, v1
	s_cmp_eq_u32 s61, s63
	v_sub_u32_e32 v0, v0, v3
	v_add_u32_e32 v3, v1, v4
	v_mul_lo_u32 v4, v0, s4
	v_mul_lo_u32 v5, v0, s5
	v_lshrrev_b32_e32 v0, s17, v3
	v_mul_lo_u32 v3, v0, s15
	v_mul_hi_u32 v6, s19, v0
	v_sub_u32_e32 v1, v1, v3
	v_add_u32_e32 v3, v0, v6
	v_lshrrev_b32_e32 v3, s20, v3
	v_mul_hi_u32 v7, s22, v3
	v_mul_lo_u32 v8, v3, s18
	v_mul_lo_u32 v6, v1, s6
	;; [unrolled: 1-line block ×3, first 2 shown]
	v_sub_u32_e32 v8, v0, v8
	v_add_u32_e32 v0, v3, v7
	v_lshrrev_b32_e32 v0, s23, v0
	v_mul_lo_u32 v7, v0, s21
	v_mul_lo_u32 v9, v8, s8
	v_mul_lo_u32 v8, v8, s9
	v_add3_u32 v4, v4, v20, v6
	v_sub_u32_e32 v3, v3, v7
	v_mul_lo_u32 v7, v3, s10
	v_mul_lo_u32 v3, v3, s11
	v_add3_u32 v1, v5, v2, v1
	v_add3_u32 v20, v9, v4, v7
	;; [unrolled: 1-line block ×3, first 2 shown]
	s_cbranch_scc0 .LBB16_26
	s_branch .LBB16_30
.LBB16_27:
                                        ; implicit-def: $vgpr20
                                        ; implicit-def: $vgpr2
	s_branch .LBB16_34
.LBB16_28:
	v_mov_b32_e32 v20, 0
	v_mov_b32_e32 v2, 0
	s_branch .LBB16_33
.LBB16_29:
	s_mov_b32 s61, 0
	v_mov_b32_e32 v20, 0
	v_mov_b32_e32 v2, 0
	;; [unrolled: 1-line block ×3, first 2 shown]
.LBB16_30:
	s_and_b32 s8, s62, 3
	s_cmp_eq_u32 s8, 0
	s_cbranch_scc1 .LBB16_33
; %bb.31:
	s_lshl_b32 s4, s61, 3
	s_add_u32 s4, s28, s4
	s_addc_u32 s5, s29, 0
	s_add_u32 s4, s4, 0xc4
	s_addc_u32 s5, s5, 0
	s_mul_i32 s6, s61, 12
	s_add_u32 s6, s28, s6
	s_addc_u32 s7, s29, 0
.LBB16_32:                              ; =>This Inner Loop Header: Depth=1
	s_load_dwordx2 s[10:11], s[6:7], 0x4
	s_load_dword s9, s[6:7], 0xc
	s_load_dwordx2 s[12:13], s[4:5], 0x0
	s_add_u32 s6, s6, 12
	s_addc_u32 s7, s7, 0
	s_waitcnt lgkmcnt(0)
	v_mul_hi_u32 v1, s11, v0
	s_add_u32 s4, s4, 8
	s_addc_u32 s5, s5, 0
	s_add_i32 s8, s8, -1
	v_add_u32_e32 v1, v0, v1
	v_lshrrev_b32_e32 v1, s9, v1
	v_mul_lo_u32 v3, v1, s10
	s_cmp_lg_u32 s8, 0
	v_sub_u32_e32 v0, v0, v3
	v_mad_u64_u32 v[20:21], s[10:11], v0, s12, v[20:21]
	v_mad_u64_u32 v[2:3], s[10:11], v0, s13, v[2:3]
	v_mov_b32_e32 v0, v1
	s_cbranch_scc1 .LBB16_32
.LBB16_33:
	s_cbranch_execnz .LBB16_36
.LBB16_34:
	s_waitcnt lgkmcnt(0)
	v_mul_hi_u32 v0, s45, v22
	s_andn2_b64 vcc, exec, s[50:51]
	v_add_u32_e32 v0, v22, v0
	v_lshrrev_b32_e32 v0, s46, v0
	v_mul_lo_u32 v1, v0, s44
	v_sub_u32_e32 v1, v22, v1
	v_mul_lo_u32 v20, v1, s40
	v_mul_lo_u32 v2, v1, s41
	s_cbranch_vccnz .LBB16_36
; %bb.35:
	v_mul_hi_u32 v1, s48, v0
	v_add_u32_e32 v1, v0, v1
	v_lshrrev_b32_e32 v1, s49, v1
	v_mul_lo_u32 v1, v1, s47
	v_sub_u32_e32 v0, v0, v1
	v_mad_u64_u32 v[20:21], s[4:5], v0, s42, v[20:21]
	v_mad_u64_u32 v[2:3], s[4:5], v0, s43, v[2:3]
.LBB16_36:
	s_getpc_b64 s[4:5]
	s_add_u32 s4, s4, _ZN2at6native6invokeIZZZNS0_16asin_kernel_cudaERNS_18TensorIteratorBaseEENKUlvE_clEvENKUlvE0_clEvEUlN3c107complexIfEEE_j15function_traitsIS9_EEENT1_11result_typeERKT_PrKPcPKT0_i@rel32@lo+4
	s_addc_u32 s5, s5, _ZN2at6native6invokeIZZZNS0_16asin_kernel_cudaERNS_18TensorIteratorBaseEENKUlvE_clEvENKUlvE0_clEvEUlN3c107complexIfEEE_j15function_traitsIS9_EEENT1_11result_typeERKT_PrKPcPKT0_i@rel32@hi+12
	s_waitcnt lgkmcnt(0)
	v_mov_b32_e32 v0, s38
	v_mov_b32_e32 v1, s39
	s_swappc_b64 s[30:31], s[4:5]
	v_add_u32_e32 v22, 0x80, v22
	global_store_dwordx2 v20, v[0:1], s[36:37]
	s_or_b64 exec, exec, s[56:57]
	v_cmp_gt_i32_e32 vcc, s59, v22
	s_and_saveexec_b64 s[56:57], vcc
	s_cbranch_execz .LBB16_52
.LBB16_37:
	s_andn2_b64 vcc, exec, s[26:27]
	s_cbranch_vccnz .LBB16_42
; %bb.38:
	s_andn2_b64 vcc, exec, s[54:55]
	s_cbranch_vccnz .LBB16_43
; %bb.39:
	s_add_i32 s62, s60, 1
	s_cmp_eq_u32 s58, 2
	s_cbranch_scc1 .LBB16_44
; %bb.40:
	s_and_b32 s61, s62, 28
	v_mov_b32_e32 v2, 0
	s_mov_b32 s63, 0
	s_mov_b64 s[24:25], s[28:29]
	s_mov_b64 s[30:31], s[52:53]
	v_mov_b32_e32 v20, 0
	v_mov_b32_e32 v0, v22
.LBB16_41:                              ; =>This Inner Loop Header: Depth=1
	s_load_dwordx8 s[12:19], s[24:25], 0x4
	s_load_dwordx4 s[20:23], s[24:25], 0x24
	s_load_dwordx8 s[4:11], s[30:31], 0x0
	s_add_u32 s24, s24, 48
	s_addc_u32 s25, s25, 0
	s_waitcnt lgkmcnt(0)
	v_mul_hi_u32 v1, s13, v0
	s_add_i32 s63, s63, 4
	s_add_u32 s30, s30, 32
	s_addc_u32 s31, s31, 0
	v_add_u32_e32 v1, v0, v1
	v_lshrrev_b32_e32 v1, s14, v1
	v_mul_lo_u32 v3, v1, s12
	v_mul_hi_u32 v4, s16, v1
	s_cmp_eq_u32 s61, s63
	v_sub_u32_e32 v0, v0, v3
	v_add_u32_e32 v3, v1, v4
	v_mul_lo_u32 v4, v0, s4
	v_mul_lo_u32 v5, v0, s5
	v_lshrrev_b32_e32 v0, s17, v3
	v_mul_lo_u32 v3, v0, s15
	v_mul_hi_u32 v6, s19, v0
	v_sub_u32_e32 v1, v1, v3
	v_add_u32_e32 v3, v0, v6
	v_lshrrev_b32_e32 v3, s20, v3
	v_mul_hi_u32 v7, s22, v3
	v_mul_lo_u32 v8, v3, s18
	v_mul_lo_u32 v6, v1, s6
	;; [unrolled: 1-line block ×3, first 2 shown]
	v_sub_u32_e32 v8, v0, v8
	v_add_u32_e32 v0, v3, v7
	v_lshrrev_b32_e32 v0, s23, v0
	v_mul_lo_u32 v7, v0, s21
	v_mul_lo_u32 v9, v8, s8
	;; [unrolled: 1-line block ×3, first 2 shown]
	v_add3_u32 v4, v4, v20, v6
	v_sub_u32_e32 v3, v3, v7
	v_mul_lo_u32 v7, v3, s10
	v_mul_lo_u32 v3, v3, s11
	v_add3_u32 v1, v5, v2, v1
	v_add3_u32 v20, v9, v4, v7
	;; [unrolled: 1-line block ×3, first 2 shown]
	s_cbranch_scc0 .LBB16_41
	s_branch .LBB16_45
.LBB16_42:
                                        ; implicit-def: $vgpr20
                                        ; implicit-def: $vgpr2
	s_branch .LBB16_49
.LBB16_43:
	v_mov_b32_e32 v20, 0
	v_mov_b32_e32 v2, 0
	s_branch .LBB16_48
.LBB16_44:
	s_mov_b32 s61, 0
	v_mov_b32_e32 v20, 0
	v_mov_b32_e32 v2, 0
	;; [unrolled: 1-line block ×3, first 2 shown]
.LBB16_45:
	s_and_b32 s8, s62, 3
	s_cmp_eq_u32 s8, 0
	s_cbranch_scc1 .LBB16_48
; %bb.46:
	s_lshl_b32 s4, s61, 3
	s_add_u32 s4, s28, s4
	s_addc_u32 s5, s29, 0
	s_add_u32 s4, s4, 0xc4
	s_addc_u32 s5, s5, 0
	s_mul_i32 s6, s61, 12
	s_add_u32 s6, s28, s6
	s_addc_u32 s7, s29, 0
.LBB16_47:                              ; =>This Inner Loop Header: Depth=1
	s_load_dwordx2 s[10:11], s[6:7], 0x4
	s_load_dword s9, s[6:7], 0xc
	s_load_dwordx2 s[12:13], s[4:5], 0x0
	s_add_u32 s6, s6, 12
	s_addc_u32 s7, s7, 0
	s_waitcnt lgkmcnt(0)
	v_mul_hi_u32 v1, s11, v0
	s_add_u32 s4, s4, 8
	s_addc_u32 s5, s5, 0
	s_add_i32 s8, s8, -1
	v_add_u32_e32 v1, v0, v1
	v_lshrrev_b32_e32 v1, s9, v1
	v_mul_lo_u32 v3, v1, s10
	s_cmp_lg_u32 s8, 0
	v_sub_u32_e32 v0, v0, v3
	v_mad_u64_u32 v[20:21], s[10:11], v0, s12, v[20:21]
	v_mad_u64_u32 v[2:3], s[10:11], v0, s13, v[2:3]
	v_mov_b32_e32 v0, v1
	s_cbranch_scc1 .LBB16_47
.LBB16_48:
	s_cbranch_execnz .LBB16_51
.LBB16_49:
	s_waitcnt lgkmcnt(0)
	v_mul_hi_u32 v0, s45, v22
	s_andn2_b64 vcc, exec, s[50:51]
	v_add_u32_e32 v0, v22, v0
	v_lshrrev_b32_e32 v0, s46, v0
	v_mul_lo_u32 v1, v0, s44
	v_sub_u32_e32 v1, v22, v1
	v_mul_lo_u32 v20, v1, s40
	v_mul_lo_u32 v2, v1, s41
	s_cbranch_vccnz .LBB16_51
; %bb.50:
	v_mul_hi_u32 v1, s48, v0
	v_add_u32_e32 v1, v0, v1
	v_lshrrev_b32_e32 v1, s49, v1
	v_mul_lo_u32 v1, v1, s47
	v_sub_u32_e32 v0, v0, v1
	v_mad_u64_u32 v[20:21], s[4:5], v0, s42, v[20:21]
	v_mad_u64_u32 v[2:3], s[4:5], v0, s43, v[2:3]
.LBB16_51:
	s_getpc_b64 s[4:5]
	s_add_u32 s4, s4, _ZN2at6native6invokeIZZZNS0_16asin_kernel_cudaERNS_18TensorIteratorBaseEENKUlvE_clEvENKUlvE0_clEvEUlN3c107complexIfEEE_j15function_traitsIS9_EEENT1_11result_typeERKT_PrKPcPKT0_i@rel32@lo+4
	s_addc_u32 s5, s5, _ZN2at6native6invokeIZZZNS0_16asin_kernel_cudaERNS_18TensorIteratorBaseEENKUlvE_clEvENKUlvE0_clEvEUlN3c107complexIfEEE_j15function_traitsIS9_EEENT1_11result_typeERKT_PrKPcPKT0_i@rel32@hi+12
	s_waitcnt lgkmcnt(0)
	v_mov_b32_e32 v0, s38
	v_mov_b32_e32 v1, s39
	s_swappc_b64 s[30:31], s[4:5]
	v_add_u32_e32 v22, 0x80, v22
	global_store_dwordx2 v20, v[0:1], s[36:37]
.LBB16_52:
	s_or_b64 exec, exec, s[56:57]
	v_cmp_gt_i32_e32 vcc, s59, v22
	s_mov_b64 s[4:5], 0
                                        ; implicit-def: $vgpr31_vgpr32
                                        ; implicit-def: $vgpr1
	s_and_saveexec_b64 s[56:57], vcc
	s_cbranch_execz .LBB16_68
; %bb.53:
	s_andn2_b64 vcc, exec, s[26:27]
	s_cbranch_vccnz .LBB16_58
; %bb.54:
	s_andn2_b64 vcc, exec, s[54:55]
	s_cbranch_vccnz .LBB16_59
; %bb.55:
	s_add_i32 s60, s60, 1
	s_cmp_eq_u32 s58, 2
	s_cbranch_scc1 .LBB16_60
; %bb.56:
	s_and_b32 s30, s60, 28
	v_mov_b32_e32 v2, 0
	s_mov_b32 s31, 0
	s_mov_b64 s[24:25], s[28:29]
	v_mov_b32_e32 v20, 0
	v_mov_b32_e32 v0, v22
.LBB16_57:                              ; =>This Inner Loop Header: Depth=1
	s_load_dwordx8 s[12:19], s[24:25], 0x4
	s_load_dwordx4 s[20:23], s[24:25], 0x24
	s_load_dwordx8 s[4:11], s[52:53], 0x0
	s_add_u32 s24, s24, 48
	s_addc_u32 s25, s25, 0
	s_waitcnt lgkmcnt(0)
	v_mul_hi_u32 v1, s13, v0
	s_add_i32 s31, s31, 4
	s_add_u32 s52, s52, 32
	s_addc_u32 s53, s53, 0
	v_add_u32_e32 v1, v0, v1
	v_lshrrev_b32_e32 v1, s14, v1
	v_mul_lo_u32 v3, v1, s12
	v_mul_hi_u32 v4, s16, v1
	s_cmp_eq_u32 s30, s31
	v_sub_u32_e32 v0, v0, v3
	v_add_u32_e32 v3, v1, v4
	v_mul_lo_u32 v4, v0, s4
	v_mul_lo_u32 v5, v0, s5
	v_lshrrev_b32_e32 v0, s17, v3
	v_mul_lo_u32 v3, v0, s15
	v_mul_hi_u32 v6, s19, v0
	v_sub_u32_e32 v1, v1, v3
	v_add_u32_e32 v3, v0, v6
	v_lshrrev_b32_e32 v3, s20, v3
	v_mul_hi_u32 v7, s22, v3
	v_mul_lo_u32 v8, v3, s18
	v_mul_lo_u32 v6, v1, s6
	;; [unrolled: 1-line block ×3, first 2 shown]
	v_sub_u32_e32 v8, v0, v8
	v_add_u32_e32 v0, v3, v7
	v_lshrrev_b32_e32 v0, s23, v0
	v_mul_lo_u32 v7, v0, s21
	v_mul_lo_u32 v9, v8, s8
	;; [unrolled: 1-line block ×3, first 2 shown]
	v_add3_u32 v4, v4, v20, v6
	v_sub_u32_e32 v3, v3, v7
	v_mul_lo_u32 v7, v3, s10
	v_mul_lo_u32 v3, v3, s11
	v_add3_u32 v1, v5, v2, v1
	v_add3_u32 v20, v9, v4, v7
	;; [unrolled: 1-line block ×3, first 2 shown]
	s_cbranch_scc0 .LBB16_57
	s_branch .LBB16_61
.LBB16_58:
                                        ; implicit-def: $vgpr20
                                        ; implicit-def: $vgpr2
	s_branch .LBB16_65
.LBB16_59:
	v_mov_b32_e32 v20, 0
	v_mov_b32_e32 v2, 0
	s_branch .LBB16_64
.LBB16_60:
	s_mov_b32 s30, 0
	v_mov_b32_e32 v20, 0
	v_mov_b32_e32 v2, 0
	;; [unrolled: 1-line block ×3, first 2 shown]
.LBB16_61:
	s_and_b32 s8, s60, 3
	s_cmp_eq_u32 s8, 0
	s_cbranch_scc1 .LBB16_64
; %bb.62:
	s_lshl_b32 s4, s30, 3
	s_add_u32 s4, s28, s4
	s_addc_u32 s5, s29, 0
	s_add_u32 s4, s4, 0xc4
	s_addc_u32 s5, s5, 0
	s_mul_i32 s6, s30, 12
	s_add_u32 s6, s28, s6
	s_addc_u32 s7, s29, 0
.LBB16_63:                              ; =>This Inner Loop Header: Depth=1
	s_load_dwordx2 s[10:11], s[6:7], 0x4
	s_load_dword s9, s[6:7], 0xc
	s_load_dwordx2 s[12:13], s[4:5], 0x0
	s_add_u32 s6, s6, 12
	s_addc_u32 s7, s7, 0
	s_waitcnt lgkmcnt(0)
	v_mul_hi_u32 v1, s11, v0
	s_add_u32 s4, s4, 8
	s_addc_u32 s5, s5, 0
	s_add_i32 s8, s8, -1
	v_add_u32_e32 v1, v0, v1
	v_lshrrev_b32_e32 v1, s9, v1
	v_mul_lo_u32 v3, v1, s10
	s_cmp_lg_u32 s8, 0
	v_sub_u32_e32 v0, v0, v3
	v_mad_u64_u32 v[20:21], s[10:11], v0, s12, v[20:21]
	v_mad_u64_u32 v[2:3], s[10:11], v0, s13, v[2:3]
	v_mov_b32_e32 v0, v1
	s_cbranch_scc1 .LBB16_63
.LBB16_64:
	s_cbranch_execnz .LBB16_67
.LBB16_65:
	s_waitcnt lgkmcnt(0)
	v_mul_hi_u32 v0, s45, v22
	s_andn2_b64 vcc, exec, s[50:51]
	v_add_u32_e32 v0, v22, v0
	v_lshrrev_b32_e32 v0, s46, v0
	v_mul_lo_u32 v1, v0, s44
	v_sub_u32_e32 v1, v22, v1
	v_mul_lo_u32 v20, v1, s40
	v_mul_lo_u32 v2, v1, s41
	s_cbranch_vccnz .LBB16_67
; %bb.66:
	v_mul_hi_u32 v1, s48, v0
	v_add_u32_e32 v1, v0, v1
	v_lshrrev_b32_e32 v1, s49, v1
	v_mul_lo_u32 v1, v1, s47
	v_sub_u32_e32 v0, v0, v1
	v_mad_u64_u32 v[20:21], s[4:5], v0, s42, v[20:21]
	v_mad_u64_u32 v[2:3], s[4:5], v0, s43, v[2:3]
.LBB16_67:
	s_waitcnt lgkmcnt(0)
	v_mov_b32_e32 v0, s37
	v_add_co_u32_e32 v31, vcc, s36, v20
	v_addc_co_u32_e32 v32, vcc, 0, v0, vcc
	s_getpc_b64 s[4:5]
	s_add_u32 s4, s4, _ZN2at6native6invokeIZZZNS0_16asin_kernel_cudaERNS_18TensorIteratorBaseEENKUlvE_clEvENKUlvE0_clEvEUlN3c107complexIfEEE_j15function_traitsIS9_EEENT1_11result_typeERKT_PrKPcPKT0_i@rel32@lo+4
	s_addc_u32 s5, s5, _ZN2at6native6invokeIZZZNS0_16asin_kernel_cudaERNS_18TensorIteratorBaseEENKUlvE_clEvENKUlvE0_clEvEUlN3c107complexIfEEE_j15function_traitsIS9_EEENT1_11result_typeERKT_PrKPcPKT0_i@rel32@hi+12
	v_mov_b32_e32 v0, s38
	v_mov_b32_e32 v1, s39
	s_swappc_b64 s[30:31], s[4:5]
	s_mov_b64 s[4:5], exec
	global_store_dword v20, v0, s[36:37]
.LBB16_68:
	s_or_b64 exec, exec, s[56:57]
	s_waitcnt lgkmcnt(0)
	s_and_b64 s[40:41], s[4:5], exec
                                        ; implicit-def: $vgpr0
                                        ; implicit-def: $vgpr22
	s_andn2_saveexec_b64 s[34:35], s[34:35]
	s_cbranch_execz .LBB16_2
.LBB16_69:
	v_cndmask_b32_e64 v1, 0, 1, s[26:27]
	v_cmp_ne_u32_e64 s[4:5], 1, v1
	s_andn2_b64 vcc, exec, s[26:27]
	s_cbranch_vccnz .LBB16_75
; %bb.70:
	s_cmp_lg_u32 s33, 0
	s_mov_b32 s36, 0
	s_cbranch_scc0 .LBB16_76
; %bb.71:
	s_min_u32 s37, s58, 15
	s_add_i32 s37, s37, 1
	s_cmp_eq_u32 s58, 2
	s_cbranch_scc1 .LBB16_77
; %bb.72:
	s_and_b32 s36, s37, 28
	s_add_u32 s6, s28, 0xc4
	s_addc_u32 s7, s29, 0
	v_mov_b32_e32 v2, 0
	s_mov_b32 s38, 0
	s_mov_b64 s[30:31], s[28:29]
	v_mov_b32_e32 v27, 0
	v_mov_b32_e32 v1, v22
.LBB16_73:                              ; =>This Inner Loop Header: Depth=1
	s_load_dwordx8 s[16:23], s[30:31], 0x4
	s_load_dwordx4 s[24:27], s[30:31], 0x24
	s_load_dwordx8 s[8:15], s[6:7], 0x0
	s_add_u32 s30, s30, 48
	s_addc_u32 s31, s31, 0
	s_waitcnt lgkmcnt(0)
	v_mul_hi_u32 v3, s17, v1
	s_add_i32 s38, s38, 4
	s_add_u32 s6, s6, 32
	s_addc_u32 s7, s7, 0
	v_add_u32_e32 v3, v1, v3
	v_lshrrev_b32_e32 v3, s18, v3
	v_mul_lo_u32 v4, v3, s16
	v_mul_hi_u32 v5, s20, v3
	s_cmp_lg_u32 s36, s38
	v_sub_u32_e32 v1, v1, v4
	v_add_u32_e32 v4, v3, v5
	v_mul_lo_u32 v5, v1, s8
	v_mul_lo_u32 v6, v1, s9
	v_lshrrev_b32_e32 v1, s21, v4
	v_mul_lo_u32 v4, v1, s19
	v_mul_hi_u32 v7, s23, v1
	v_sub_u32_e32 v3, v3, v4
	v_add_u32_e32 v4, v1, v7
	v_lshrrev_b32_e32 v4, s24, v4
	v_mul_hi_u32 v8, s26, v4
	v_mul_lo_u32 v9, v4, s22
	v_mul_lo_u32 v7, v3, s10
	;; [unrolled: 1-line block ×3, first 2 shown]
	v_sub_u32_e32 v9, v1, v9
	v_add_u32_e32 v1, v4, v8
	v_lshrrev_b32_e32 v1, s27, v1
	v_mul_lo_u32 v8, v1, s25
	v_mul_lo_u32 v10, v9, s12
	;; [unrolled: 1-line block ×3, first 2 shown]
	v_add3_u32 v5, v5, v27, v7
	v_sub_u32_e32 v4, v4, v8
	v_mul_lo_u32 v8, v4, s14
	v_mul_lo_u32 v4, v4, s15
	v_add3_u32 v2, v6, v2, v3
	v_add3_u32 v27, v10, v5, v8
	;; [unrolled: 1-line block ×3, first 2 shown]
	s_cbranch_scc1 .LBB16_73
; %bb.74:
	s_and_b32 s10, s37, 3
	s_cmp_eq_u32 s10, 0
	s_cbranch_scc0 .LBB16_78
	s_branch .LBB16_80
.LBB16_75:
                                        ; implicit-def: $vgpr27
                                        ; implicit-def: $vgpr2
	s_branch .LBB16_81
.LBB16_76:
	v_mov_b32_e32 v27, 0
	v_mov_b32_e32 v2, 0
	s_branch .LBB16_80
.LBB16_77:
	v_mov_b32_e32 v27, 0
	v_mov_b32_e32 v2, 0
	v_mov_b32_e32 v1, v22
	s_and_b32 s10, s37, 3
	s_cmp_eq_u32 s10, 0
	s_cbranch_scc1 .LBB16_80
.LBB16_78:
	s_lshl_b32 s6, s36, 3
	s_add_u32 s6, s28, s6
	s_addc_u32 s7, s29, 0
	s_add_u32 s6, s6, 0xc4
	s_addc_u32 s7, s7, 0
	s_mul_i32 s8, s36, 12
	s_add_u32 s8, s28, s8
	s_addc_u32 s9, s29, 0
.LBB16_79:                              ; =>This Inner Loop Header: Depth=1
	s_load_dwordx2 s[12:13], s[8:9], 0x4
	s_load_dword s11, s[8:9], 0xc
	s_load_dwordx2 s[14:15], s[6:7], 0x0
	s_add_u32 s8, s8, 12
	s_addc_u32 s9, s9, 0
	s_waitcnt lgkmcnt(0)
	v_mul_hi_u32 v3, s13, v1
	s_add_u32 s6, s6, 8
	s_addc_u32 s7, s7, 0
	s_add_i32 s10, s10, -1
	v_add_u32_e32 v3, v1, v3
	v_lshrrev_b32_e32 v4, s11, v3
	v_mul_lo_u32 v3, v4, s12
	s_cmp_lg_u32 s10, 0
	v_sub_u32_e32 v1, v1, v3
	v_mad_u64_u32 v[27:28], s[12:13], v1, s14, v[27:28]
	v_mad_u64_u32 v[2:3], s[12:13], v1, s15, v[2:3]
	v_mov_b32_e32 v1, v4
	s_cbranch_scc1 .LBB16_79
.LBB16_80:
	s_cbranch_execnz .LBB16_83
.LBB16_81:
	s_load_dwordx4 s[8:11], s[28:29], 0x4
	s_load_dwordx2 s[6:7], s[28:29], 0xc4
	s_cmp_lt_u32 s33, 2
	s_waitcnt lgkmcnt(0)
	v_mul_hi_u32 v1, s9, v22
	v_add_u32_e32 v1, v22, v1
	v_lshrrev_b32_e32 v1, s10, v1
	v_mul_lo_u32 v2, v1, s8
	v_sub_u32_e32 v2, v22, v2
	v_mul_lo_u32 v27, v2, s6
	v_mul_lo_u32 v2, v2, s7
	s_cbranch_scc1 .LBB16_83
; %bb.82:
	s_load_dwordx4 s[8:11], s[28:29], 0x10
	s_load_dwordx2 s[6:7], s[28:29], 0xcc
	s_waitcnt lgkmcnt(0)
	v_mul_hi_u32 v3, s9, v1
	v_add_u32_e32 v3, v1, v3
	v_lshrrev_b32_e32 v3, s10, v3
	v_mul_lo_u32 v3, v3, s8
	v_sub_u32_e32 v1, v1, v3
	v_mad_u64_u32 v[27:28], s[8:9], v1, s6, v[27:28]
	v_mad_u64_u32 v[2:3], s[6:7], v1, s7, v[2:3]
.LBB16_83:
	s_and_b64 vcc, exec, s[4:5]
	v_add_u32_e32 v1, 0x80, v22
	s_cbranch_vccnz .LBB16_89
; %bb.84:
	s_cmp_lg_u32 s33, 0
	s_mov_b32 s36, 0
	s_cbranch_scc0 .LBB16_90
; %bb.85:
	s_min_u32 s37, s58, 15
	s_add_i32 s37, s37, 1
	s_cmp_eq_u32 s58, 2
	s_cbranch_scc1 .LBB16_91
; %bb.86:
	s_and_b32 s36, s37, 28
	s_add_u32 s6, s28, 0xc4
	s_addc_u32 s7, s29, 0
	v_mov_b32_e32 v20, 0
	s_mov_b32 s38, 0
	s_mov_b64 s[30:31], s[28:29]
	v_mov_b32_e32 v28, 0
	v_mov_b32_e32 v3, v1
.LBB16_87:                              ; =>This Inner Loop Header: Depth=1
	s_load_dwordx8 s[16:23], s[30:31], 0x4
	s_load_dwordx4 s[24:27], s[30:31], 0x24
	s_load_dwordx8 s[8:15], s[6:7], 0x0
	s_add_u32 s30, s30, 48
	s_addc_u32 s31, s31, 0
	s_waitcnt lgkmcnt(0)
	v_mul_hi_u32 v4, s17, v3
	s_add_i32 s38, s38, 4
	s_add_u32 s6, s6, 32
	s_addc_u32 s7, s7, 0
	v_add_u32_e32 v4, v3, v4
	v_lshrrev_b32_e32 v4, s18, v4
	v_mul_lo_u32 v5, v4, s16
	v_mul_hi_u32 v6, s20, v4
	s_cmp_lg_u32 s36, s38
	v_sub_u32_e32 v3, v3, v5
	v_add_u32_e32 v5, v4, v6
	v_mul_lo_u32 v6, v3, s8
	v_mul_lo_u32 v7, v3, s9
	v_lshrrev_b32_e32 v3, s21, v5
	v_mul_lo_u32 v5, v3, s19
	v_mul_hi_u32 v8, s23, v3
	v_sub_u32_e32 v4, v4, v5
	v_add_u32_e32 v5, v3, v8
	v_lshrrev_b32_e32 v5, s24, v5
	v_mul_hi_u32 v9, s26, v5
	v_mul_lo_u32 v10, v5, s22
	v_mul_lo_u32 v8, v4, s10
	;; [unrolled: 1-line block ×3, first 2 shown]
	v_sub_u32_e32 v10, v3, v10
	v_add_u32_e32 v3, v5, v9
	v_lshrrev_b32_e32 v3, s27, v3
	v_mul_lo_u32 v9, v3, s25
	v_mul_lo_u32 v11, v10, s12
	;; [unrolled: 1-line block ×3, first 2 shown]
	v_add3_u32 v6, v6, v28, v8
	v_sub_u32_e32 v5, v5, v9
	v_mul_lo_u32 v9, v5, s14
	v_mul_lo_u32 v5, v5, s15
	v_add3_u32 v4, v7, v20, v4
	v_add3_u32 v28, v11, v6, v9
	;; [unrolled: 1-line block ×3, first 2 shown]
	s_cbranch_scc1 .LBB16_87
; %bb.88:
	s_and_b32 s10, s37, 3
	s_cmp_eq_u32 s10, 0
	s_cbranch_scc0 .LBB16_92
	s_branch .LBB16_94
.LBB16_89:
                                        ; implicit-def: $vgpr28
                                        ; implicit-def: $vgpr20
	s_branch .LBB16_95
.LBB16_90:
	v_mov_b32_e32 v28, 0
	v_mov_b32_e32 v20, 0
	s_branch .LBB16_94
.LBB16_91:
	v_mov_b32_e32 v28, 0
	v_mov_b32_e32 v20, 0
	;; [unrolled: 1-line block ×3, first 2 shown]
	s_and_b32 s10, s37, 3
	s_cmp_eq_u32 s10, 0
	s_cbranch_scc1 .LBB16_94
.LBB16_92:
	s_lshl_b32 s6, s36, 3
	s_add_u32 s6, s28, s6
	s_addc_u32 s7, s29, 0
	s_add_u32 s6, s6, 0xc4
	s_addc_u32 s7, s7, 0
	s_mul_i32 s8, s36, 12
	s_add_u32 s8, s28, s8
	s_addc_u32 s9, s29, 0
.LBB16_93:                              ; =>This Inner Loop Header: Depth=1
	s_load_dwordx2 s[12:13], s[8:9], 0x4
	s_load_dword s11, s[8:9], 0xc
	s_load_dwordx2 s[14:15], s[6:7], 0x0
	s_add_u32 s8, s8, 12
	s_addc_u32 s9, s9, 0
	s_waitcnt lgkmcnt(0)
	v_mul_hi_u32 v4, s13, v3
	s_add_u32 s6, s6, 8
	s_addc_u32 s7, s7, 0
	s_add_i32 s10, s10, -1
	v_add_u32_e32 v4, v3, v4
	v_lshrrev_b32_e32 v4, s11, v4
	v_mul_lo_u32 v5, v4, s12
	s_cmp_lg_u32 s10, 0
	v_sub_u32_e32 v3, v3, v5
	v_mad_u64_u32 v[28:29], s[12:13], v3, s14, v[28:29]
	v_mad_u64_u32 v[20:21], s[12:13], v3, s15, v[20:21]
	v_mov_b32_e32 v3, v4
	s_cbranch_scc1 .LBB16_93
.LBB16_94:
	s_cbranch_execnz .LBB16_97
.LBB16_95:
	s_load_dwordx4 s[8:11], s[28:29], 0x4
	s_load_dwordx2 s[6:7], s[28:29], 0xc4
	s_cmp_lt_u32 s33, 2
	s_waitcnt lgkmcnt(0)
	v_mul_hi_u32 v3, s9, v1
	v_add_u32_e32 v3, v1, v3
	v_lshrrev_b32_e32 v3, s10, v3
	v_mul_lo_u32 v4, v3, s8
	v_sub_u32_e32 v1, v1, v4
	v_mul_lo_u32 v28, v1, s6
	v_mul_lo_u32 v20, v1, s7
	s_cbranch_scc1 .LBB16_97
; %bb.96:
	s_load_dwordx4 s[8:11], s[28:29], 0x10
	s_load_dwordx2 s[6:7], s[28:29], 0xcc
	s_waitcnt lgkmcnt(0)
	v_mul_hi_u32 v1, s9, v3
	v_add_u32_e32 v1, v3, v1
	v_lshrrev_b32_e32 v1, s10, v1
	v_mul_lo_u32 v1, v1, s8
	v_sub_u32_e32 v1, v3, v1
	v_mad_u64_u32 v[28:29], s[8:9], v1, s6, v[28:29]
	v_mad_u64_u32 v[20:21], s[6:7], v1, s7, v[20:21]
.LBB16_97:
	s_and_b64 vcc, exec, s[4:5]
	v_add_u32_e32 v1, 0x100, v22
	s_cbranch_vccnz .LBB16_103
; %bb.98:
	s_cmp_lg_u32 s33, 0
	s_mov_b32 s36, 0
	s_cbranch_scc0 .LBB16_104
; %bb.99:
	s_min_u32 s37, s58, 15
	s_add_i32 s37, s37, 1
	s_cmp_eq_u32 s58, 2
	s_cbranch_scc1 .LBB16_105
; %bb.100:
	s_and_b32 s36, s37, 28
	s_add_u32 s6, s28, 0xc4
	s_addc_u32 s7, s29, 0
	v_mov_b32_e32 v21, 0
	s_mov_b32 s38, 0
	s_mov_b64 s[30:31], s[28:29]
	v_mov_b32_e32 v29, 0
	v_mov_b32_e32 v3, v1
.LBB16_101:                             ; =>This Inner Loop Header: Depth=1
	s_load_dwordx8 s[16:23], s[30:31], 0x4
	s_load_dwordx4 s[24:27], s[30:31], 0x24
	s_load_dwordx8 s[8:15], s[6:7], 0x0
	s_add_u32 s30, s30, 48
	s_addc_u32 s31, s31, 0
	s_waitcnt lgkmcnt(0)
	v_mul_hi_u32 v4, s17, v3
	s_add_i32 s38, s38, 4
	s_add_u32 s6, s6, 32
	s_addc_u32 s7, s7, 0
	v_add_u32_e32 v4, v3, v4
	v_lshrrev_b32_e32 v4, s18, v4
	v_mul_lo_u32 v5, v4, s16
	v_mul_hi_u32 v6, s20, v4
	s_cmp_lg_u32 s36, s38
	v_sub_u32_e32 v3, v3, v5
	v_add_u32_e32 v5, v4, v6
	v_mul_lo_u32 v6, v3, s8
	v_mul_lo_u32 v7, v3, s9
	v_lshrrev_b32_e32 v3, s21, v5
	v_mul_lo_u32 v5, v3, s19
	v_mul_hi_u32 v8, s23, v3
	v_sub_u32_e32 v4, v4, v5
	v_add_u32_e32 v5, v3, v8
	v_lshrrev_b32_e32 v5, s24, v5
	v_mul_hi_u32 v9, s26, v5
	v_mul_lo_u32 v10, v5, s22
	v_mul_lo_u32 v8, v4, s10
	;; [unrolled: 1-line block ×3, first 2 shown]
	v_sub_u32_e32 v10, v3, v10
	v_add_u32_e32 v3, v5, v9
	v_lshrrev_b32_e32 v3, s27, v3
	v_mul_lo_u32 v9, v3, s25
	v_mul_lo_u32 v11, v10, s12
	;; [unrolled: 1-line block ×3, first 2 shown]
	v_add3_u32 v6, v6, v29, v8
	v_sub_u32_e32 v5, v5, v9
	v_mul_lo_u32 v9, v5, s14
	v_mul_lo_u32 v5, v5, s15
	v_add3_u32 v4, v7, v21, v4
	v_add3_u32 v29, v11, v6, v9
	;; [unrolled: 1-line block ×3, first 2 shown]
	s_cbranch_scc1 .LBB16_101
; %bb.102:
	s_and_b32 s10, s37, 3
	s_cmp_eq_u32 s10, 0
	s_cbranch_scc0 .LBB16_106
	s_branch .LBB16_108
.LBB16_103:
                                        ; implicit-def: $vgpr29
                                        ; implicit-def: $vgpr21
	s_branch .LBB16_109
.LBB16_104:
	v_mov_b32_e32 v29, 0
	v_mov_b32_e32 v21, 0
	s_branch .LBB16_108
.LBB16_105:
	v_mov_b32_e32 v29, 0
	v_mov_b32_e32 v21, 0
	;; [unrolled: 1-line block ×3, first 2 shown]
	s_and_b32 s10, s37, 3
	s_cmp_eq_u32 s10, 0
	s_cbranch_scc1 .LBB16_108
.LBB16_106:
	s_lshl_b32 s6, s36, 3
	s_add_u32 s6, s28, s6
	s_addc_u32 s7, s29, 0
	s_add_u32 s6, s6, 0xc4
	s_addc_u32 s7, s7, 0
	s_mul_i32 s8, s36, 12
	s_add_u32 s8, s28, s8
	s_addc_u32 s9, s29, 0
.LBB16_107:                             ; =>This Inner Loop Header: Depth=1
	s_load_dwordx2 s[12:13], s[8:9], 0x4
	s_load_dword s11, s[8:9], 0xc
	s_load_dwordx2 s[14:15], s[6:7], 0x0
	s_add_u32 s8, s8, 12
	s_addc_u32 s9, s9, 0
	s_waitcnt lgkmcnt(0)
	v_mul_hi_u32 v4, s13, v3
	s_add_u32 s6, s6, 8
	s_addc_u32 s7, s7, 0
	s_add_i32 s10, s10, -1
	v_add_u32_e32 v4, v3, v4
	v_lshrrev_b32_e32 v4, s11, v4
	v_mul_lo_u32 v5, v4, s12
	s_cmp_lg_u32 s10, 0
	v_sub_u32_e32 v3, v3, v5
	v_mad_u64_u32 v[29:30], s[12:13], v3, s14, v[29:30]
	v_mad_u64_u32 v[21:22], s[12:13], v3, s15, v[21:22]
	v_mov_b32_e32 v3, v4
	s_cbranch_scc1 .LBB16_107
.LBB16_108:
	s_cbranch_execnz .LBB16_111
.LBB16_109:
	s_load_dwordx4 s[8:11], s[28:29], 0x4
	s_load_dwordx2 s[6:7], s[28:29], 0xc4
	s_cmp_lt_u32 s33, 2
	s_waitcnt lgkmcnt(0)
	v_mul_hi_u32 v3, s9, v1
	v_add_u32_e32 v3, v1, v3
	v_lshrrev_b32_e32 v3, s10, v3
	v_mul_lo_u32 v4, v3, s8
	v_sub_u32_e32 v1, v1, v4
	v_mul_lo_u32 v29, v1, s6
	v_mul_lo_u32 v21, v1, s7
	s_cbranch_scc1 .LBB16_111
; %bb.110:
	s_load_dwordx4 s[8:11], s[28:29], 0x10
	s_load_dwordx2 s[6:7], s[28:29], 0xcc
	s_waitcnt lgkmcnt(0)
	v_mul_hi_u32 v1, s9, v3
	v_add_u32_e32 v1, v3, v1
	v_lshrrev_b32_e32 v1, s10, v1
	v_mul_lo_u32 v1, v1, s8
	v_sub_u32_e32 v1, v3, v1
	v_mad_u64_u32 v[29:30], s[8:9], v1, s6, v[29:30]
	v_mad_u64_u32 v[21:22], s[6:7], v1, s7, v[21:22]
.LBB16_111:
	s_and_b64 vcc, exec, s[4:5]
	s_cbranch_vccnz .LBB16_117
; %bb.112:
	s_cmp_lg_u32 s33, 0
	s_mov_b32 s30, 0
	s_cbranch_scc0 .LBB16_118
; %bb.113:
	s_min_u32 s31, s58, 15
	s_add_i32 s31, s31, 1
	s_cmp_eq_u32 s58, 2
	s_cbranch_scc1 .LBB16_119
; %bb.114:
	s_and_b32 s30, s31, 28
	s_add_u32 s24, s28, 0xc4
	s_addc_u32 s25, s29, 0
	v_mov_b32_e32 v22, 0
	s_mov_b32 s36, 0
	s_mov_b64 s[26:27], s[28:29]
	v_mov_b32_e32 v30, 0
	v_mov_b32_e32 v1, v0
.LBB16_115:                             ; =>This Inner Loop Header: Depth=1
	s_load_dwordx8 s[12:19], s[26:27], 0x4
	s_load_dwordx4 s[20:23], s[26:27], 0x24
	s_load_dwordx8 s[4:11], s[24:25], 0x0
	s_add_u32 s26, s26, 48
	s_addc_u32 s27, s27, 0
	s_waitcnt lgkmcnt(0)
	v_mul_hi_u32 v3, s13, v1
	s_add_i32 s36, s36, 4
	s_add_u32 s24, s24, 32
	s_addc_u32 s25, s25, 0
	v_add_u32_e32 v3, v1, v3
	v_lshrrev_b32_e32 v3, s14, v3
	v_mul_lo_u32 v4, v3, s12
	v_mul_hi_u32 v5, s16, v3
	s_cmp_lg_u32 s30, s36
	v_sub_u32_e32 v1, v1, v4
	v_add_u32_e32 v4, v3, v5
	v_mul_lo_u32 v5, v1, s4
	v_mul_lo_u32 v6, v1, s5
	v_lshrrev_b32_e32 v1, s17, v4
	v_mul_lo_u32 v4, v1, s15
	v_mul_hi_u32 v7, s19, v1
	v_sub_u32_e32 v3, v3, v4
	v_add_u32_e32 v4, v1, v7
	v_lshrrev_b32_e32 v4, s20, v4
	v_mul_hi_u32 v8, s22, v4
	v_mul_lo_u32 v9, v4, s18
	v_mul_lo_u32 v7, v3, s6
	;; [unrolled: 1-line block ×3, first 2 shown]
	v_sub_u32_e32 v9, v1, v9
	v_add_u32_e32 v1, v4, v8
	v_lshrrev_b32_e32 v1, s23, v1
	v_mul_lo_u32 v8, v1, s21
	v_mul_lo_u32 v10, v9, s8
	;; [unrolled: 1-line block ×3, first 2 shown]
	v_add3_u32 v5, v5, v30, v7
	v_sub_u32_e32 v4, v4, v8
	v_mul_lo_u32 v8, v4, s10
	v_mul_lo_u32 v4, v4, s11
	v_add3_u32 v3, v6, v22, v3
	v_add3_u32 v30, v10, v5, v8
	;; [unrolled: 1-line block ×3, first 2 shown]
	s_cbranch_scc1 .LBB16_115
; %bb.116:
	s_and_b32 s8, s31, 3
	s_cmp_eq_u32 s8, 0
	s_cbranch_scc0 .LBB16_120
	s_branch .LBB16_122
.LBB16_117:
                                        ; implicit-def: $vgpr30
                                        ; implicit-def: $vgpr22
	s_branch .LBB16_123
.LBB16_118:
	v_mov_b32_e32 v30, 0
	v_mov_b32_e32 v22, 0
	s_branch .LBB16_122
.LBB16_119:
	v_mov_b32_e32 v30, 0
	v_mov_b32_e32 v22, 0
	;; [unrolled: 1-line block ×3, first 2 shown]
	s_and_b32 s8, s31, 3
	s_cmp_eq_u32 s8, 0
	s_cbranch_scc1 .LBB16_122
.LBB16_120:
	s_lshl_b32 s4, s30, 3
	s_add_u32 s4, s28, s4
	s_addc_u32 s5, s29, 0
	s_add_u32 s4, s4, 0xc4
	s_addc_u32 s5, s5, 0
	s_mul_i32 s6, s30, 12
	s_add_u32 s6, s28, s6
	s_addc_u32 s7, s29, 0
.LBB16_121:                             ; =>This Inner Loop Header: Depth=1
	s_load_dwordx2 s[10:11], s[6:7], 0x4
	s_load_dword s9, s[6:7], 0xc
	s_load_dwordx2 s[12:13], s[4:5], 0x0
	s_add_u32 s6, s6, 12
	s_addc_u32 s7, s7, 0
	s_waitcnt lgkmcnt(0)
	v_mul_hi_u32 v3, s11, v1
	s_add_u32 s4, s4, 8
	s_addc_u32 s5, s5, 0
	s_add_i32 s8, s8, -1
	v_add_u32_e32 v3, v1, v3
	v_lshrrev_b32_e32 v3, s9, v3
	v_mul_lo_u32 v4, v3, s10
	s_cmp_lg_u32 s8, 0
	v_sub_u32_e32 v1, v1, v4
	v_mad_u64_u32 v[30:31], s[10:11], v1, s12, v[30:31]
	v_mad_u64_u32 v[22:23], s[10:11], v1, s13, v[22:23]
	v_mov_b32_e32 v1, v3
	s_cbranch_scc1 .LBB16_121
.LBB16_122:
	s_cbranch_execnz .LBB16_125
.LBB16_123:
	s_load_dwordx4 s[4:7], s[28:29], 0x4
	s_load_dwordx2 s[8:9], s[28:29], 0xc4
	s_cmp_lt_u32 s33, 2
	s_waitcnt lgkmcnt(0)
	v_mul_hi_u32 v1, s5, v0
	v_add_u32_e32 v1, v0, v1
	v_lshrrev_b32_e32 v1, s6, v1
	v_mul_lo_u32 v3, v1, s4
	v_sub_u32_e32 v0, v0, v3
	v_mul_lo_u32 v30, v0, s8
	v_mul_lo_u32 v22, v0, s9
	s_cbranch_scc1 .LBB16_125
; %bb.124:
	s_load_dwordx4 s[4:7], s[28:29], 0x10
	s_load_dwordx2 s[8:9], s[28:29], 0xcc
	s_waitcnt lgkmcnt(0)
	v_mul_hi_u32 v0, s5, v1
	v_add_u32_e32 v0, v1, v0
	v_lshrrev_b32_e32 v0, s6, v0
	v_mul_lo_u32 v0, v0, s4
	v_sub_u32_e32 v0, v1, v0
	v_mad_u64_u32 v[30:31], s[4:5], v0, s8, v[30:31]
	v_mad_u64_u32 v[22:23], s[4:5], v0, s9, v[22:23]
.LBB16_125:
	s_load_dwordx4 s[36:39], s[28:29], 0x148
	s_getpc_b64 s[26:27]
	s_add_u32 s26, s26, _ZN2at6native6invokeIZZZNS0_16asin_kernel_cudaERNS_18TensorIteratorBaseEENKUlvE_clEvENKUlvE0_clEvEUlN3c107complexIfEEE_j15function_traitsIS9_EEENT1_11result_typeERKT_PrKPcPKT0_i@rel32@lo+4
	s_addc_u32 s27, s27, _ZN2at6native6invokeIZZZNS0_16asin_kernel_cudaERNS_18TensorIteratorBaseEENKUlvE_clEvENKUlvE0_clEvEUlN3c107complexIfEEE_j15function_traitsIS9_EEENT1_11result_typeERKT_PrKPcPKT0_i@rel32@hi+12
	s_waitcnt lgkmcnt(0)
	v_mov_b32_e32 v0, s37
	v_add_co_u32_e32 v31, vcc, s36, v30
	v_addc_co_u32_e32 v32, vcc, 0, v0, vcc
	v_mov_b32_e32 v0, s38
	v_mov_b32_e32 v1, s39
	s_swappc_b64 s[30:31], s[26:27]
	v_mov_b32_e32 v23, v0
	v_mov_b32_e32 v24, v1
	v_mov_b32_e32 v0, s38
	v_mov_b32_e32 v1, s39
	v_mov_b32_e32 v2, v20
	s_swappc_b64 s[30:31], s[26:27]
	v_mov_b32_e32 v25, v0
	v_mov_b32_e32 v26, v1
	v_mov_b32_e32 v0, s38
	;; [unrolled: 6-line block ×3, first 2 shown]
	v_mov_b32_e32 v1, s39
	v_mov_b32_e32 v2, v22
	s_swappc_b64 s[30:31], s[26:27]
	s_or_b64 s[40:41], s[40:41], exec
	global_store_dwordx2 v27, v[23:24], s[36:37]
	global_store_dwordx2 v28, v[25:26], s[36:37]
	;; [unrolled: 1-line block ×3, first 2 shown]
	global_store_dword v30, v0, s[36:37]
	s_or_b64 exec, exec, s[34:35]
	s_and_saveexec_b64 s[4:5], s[40:41]
	s_cbranch_execz .LBB16_3
.LBB16_126:
	global_store_dword v[31:32], v1, off offset:4
	s_endpgm
	.section	.rodata,"a",@progbits
	.p2align	6, 0x0
	.amdhsa_kernel _ZN2at6native32elementwise_kernel_manual_unrollILi128ELi4EZNS0_22gpu_kernel_impl_nocastIZZZNS0_16asin_kernel_cudaERNS_18TensorIteratorBaseEENKUlvE_clEvENKUlvE0_clEvEUlN3c107complexIfEEE_EEvS4_RKT_EUlibE_EEviT1_
		.amdhsa_group_segment_fixed_size 0
		.amdhsa_private_segment_fixed_size 12
		.amdhsa_kernarg_size 360
		.amdhsa_user_sgpr_count 8
		.amdhsa_user_sgpr_private_segment_buffer 1
		.amdhsa_user_sgpr_dispatch_ptr 0
		.amdhsa_user_sgpr_queue_ptr 0
		.amdhsa_user_sgpr_kernarg_segment_ptr 1
		.amdhsa_user_sgpr_dispatch_id 0
		.amdhsa_user_sgpr_flat_scratch_init 1
		.amdhsa_user_sgpr_private_segment_size 0
		.amdhsa_uses_dynamic_stack 0
		.amdhsa_system_sgpr_private_segment_wavefront_offset 1
		.amdhsa_system_sgpr_workgroup_id_x 1
		.amdhsa_system_sgpr_workgroup_id_y 0
		.amdhsa_system_sgpr_workgroup_id_z 0
		.amdhsa_system_sgpr_workgroup_info 0
		.amdhsa_system_vgpr_workitem_id 0
		.amdhsa_next_free_vgpr 33
		.amdhsa_next_free_sgpr 64
		.amdhsa_reserve_vcc 1
		.amdhsa_reserve_flat_scratch 1
		.amdhsa_float_round_mode_32 0
		.amdhsa_float_round_mode_16_64 0
		.amdhsa_float_denorm_mode_32 3
		.amdhsa_float_denorm_mode_16_64 3
		.amdhsa_dx10_clamp 1
		.amdhsa_ieee_mode 1
		.amdhsa_fp16_overflow 0
		.amdhsa_exception_fp_ieee_invalid_op 0
		.amdhsa_exception_fp_denorm_src 0
		.amdhsa_exception_fp_ieee_div_zero 0
		.amdhsa_exception_fp_ieee_overflow 0
		.amdhsa_exception_fp_ieee_underflow 0
		.amdhsa_exception_fp_ieee_inexact 0
		.amdhsa_exception_int_div_zero 0
	.end_amdhsa_kernel
	.section	.text._ZN2at6native32elementwise_kernel_manual_unrollILi128ELi4EZNS0_22gpu_kernel_impl_nocastIZZZNS0_16asin_kernel_cudaERNS_18TensorIteratorBaseEENKUlvE_clEvENKUlvE0_clEvEUlN3c107complexIfEEE_EEvS4_RKT_EUlibE_EEviT1_,"axG",@progbits,_ZN2at6native32elementwise_kernel_manual_unrollILi128ELi4EZNS0_22gpu_kernel_impl_nocastIZZZNS0_16asin_kernel_cudaERNS_18TensorIteratorBaseEENKUlvE_clEvENKUlvE0_clEvEUlN3c107complexIfEEE_EEvS4_RKT_EUlibE_EEviT1_,comdat
.Lfunc_end16:
	.size	_ZN2at6native32elementwise_kernel_manual_unrollILi128ELi4EZNS0_22gpu_kernel_impl_nocastIZZZNS0_16asin_kernel_cudaERNS_18TensorIteratorBaseEENKUlvE_clEvENKUlvE0_clEvEUlN3c107complexIfEEE_EEvS4_RKT_EUlibE_EEviT1_, .Lfunc_end16-_ZN2at6native32elementwise_kernel_manual_unrollILi128ELi4EZNS0_22gpu_kernel_impl_nocastIZZZNS0_16asin_kernel_cudaERNS_18TensorIteratorBaseEENKUlvE_clEvENKUlvE0_clEvEUlN3c107complexIfEEE_EEvS4_RKT_EUlibE_EEviT1_
                                        ; -- End function
	.set _ZN2at6native32elementwise_kernel_manual_unrollILi128ELi4EZNS0_22gpu_kernel_impl_nocastIZZZNS0_16asin_kernel_cudaERNS_18TensorIteratorBaseEENKUlvE_clEvENKUlvE0_clEvEUlN3c107complexIfEEE_EEvS4_RKT_EUlibE_EEviT1_.num_vgpr, max(33, .L_ZN2at6native6invokeIZZZNS0_16asin_kernel_cudaERNS_18TensorIteratorBaseEENKUlvE_clEvENKUlvE0_clEvEUlN3c107complexIfEEE_j15function_traitsIS9_EEENT1_11result_typeERKT_PrKPcPKT0_i.num_vgpr)
	.set _ZN2at6native32elementwise_kernel_manual_unrollILi128ELi4EZNS0_22gpu_kernel_impl_nocastIZZZNS0_16asin_kernel_cudaERNS_18TensorIteratorBaseEENKUlvE_clEvENKUlvE0_clEvEUlN3c107complexIfEEE_EEvS4_RKT_EUlibE_EEviT1_.num_agpr, max(0, .L_ZN2at6native6invokeIZZZNS0_16asin_kernel_cudaERNS_18TensorIteratorBaseEENKUlvE_clEvENKUlvE0_clEvEUlN3c107complexIfEEE_j15function_traitsIS9_EEENT1_11result_typeERKT_PrKPcPKT0_i.num_agpr)
	.set _ZN2at6native32elementwise_kernel_manual_unrollILi128ELi4EZNS0_22gpu_kernel_impl_nocastIZZZNS0_16asin_kernel_cudaERNS_18TensorIteratorBaseEENKUlvE_clEvENKUlvE0_clEvEUlN3c107complexIfEEE_EEvS4_RKT_EUlibE_EEviT1_.numbered_sgpr, max(64, .L_ZN2at6native6invokeIZZZNS0_16asin_kernel_cudaERNS_18TensorIteratorBaseEENKUlvE_clEvENKUlvE0_clEvEUlN3c107complexIfEEE_j15function_traitsIS9_EEENT1_11result_typeERKT_PrKPcPKT0_i.numbered_sgpr)
	.set _ZN2at6native32elementwise_kernel_manual_unrollILi128ELi4EZNS0_22gpu_kernel_impl_nocastIZZZNS0_16asin_kernel_cudaERNS_18TensorIteratorBaseEENKUlvE_clEvENKUlvE0_clEvEUlN3c107complexIfEEE_EEvS4_RKT_EUlibE_EEviT1_.num_named_barrier, max(0, .L_ZN2at6native6invokeIZZZNS0_16asin_kernel_cudaERNS_18TensorIteratorBaseEENKUlvE_clEvENKUlvE0_clEvEUlN3c107complexIfEEE_j15function_traitsIS9_EEENT1_11result_typeERKT_PrKPcPKT0_i.num_named_barrier)
	.set _ZN2at6native32elementwise_kernel_manual_unrollILi128ELi4EZNS0_22gpu_kernel_impl_nocastIZZZNS0_16asin_kernel_cudaERNS_18TensorIteratorBaseEENKUlvE_clEvENKUlvE0_clEvEUlN3c107complexIfEEE_EEvS4_RKT_EUlibE_EEviT1_.private_seg_size, 0+max(.L_ZN2at6native6invokeIZZZNS0_16asin_kernel_cudaERNS_18TensorIteratorBaseEENKUlvE_clEvENKUlvE0_clEvEUlN3c107complexIfEEE_j15function_traitsIS9_EEENT1_11result_typeERKT_PrKPcPKT0_i.private_seg_size)
	.set _ZN2at6native32elementwise_kernel_manual_unrollILi128ELi4EZNS0_22gpu_kernel_impl_nocastIZZZNS0_16asin_kernel_cudaERNS_18TensorIteratorBaseEENKUlvE_clEvENKUlvE0_clEvEUlN3c107complexIfEEE_EEvS4_RKT_EUlibE_EEviT1_.uses_vcc, or(1, .L_ZN2at6native6invokeIZZZNS0_16asin_kernel_cudaERNS_18TensorIteratorBaseEENKUlvE_clEvENKUlvE0_clEvEUlN3c107complexIfEEE_j15function_traitsIS9_EEENT1_11result_typeERKT_PrKPcPKT0_i.uses_vcc)
	.set _ZN2at6native32elementwise_kernel_manual_unrollILi128ELi4EZNS0_22gpu_kernel_impl_nocastIZZZNS0_16asin_kernel_cudaERNS_18TensorIteratorBaseEENKUlvE_clEvENKUlvE0_clEvEUlN3c107complexIfEEE_EEvS4_RKT_EUlibE_EEviT1_.uses_flat_scratch, or(1, .L_ZN2at6native6invokeIZZZNS0_16asin_kernel_cudaERNS_18TensorIteratorBaseEENKUlvE_clEvENKUlvE0_clEvEUlN3c107complexIfEEE_j15function_traitsIS9_EEENT1_11result_typeERKT_PrKPcPKT0_i.uses_flat_scratch)
	.set _ZN2at6native32elementwise_kernel_manual_unrollILi128ELi4EZNS0_22gpu_kernel_impl_nocastIZZZNS0_16asin_kernel_cudaERNS_18TensorIteratorBaseEENKUlvE_clEvENKUlvE0_clEvEUlN3c107complexIfEEE_EEvS4_RKT_EUlibE_EEviT1_.has_dyn_sized_stack, or(0, .L_ZN2at6native6invokeIZZZNS0_16asin_kernel_cudaERNS_18TensorIteratorBaseEENKUlvE_clEvENKUlvE0_clEvEUlN3c107complexIfEEE_j15function_traitsIS9_EEENT1_11result_typeERKT_PrKPcPKT0_i.has_dyn_sized_stack)
	.set _ZN2at6native32elementwise_kernel_manual_unrollILi128ELi4EZNS0_22gpu_kernel_impl_nocastIZZZNS0_16asin_kernel_cudaERNS_18TensorIteratorBaseEENKUlvE_clEvENKUlvE0_clEvEUlN3c107complexIfEEE_EEvS4_RKT_EUlibE_EEviT1_.has_recursion, or(0, .L_ZN2at6native6invokeIZZZNS0_16asin_kernel_cudaERNS_18TensorIteratorBaseEENKUlvE_clEvENKUlvE0_clEvEUlN3c107complexIfEEE_j15function_traitsIS9_EEENT1_11result_typeERKT_PrKPcPKT0_i.has_recursion)
	.set _ZN2at6native32elementwise_kernel_manual_unrollILi128ELi4EZNS0_22gpu_kernel_impl_nocastIZZZNS0_16asin_kernel_cudaERNS_18TensorIteratorBaseEENKUlvE_clEvENKUlvE0_clEvEUlN3c107complexIfEEE_EEvS4_RKT_EUlibE_EEviT1_.has_indirect_call, or(0, .L_ZN2at6native6invokeIZZZNS0_16asin_kernel_cudaERNS_18TensorIteratorBaseEENKUlvE_clEvENKUlvE0_clEvEUlN3c107complexIfEEE_j15function_traitsIS9_EEENT1_11result_typeERKT_PrKPcPKT0_i.has_indirect_call)
	.section	.AMDGPU.csdata,"",@progbits
; Kernel info:
; codeLenInByte = 5872
; TotalNumSgprs: 70
; NumVgprs: 33
; ScratchSize: 12
; MemoryBound: 0
; FloatMode: 240
; IeeeMode: 1
; LDSByteSize: 0 bytes/workgroup (compile time only)
; SGPRBlocks: 8
; VGPRBlocks: 8
; NumSGPRsForWavesPerEU: 70
; NumVGPRsForWavesPerEU: 33
; Occupancy: 7
; WaveLimiterHint : 1
; COMPUTE_PGM_RSRC2:SCRATCH_EN: 1
; COMPUTE_PGM_RSRC2:USER_SGPR: 8
; COMPUTE_PGM_RSRC2:TRAP_HANDLER: 0
; COMPUTE_PGM_RSRC2:TGID_X_EN: 1
; COMPUTE_PGM_RSRC2:TGID_Y_EN: 0
; COMPUTE_PGM_RSRC2:TGID_Z_EN: 0
; COMPUTE_PGM_RSRC2:TIDIG_COMP_CNT: 0
	.text
	.p2align	2                               ; -- Begin function _ZN2at6native6invokeIZZZNS0_16asin_kernel_cudaERNS_18TensorIteratorBaseEENKUlvE_clEvENKUlvE0_clEvEUlN3c107complexIfEEE_i15function_traitsIS9_EEENT1_11result_typeERKT_PrKPcPKT0_PKNS6_10ScalarTypeEi
	.type	_ZN2at6native6invokeIZZZNS0_16asin_kernel_cudaERNS_18TensorIteratorBaseEENKUlvE_clEvENKUlvE0_clEvEUlN3c107complexIfEEE_i15function_traitsIS9_EEENT1_11result_typeERKT_PrKPcPKT0_PKNS6_10ScalarTypeEi,@function
_ZN2at6native6invokeIZZZNS0_16asin_kernel_cudaERNS_18TensorIteratorBaseEENKUlvE_clEvENKUlvE0_clEvEUlN3c107complexIfEEE_i15function_traitsIS9_EEENT1_11result_typeERKT_PrKPcPKT0_PKNS6_10ScalarTypeEi: ; @_ZN2at6native6invokeIZZZNS0_16asin_kernel_cudaERNS_18TensorIteratorBaseEENKUlvE_clEvENKUlvE0_clEvEUlN3c107complexIfEEE_i15function_traitsIS9_EEENT1_11result_typeERKT_PrKPcPKT0_PKNS6_10ScalarTypeEi
; %bb.0:
	s_waitcnt vmcnt(0) expcnt(0) lgkmcnt(0)
	v_mul_lo_u32 v2, v4, v2
	s_mov_b64 s[6:7], 0
	v_ashrrev_i32_e32 v5, 31, v2
	v_add_co_u32_e32 v4, vcc, v0, v2
	v_mov_b32_e32 v0, 10
	v_addc_co_u32_e32 v5, vcc, v1, v5, vcc
	v_cmp_gt_i16_sdwa s[4:5], v3, v0 src0_sel:BYTE_0 src1_sel:DWORD
                                        ; implicit-def: $vgpr1
	s_and_saveexec_b64 s[8:9], s[4:5]
	s_xor_b64 s[4:5], exec, s[8:9]
	s_cbranch_execnz .LBB17_4
; %bb.1:
	s_andn2_saveexec_b64 s[4:5], s[4:5]
	s_cbranch_execnz .LBB17_10
.LBB17_2:
	s_or_b64 exec, exec, s[4:5]
	s_and_saveexec_b64 s[8:9], s[6:7]
	s_cbranch_execnz .LBB17_51
.LBB17_3:
	s_or_b64 exec, exec, s[8:9]
	s_waitcnt vmcnt(0) lgkmcnt(0)
	s_setpc_b64 s[30:31]
.LBB17_4:
	v_mov_b32_e32 v0, 25
	v_cmp_gt_i16_sdwa s[8:9], v3, v0 src0_sel:BYTE_0 src1_sel:DWORD
	s_mov_b64 s[12:13], 0
	s_mov_b64 s[10:11], 0
                                        ; implicit-def: $vgpr1
	s_and_saveexec_b64 s[14:15], s[8:9]
	s_xor_b64 s[8:9], exec, s[14:15]
	s_cbranch_execnz .LBB17_150
; %bb.5:
	s_andn2_saveexec_b64 s[8:9], s[8:9]
	s_cbranch_execnz .LBB17_181
.LBB17_6:
	s_or_b64 exec, exec, s[8:9]
	s_and_saveexec_b64 s[8:9], s[12:13]
	s_cbranch_execnz .LBB17_204
.LBB17_7:
	s_or_b64 exec, exec, s[8:9]
	s_and_saveexec_b64 s[8:9], s[6:7]
	s_xor_b64 s[6:7], exec, s[8:9]
	s_cbranch_execz .LBB17_9
.LBB17_8:
	flat_load_ubyte v0, v[4:5]
	v_mov_b32_e32 v1, 0
	s_or_b64 s[10:11], s[10:11], exec
	s_waitcnt vmcnt(0) lgkmcnt(0)
	v_cmp_ne_u16_e32 vcc, 0, v0
	v_cndmask_b32_e64 v0, 0, 1.0, vcc
.LBB17_9:
	s_or_b64 exec, exec, s[6:7]
	s_and_b64 s[6:7], s[10:11], exec
                                        ; implicit-def: $vgpr3
                                        ; implicit-def: $vgpr4_vgpr5
	s_andn2_saveexec_b64 s[4:5], s[4:5]
	s_cbranch_execz .LBB17_2
.LBB17_10:
	v_mov_b32_e32 v0, 4
	v_cmp_gt_i16_sdwa s[8:9], v3, v0 src0_sel:BYTE_0 src1_sel:DWORD
                                        ; implicit-def: $vgpr1
	s_and_saveexec_b64 s[10:11], s[8:9]
	s_xor_b64 s[8:9], exec, s[10:11]
	s_cbranch_execz .LBB17_32
; %bb.11:
	v_mov_b32_e32 v0, 7
	v_cmp_gt_i16_sdwa s[10:11], v3, v0 src0_sel:BYTE_0 src1_sel:DWORD
                                        ; implicit-def: $vgpr1
	s_and_saveexec_b64 s[12:13], s[10:11]
	s_xor_b64 s[10:11], exec, s[12:13]
	s_cbranch_execz .LBB17_21
; %bb.12:
	;; [unrolled: 7-line block ×4, first 2 shown]
	flat_load_dwordx4 v[0:3], v[4:5]
                                        ; implicit-def: $vgpr4_vgpr5
	s_waitcnt vmcnt(0) lgkmcnt(0)
	v_cvt_f32_f64_e32 v0, v[0:1]
	v_cvt_f32_f64_e32 v1, v[2:3]
.LBB17_15:
	s_andn2_saveexec_b64 s[14:15], s[14:15]
	s_cbranch_execz .LBB17_17
; %bb.16:
	flat_load_dwordx2 v[0:1], v[4:5]
.LBB17_17:
	s_or_b64 exec, exec, s[14:15]
                                        ; implicit-def: $vgpr4_vgpr5
.LBB17_18:
	s_andn2_saveexec_b64 s[12:13], s[12:13]
	s_cbranch_execz .LBB17_20
; %bb.19:
	s_waitcnt vmcnt(0) lgkmcnt(0)
	flat_load_dword v1, v[4:5]
	s_waitcnt vmcnt(0) lgkmcnt(0)
	v_cvt_f32_f16_e32 v0, v1
	v_cvt_f32_f16_sdwa v1, v1 dst_sel:DWORD dst_unused:UNUSED_PAD src0_sel:WORD_1
.LBB17_20:
	s_or_b64 exec, exec, s[12:13]
                                        ; implicit-def: $vgpr4_vgpr5
                                        ; implicit-def: $vgpr3
.LBB17_21:
	s_andn2_saveexec_b64 s[10:11], s[10:11]
	s_cbranch_execz .LBB17_31
; %bb.22:
	s_waitcnt vmcnt(0) lgkmcnt(0)
	v_mov_b32_e32 v0, 5
	v_cmp_gt_i16_sdwa s[12:13], v3, v0 src0_sel:BYTE_0 src1_sel:DWORD
                                        ; implicit-def: $vgpr0
	s_and_saveexec_b64 s[14:15], s[12:13]
	s_xor_b64 s[12:13], exec, s[14:15]
	s_cbranch_execz .LBB17_28
; %bb.23:
	v_mov_b32_e32 v0, 6
	v_cmp_gt_i16_sdwa s[14:15], v3, v0 src0_sel:BYTE_0 src1_sel:DWORD
                                        ; implicit-def: $vgpr0
	s_and_saveexec_b64 s[16:17], s[14:15]
	s_xor_b64 s[14:15], exec, s[16:17]
	s_cbranch_execz .LBB17_25
; %bb.24:
	flat_load_dwordx2 v[0:1], v[4:5]
                                        ; implicit-def: $vgpr4_vgpr5
	s_waitcnt vmcnt(0) lgkmcnt(0)
	v_cvt_f32_f64_e32 v0, v[0:1]
.LBB17_25:
	s_andn2_saveexec_b64 s[14:15], s[14:15]
	s_cbranch_execz .LBB17_27
; %bb.26:
	flat_load_dword v0, v[4:5]
.LBB17_27:
	s_or_b64 exec, exec, s[14:15]
                                        ; implicit-def: $vgpr4_vgpr5
.LBB17_28:
	s_andn2_saveexec_b64 s[12:13], s[12:13]
	s_cbranch_execz .LBB17_30
; %bb.29:
	s_waitcnt vmcnt(0) lgkmcnt(0)
	flat_load_ushort v0, v[4:5]
	s_waitcnt vmcnt(0) lgkmcnt(0)
	v_cvt_f32_f16_e32 v0, v0
.LBB17_30:
	s_or_b64 exec, exec, s[12:13]
	v_mov_b32_e32 v1, 0
.LBB17_31:
	s_or_b64 exec, exec, s[10:11]
                                        ; implicit-def: $vgpr3
                                        ; implicit-def: $vgpr4_vgpr5
.LBB17_32:
	s_andn2_saveexec_b64 s[8:9], s[8:9]
	s_cbranch_execz .LBB17_50
; %bb.33:
	s_waitcnt vmcnt(0) lgkmcnt(0)
	v_mov_b32_e32 v0, 1
	v_cmp_gt_i16_sdwa s[10:11], v3, v0 src0_sel:BYTE_0 src1_sel:DWORD
                                        ; implicit-def: $vgpr0
	s_and_saveexec_b64 s[12:13], s[10:11]
	s_xor_b64 s[10:11], exec, s[12:13]
	s_cbranch_execz .LBB17_43
; %bb.34:
	v_mov_b32_e32 v0, 2
	v_cmp_gt_i16_sdwa s[12:13], v3, v0 src0_sel:BYTE_0 src1_sel:DWORD
                                        ; implicit-def: $vgpr0
	s_and_saveexec_b64 s[14:15], s[12:13]
	s_xor_b64 s[12:13], exec, s[14:15]
	s_cbranch_execz .LBB17_40
; %bb.35:
	;; [unrolled: 7-line block ×3, first 2 shown]
	flat_load_dwordx2 v[0:1], v[4:5]
                                        ; implicit-def: $vgpr4_vgpr5
	s_waitcnt vmcnt(0) lgkmcnt(0)
	v_xor_b32_e32 v3, v0, v1
	v_ffbh_i32_e32 v2, v1
	v_ashrrev_i32_e32 v3, 31, v3
	v_add_u32_e32 v2, -1, v2
	v_add_u32_e32 v3, 32, v3
	v_min_u32_e32 v2, v2, v3
	v_lshlrev_b64 v[0:1], v2, v[0:1]
	v_min_u32_e32 v0, 1, v0
	v_or_b32_e32 v0, v1, v0
	v_cvt_f32_i32_e32 v0, v0
	v_sub_u32_e32 v1, 32, v2
	v_ldexp_f32 v0, v0, v1
.LBB17_37:
	s_andn2_saveexec_b64 s[14:15], s[14:15]
	s_cbranch_execz .LBB17_39
; %bb.38:
	flat_load_dword v0, v[4:5]
	s_waitcnt vmcnt(0) lgkmcnt(0)
	v_cvt_f32_i32_e32 v0, v0
.LBB17_39:
	s_or_b64 exec, exec, s[14:15]
                                        ; implicit-def: $vgpr4_vgpr5
.LBB17_40:
	s_andn2_saveexec_b64 s[12:13], s[12:13]
	s_cbranch_execz .LBB17_42
; %bb.41:
	flat_load_sshort v0, v[4:5]
	s_waitcnt vmcnt(0) lgkmcnt(0)
	v_cvt_f32_i32_e32 v0, v0
.LBB17_42:
	s_or_b64 exec, exec, s[12:13]
                                        ; implicit-def: $vgpr4_vgpr5
                                        ; implicit-def: $vgpr3
.LBB17_43:
	s_andn2_saveexec_b64 s[10:11], s[10:11]
	s_cbranch_execz .LBB17_49
; %bb.44:
	v_mov_b32_e32 v0, 0
	v_cmp_gt_i16_sdwa s[12:13], v3, v0 src0_sel:BYTE_0 src1_sel:DWORD
                                        ; implicit-def: $vgpr0
	s_and_saveexec_b64 s[14:15], s[12:13]
	s_xor_b64 s[12:13], exec, s[14:15]
	s_cbranch_execz .LBB17_46
; %bb.45:
	flat_load_sbyte v0, v[4:5]
                                        ; implicit-def: $vgpr4_vgpr5
	s_waitcnt vmcnt(0) lgkmcnt(0)
	v_cvt_f32_i32_e32 v0, v0
.LBB17_46:
	s_andn2_saveexec_b64 s[12:13], s[12:13]
	s_cbranch_execz .LBB17_48
; %bb.47:
	flat_load_ubyte v0, v[4:5]
	s_waitcnt vmcnt(0) lgkmcnt(0)
	v_cvt_f32_ubyte0_e32 v0, v0
.LBB17_48:
	s_or_b64 exec, exec, s[12:13]
.LBB17_49:
	s_or_b64 exec, exec, s[10:11]
	v_mov_b32_e32 v1, 0
.LBB17_50:
	s_or_b64 exec, exec, s[8:9]
	s_or_b64 s[6:7], s[6:7], exec
	s_or_b64 exec, exec, s[4:5]
	s_and_saveexec_b64 s[8:9], s[6:7]
	s_cbranch_execz .LBB17_3
.LBB17_51:
	s_waitcnt vmcnt(0) lgkmcnt(0)
	v_cmp_o_f32_e32 vcc, v1, v0
	s_and_saveexec_b64 s[4:5], vcc
	s_xor_b64 s[10:11], exec, s[4:5]
	s_cbranch_execz .LBB17_135
; %bb.52:
	v_max_f32_e64 v5, |v1|, |v1|
	v_max_f32_e64 v2, |v0|, |v0|
	v_max_f32_e32 v4, v2, v5
	s_mov_b32 s4, 0x4b000000
	v_cmp_nlt_f32_e32 vcc, s4, v4
	s_and_saveexec_b64 s[4:5], vcc
	s_xor_b64 s[6:7], exec, s[4:5]
	s_cbranch_execz .LBB17_112
; %bb.53:
	v_cmp_neq_f32_e32 vcc, 0, v1
	v_cmp_neq_f32_e64 s[4:5], 0, v0
	s_or_b64 s[4:5], vcc, s[4:5]
	s_and_saveexec_b64 s[12:13], s[4:5]
	s_cbranch_execz .LBB17_111
; %bb.54:
	s_mov_b64 s[4:5], src_private_base
	s_lshr_b32 s4, s32, 6
	v_mov_b32_e32 v2, s4
	v_mov_b32_e32 v4, 0xd800000
	;; [unrolled: 1-line block ×3, first 2 shown]
	flat_store_dword v[2:3], v4
	s_waitcnt vmcnt(0)
	flat_load_dword v2, v[2:3] glc
	s_waitcnt vmcnt(0)
	s_lshr_b32 s4, s32, 6
	s_add_i32 s4, s4, 4
	s_mov_b32 s14, 0x395db3d7
	s_waitcnt lgkmcnt(0)
	v_add_f32_e32 v4, 1.0, v2
	v_mov_b32_e32 v2, s4
	v_mov_b32_e32 v3, s5
	flat_store_dword v[2:3], v4
	s_waitcnt vmcnt(0)
	flat_load_dword v2, v[2:3] glc
	s_waitcnt vmcnt(0)
	v_cmp_nlt_f32_e64 s[4:5], |v1|, s14
	v_cmp_nlt_f32_e64 s[14:15], |v0|, s14
	s_or_b64 s[4:5], s[14:15], s[4:5]
	s_and_saveexec_b64 s[14:15], s[4:5]
	s_cbranch_execz .LBB17_110
; %bb.55:
	v_add_f32_e64 v4, |v0|, 1.0
	s_waitcnt lgkmcnt(0)
	v_max_f32_e32 v2, v5, v4
	v_add_f32_e64 v3, |v0|, -1.0
	v_cvt_f64_f32_e32 v[6:7], v2
	v_max_f32_e64 v5, v5, |v3|
	v_cvt_f64_f32_e32 v[8:9], v5
	s_mov_b32 s18, 0x7f800000
	v_frexp_exp_i32_f64_e32 v6, v[6:7]
	v_cmp_neq_f32_e32 vcc, s18, v2
	v_frexp_exp_i32_f64_e32 v8, v[8:9]
	v_mov_b32_e32 v9, 0x7f800000
	s_mov_b32 s4, 0x41200000
	v_sub_u32_e32 v7, 0, v6
	v_ldexp_f32 v11, |v1|, v7
	v_sub_u32_e32 v10, 0, v8
	v_ldexp_f32 v7, v4, v7
	v_ldexp_f32 v12, |v1|, v10
	v_ldexp_f32 v10, |v3|, v10
	v_mul_f32_e32 v7, v7, v7
	v_fmac_f32_e32 v7, v11, v11
	v_mul_f32_e32 v10, v10, v10
	v_sqrt_f32_e32 v7, v7
	v_fmac_f32_e32 v10, v12, v12
	v_sqrt_f32_e32 v10, v10
	v_ldexp_f32 v6, v7, v6
	v_cndmask_b32_e32 v7, v9, v6, vcc
	v_ldexp_f32 v2, v10, v8
	v_cmp_neq_f32_e32 vcc, s18, v5
	v_cndmask_b32_e32 v5, v9, v2, vcc
	v_add_f32_e32 v2, v7, v5
	v_mul_f32_e32 v2, 0.5, v2
	v_cmp_ngt_f32_e32 vcc, 1.0, v2
	v_cndmask_b32_e32 v2, 1.0, v2, vcc
	v_cmp_ngt_f32_e32 vcc, s4, v2
                                        ; implicit-def: $vgpr8
	s_and_saveexec_b64 s[4:5], vcc
	s_xor_b64 s[16:17], exec, s[4:5]
	s_cbranch_execz .LBB17_57
; %bb.56:
	v_fma_f32 v6, v2, v2, -1.0
	s_mov_b32 s4, 0xf800000
	v_mul_f32_e32 v8, 0x4f800000, v6
	v_cmp_gt_f32_e32 vcc, s4, v6
	v_cndmask_b32_e32 v6, v6, v8, vcc
	v_sqrt_f32_e32 v8, v6
	v_add_u32_e32 v9, -1, v8
	v_fma_f32 v10, -v9, v8, v6
	v_cmp_ge_f32_e64 s[4:5], 0, v10
	v_add_u32_e32 v10, 1, v8
	v_cndmask_b32_e64 v9, v8, v9, s[4:5]
	v_fma_f32 v8, -v10, v8, v6
	v_cmp_lt_f32_e64 s[4:5], 0, v8
	v_cndmask_b32_e64 v8, v9, v10, s[4:5]
	v_mul_f32_e32 v9, 0x37800000, v8
	v_cndmask_b32_e32 v8, v8, v9, vcc
	v_mov_b32_e32 v9, 0x260
	v_cmp_class_f32_e32 vcc, v6, v9
	v_cndmask_b32_e32 v6, v8, v6, vcc
	v_add_f32_e32 v6, v2, v6
	s_mov_b32 s4, 0x800000
	v_cmp_gt_f32_e32 vcc, s4, v6
	v_cndmask_b32_e64 v8, 0, 32, vcc
	v_ldexp_f32 v6, v6, v8
	v_log_f32_e32 v6, v6
	s_mov_b32 s4, 0x3f317217
	v_mul_f32_e32 v8, 0x3f317217, v6
	v_fma_f32 v8, v6, s4, -v8
	v_fmac_f32_e32 v8, 0x3377d1cf, v6
	v_fmac_f32_e32 v8, 0x3f317217, v6
	v_cmp_lt_f32_e64 s[4:5], |v6|, s18
	v_cndmask_b32_e64 v6, v6, v8, s[4:5]
	v_mov_b32_e32 v8, 0x41b17218
	v_cndmask_b32_e32 v8, 0, v8, vcc
	v_sub_f32_e32 v8, v6, v8
.LBB17_57:
	s_or_saveexec_b64 s[16:17], s[16:17]
	v_and_b32_e32 v6, 0x7fffffff, v1
	s_xor_b64 exec, exec, s[16:17]
	s_cbranch_execz .LBB17_79
; %bb.58:
	s_mov_b32 s18, 0x25000000
	v_cmp_neq_f32_e64 s[4:5], |v0|, 1.0
	v_cmp_nlt_f32_e64 s[18:19], |v1|, s18
	s_or_b64 s[4:5], s[4:5], s[18:19]
                                        ; implicit-def: $vgpr8
	s_and_saveexec_b64 s[18:19], s[4:5]
	s_xor_b64 s[18:19], exec, s[18:19]
	s_cbranch_execz .LBB17_76
; %bb.59:
	s_brev_b32 s4, 44
	v_mul_f32_e64 v8, |v3|, s4
	v_cmp_ge_f32_e64 s[4:5], |v1|, v8
                                        ; implicit-def: $vgpr8
	s_and_saveexec_b64 s[20:21], s[4:5]
	s_xor_b64 s[20:21], exec, s[20:21]
	s_cbranch_execz .LBB17_69
; %bb.60:
	v_cmp_neq_f32_e32 vcc, 0, v4
	v_mov_b32_e32 v8, v6
	s_and_saveexec_b64 s[4:5], vcc
	s_cbranch_execz .LBB17_62
; %bb.61:
	v_mul_f32_e32 v8, v1, v1
	v_add_f32_e32 v9, v4, v7
	v_div_scale_f32 v10, s[22:23], v9, v9, v8
	v_div_scale_f32 v11, vcc, v8, v9, v8
	v_rcp_f32_e32 v12, v10
	v_fma_f32 v13, -v10, v12, 1.0
	v_fmac_f32_e32 v12, v13, v12
	v_mul_f32_e32 v13, v11, v12
	v_fma_f32 v14, -v10, v13, v11
	v_fmac_f32_e32 v13, v14, v12
	v_fma_f32 v10, -v10, v13, v11
	v_div_fmas_f32 v10, v10, v12, v13
	v_div_fixup_f32 v8, v10, v9, v8
.LBB17_62:
	s_or_b64 exec, exec, s[4:5]
	v_sub_f32_e64 v10, 1.0, |v0|
	v_cmp_ngt_f32_e32 vcc, 0, v10
                                        ; implicit-def: $vgpr9
	s_and_saveexec_b64 s[4:5], vcc
	s_xor_b64 s[4:5], exec, s[4:5]
	s_cbranch_execz .LBB17_66
; %bb.63:
	v_cmp_neq_f32_e32 vcc, 0, v10
	v_mov_b32_e32 v9, v6
	s_and_saveexec_b64 s[22:23], vcc
	s_cbranch_execz .LBB17_65
; %bb.64:
	v_mul_f32_e32 v9, v1, v1
	v_add_f32_e32 v10, v10, v5
	v_div_scale_f32 v11, s[24:25], v10, v10, v9
	v_div_scale_f32 v12, vcc, v9, v10, v9
	v_rcp_f32_e32 v13, v11
	v_fma_f32 v14, -v11, v13, 1.0
	v_fmac_f32_e32 v13, v14, v13
	v_mul_f32_e32 v14, v12, v13
	v_fma_f32 v15, -v11, v14, v12
	v_fmac_f32_e32 v14, v15, v13
	v_fma_f32 v11, -v11, v14, v12
	v_div_fmas_f32 v11, v11, v13, v14
	v_div_fixup_f32 v9, v11, v10, v9
.LBB17_65:
	s_or_b64 exec, exec, s[22:23]
                                        ; implicit-def: $vgpr10
.LBB17_66:
	s_andn2_saveexec_b64 s[4:5], s[4:5]
; %bb.67:
	v_sub_f32_e32 v9, v5, v10
; %bb.68:
	s_or_b64 exec, exec, s[4:5]
	v_mul_f32_e32 v9, 0.5, v9
	v_fmac_f32_e32 v9, 0.5, v8
	v_add_f32_e32 v8, 1.0, v2
	v_mul_f32_e32 v8, v8, v9
	s_mov_b32 s4, 0xf800000
	v_mul_f32_e32 v10, 0x4f800000, v8
	v_cmp_gt_f32_e32 vcc, s4, v8
	v_cndmask_b32_e32 v8, v8, v10, vcc
	v_sqrt_f32_e32 v10, v8
	v_add_u32_e32 v11, -1, v10
	v_fma_f32 v12, -v11, v10, v8
	v_cmp_ge_f32_e64 s[4:5], 0, v12
	v_add_u32_e32 v12, 1, v10
	v_cndmask_b32_e64 v11, v10, v11, s[4:5]
	v_fma_f32 v10, -v12, v10, v8
	v_cmp_lt_f32_e64 s[4:5], 0, v10
	v_cndmask_b32_e64 v10, v11, v12, s[4:5]
	v_mul_f32_e32 v11, 0x37800000, v10
	v_cndmask_b32_e32 v10, v10, v11, vcc
	v_mov_b32_e32 v11, 0x260
	v_cmp_class_f32_e32 vcc, v8, v11
	v_cndmask_b32_e32 v8, v10, v8, vcc
	v_add_f32_e32 v8, v9, v8
	v_add_f32_e32 v11, 1.0, v8
	v_cvt_f64_f32_e32 v[9:10], v11
	v_add_f32_e32 v12, -1.0, v11
	v_sub_f32_e32 v13, v12, v11
	v_sub_f32_e32 v12, v8, v12
	v_frexp_exp_i32_f64_e32 v9, v[9:10]
	v_add_f32_e32 v10, 1.0, v13
	v_add_f32_e32 v10, v12, v10
	v_frexp_mant_f32_e32 v12, v11
	s_mov_b32 s4, 0x3f2aaaab
	v_cmp_gt_f32_e32 vcc, s4, v12
	s_mov_b32 s4, 0x3f317218
	v_subbrev_co_u32_e32 v9, vcc, 0, v9, vcc
	v_sub_u32_e32 v12, 0, v9
	v_ldexp_f32 v11, v11, v12
	v_ldexp_f32 v10, v10, v12
	v_add_f32_e32 v12, -1.0, v11
	v_add_f32_e32 v15, 1.0, v11
	v_add_f32_e32 v13, 1.0, v12
	v_add_f32_e32 v16, -1.0, v15
	v_sub_f32_e32 v13, v11, v13
	v_sub_f32_e32 v11, v11, v16
	v_add_f32_e32 v13, v10, v13
	v_add_f32_e32 v10, v10, v11
	;; [unrolled: 1-line block ×3, first 2 shown]
	v_rcp_f32_e32 v16, v11
	v_add_f32_e32 v14, v12, v13
	v_sub_f32_e32 v12, v14, v12
	v_sub_f32_e32 v12, v13, v12
	;; [unrolled: 1-line block ×4, first 2 shown]
	v_mul_f32_e32 v13, v14, v16
	v_mul_f32_e32 v15, v11, v13
	v_fma_f32 v17, v13, v11, -v15
	v_fmac_f32_e32 v17, v13, v10
	v_add_f32_e32 v18, v15, v17
	v_sub_f32_e32 v19, v14, v18
	v_sub_f32_e32 v14, v14, v19
	;; [unrolled: 1-line block ×4, first 2 shown]
	v_add_f32_e32 v12, v12, v14
	v_sub_f32_e32 v14, v15, v17
	v_add_f32_e32 v12, v14, v12
	v_add_f32_e32 v14, v19, v12
	v_mul_f32_e32 v15, v16, v14
	v_mul_f32_e32 v17, v11, v15
	v_fma_f32 v11, v15, v11, -v17
	v_fmac_f32_e32 v11, v15, v10
	v_sub_f32_e32 v10, v19, v14
	v_add_f32_e32 v10, v12, v10
	v_add_f32_e32 v12, v17, v11
	v_sub_f32_e32 v18, v14, v12
	v_sub_f32_e32 v14, v14, v18
	;; [unrolled: 1-line block ×4, first 2 shown]
	v_add_f32_e32 v10, v10, v12
	v_sub_f32_e32 v11, v17, v11
	v_add_f32_e32 v10, v11, v10
	v_add_f32_e32 v11, v13, v15
	;; [unrolled: 1-line block ×3, first 2 shown]
	v_sub_f32_e32 v12, v11, v13
	v_mul_f32_e32 v10, v16, v10
	v_sub_f32_e32 v12, v15, v12
	v_add_f32_e32 v10, v12, v10
	v_cvt_f32_i32_e32 v9, v9
	v_add_f32_e32 v12, v11, v10
	v_mul_f32_e32 v13, v12, v12
	v_mov_b32_e32 v14, 0x3ecc95a3
	v_fmac_f32_e32 v14, 0x3e9b6dac, v13
	v_mov_b32_e32 v15, 0x3f2aaada
	v_fmac_f32_e32 v15, v13, v14
	v_mul_f32_e32 v14, 0x3f317218, v9
	v_fma_f32 v16, v9, s4, -v14
	v_fmac_f32_e32 v16, 0xb102e308, v9
	v_sub_f32_e32 v9, v12, v11
	v_sub_f32_e32 v9, v10, v9
	v_add_f32_e32 v10, v14, v16
	v_sub_f32_e32 v11, v10, v14
	v_ldexp_f32 v14, v12, 1
	v_mul_f32_e32 v12, v12, v13
	v_mul_f32_e32 v12, v12, v15
	v_add_f32_e32 v13, v14, v12
	v_sub_f32_e32 v14, v13, v14
	v_ldexp_f32 v9, v9, 1
	v_sub_f32_e32 v12, v12, v14
	v_add_f32_e32 v9, v9, v12
	v_add_f32_e32 v12, v13, v9
	v_sub_f32_e32 v13, v12, v13
	v_sub_f32_e32 v9, v9, v13
	v_add_f32_e32 v13, v10, v12
	v_sub_f32_e32 v14, v13, v10
	v_sub_f32_e32 v15, v13, v14
	;; [unrolled: 1-line block ×5, first 2 shown]
	v_add_f32_e32 v10, v12, v10
	v_add_f32_e32 v12, v11, v9
	v_sub_f32_e32 v14, v12, v11
	v_sub_f32_e32 v15, v12, v14
	;; [unrolled: 1-line block ×4, first 2 shown]
	v_add_f32_e32 v10, v12, v10
	v_add_f32_e32 v9, v9, v11
	;; [unrolled: 1-line block ×3, first 2 shown]
	v_sub_f32_e32 v12, v11, v13
	v_sub_f32_e32 v10, v10, v12
	v_add_f32_e32 v9, v9, v10
	s_mov_b32 s4, 0x7f800000
	v_add_f32_e32 v9, v11, v9
	v_mov_b32_e32 v10, 0x7f800000
	v_cmp_neq_f32_e32 vcc, s4, v8
	v_cndmask_b32_e32 v9, v10, v9, vcc
	v_mov_b32_e32 v10, 0x7fc00000
	v_cmp_ngt_f32_e32 vcc, -1.0, v8
	v_cndmask_b32_e32 v9, v10, v9, vcc
	v_mov_b32_e32 v10, 0xff800000
	v_cmp_neq_f32_e32 vcc, -1.0, v8
	s_mov_b32 s4, 0x33800000
	v_cndmask_b32_e32 v9, v10, v9, vcc
	v_cmp_lt_f32_e64 vcc, |v8|, s4
	v_cndmask_b32_e32 v8, v9, v8, vcc
.LBB17_69:
	s_andn2_saveexec_b64 s[20:21], s[20:21]
	s_cbranch_execz .LBB17_75
; %bb.70:
	v_cmp_nlt_f32_e64 s[4:5], |v0|, 1.0
                                        ; implicit-def: $vgpr8
	s_and_saveexec_b64 s[22:23], s[4:5]
	s_xor_b64 s[22:23], exec, s[22:23]
	s_cbranch_execz .LBB17_72
; %bb.71:
	v_mul_f32_e32 v8, v3, v4
	s_mov_b32 s4, 0xf800000
	v_mul_f32_e32 v9, 0x4f800000, v8
	v_cmp_gt_f32_e32 vcc, s4, v8
	v_cndmask_b32_e32 v8, v8, v9, vcc
	v_sqrt_f32_e32 v9, v8
	v_add_u32_e32 v10, -1, v9
	v_fma_f32 v11, -v10, v9, v8
	v_cmp_ge_f32_e64 s[4:5], 0, v11
	v_add_u32_e32 v11, 1, v9
	v_cndmask_b32_e64 v10, v9, v10, s[4:5]
	v_fma_f32 v9, -v11, v9, v8
	v_cmp_lt_f32_e64 s[4:5], 0, v9
	v_cndmask_b32_e64 v9, v10, v11, s[4:5]
	v_mul_f32_e32 v10, 0x37800000, v9
	v_cndmask_b32_e32 v9, v9, v10, vcc
	v_mov_b32_e32 v10, 0x260
	v_cmp_class_f32_e32 vcc, v8, v10
	v_cndmask_b32_e32 v8, v9, v8, vcc
	v_add_f32_e32 v8, v3, v8
	v_add_f32_e32 v11, 1.0, v8
	v_cvt_f64_f32_e32 v[9:10], v11
	v_add_f32_e32 v12, -1.0, v11
	v_sub_f32_e32 v13, v12, v11
	v_sub_f32_e32 v12, v8, v12
	v_frexp_exp_i32_f64_e32 v9, v[9:10]
	v_add_f32_e32 v10, 1.0, v13
	v_add_f32_e32 v10, v12, v10
	v_frexp_mant_f32_e32 v12, v11
	s_mov_b32 s4, 0x3f2aaaab
	v_cmp_gt_f32_e32 vcc, s4, v12
	s_mov_b32 s4, 0x3f317218
	v_subbrev_co_u32_e32 v9, vcc, 0, v9, vcc
	v_sub_u32_e32 v12, 0, v9
	v_ldexp_f32 v11, v11, v12
	v_ldexp_f32 v10, v10, v12
	v_add_f32_e32 v12, -1.0, v11
	v_add_f32_e32 v15, 1.0, v11
	v_add_f32_e32 v13, 1.0, v12
	v_add_f32_e32 v16, -1.0, v15
	v_sub_f32_e32 v13, v11, v13
	v_sub_f32_e32 v11, v11, v16
	v_add_f32_e32 v13, v10, v13
	v_add_f32_e32 v10, v10, v11
	;; [unrolled: 1-line block ×3, first 2 shown]
	v_rcp_f32_e32 v16, v11
	v_add_f32_e32 v14, v12, v13
	v_sub_f32_e32 v12, v14, v12
	v_sub_f32_e32 v12, v13, v12
	;; [unrolled: 1-line block ×4, first 2 shown]
	v_mul_f32_e32 v13, v14, v16
	v_mul_f32_e32 v15, v11, v13
	v_fma_f32 v17, v13, v11, -v15
	v_fmac_f32_e32 v17, v13, v10
	v_add_f32_e32 v18, v15, v17
	v_sub_f32_e32 v19, v14, v18
	v_sub_f32_e32 v14, v14, v19
	;; [unrolled: 1-line block ×4, first 2 shown]
	v_add_f32_e32 v12, v12, v14
	v_sub_f32_e32 v14, v15, v17
	v_add_f32_e32 v12, v14, v12
	v_add_f32_e32 v14, v19, v12
	v_mul_f32_e32 v15, v16, v14
	v_mul_f32_e32 v17, v11, v15
	v_fma_f32 v11, v15, v11, -v17
	v_fmac_f32_e32 v11, v15, v10
	v_sub_f32_e32 v10, v19, v14
	v_add_f32_e32 v10, v12, v10
	v_add_f32_e32 v12, v17, v11
	v_sub_f32_e32 v18, v14, v12
	v_sub_f32_e32 v14, v14, v18
	;; [unrolled: 1-line block ×4, first 2 shown]
	v_add_f32_e32 v10, v10, v12
	v_sub_f32_e32 v11, v17, v11
	v_add_f32_e32 v10, v11, v10
	v_add_f32_e32 v11, v13, v15
	;; [unrolled: 1-line block ×3, first 2 shown]
	v_sub_f32_e32 v12, v11, v13
	v_mul_f32_e32 v10, v16, v10
	v_sub_f32_e32 v12, v15, v12
	v_add_f32_e32 v10, v12, v10
	v_cvt_f32_i32_e32 v9, v9
	v_add_f32_e32 v12, v11, v10
	v_mul_f32_e32 v13, v12, v12
	v_mov_b32_e32 v14, 0x3ecc95a3
	v_fmac_f32_e32 v14, 0x3e9b6dac, v13
	v_mov_b32_e32 v15, 0x3f2aaada
	v_fmac_f32_e32 v15, v13, v14
	v_mul_f32_e32 v14, 0x3f317218, v9
	v_fma_f32 v16, v9, s4, -v14
	v_fmac_f32_e32 v16, 0xb102e308, v9
	v_sub_f32_e32 v9, v12, v11
	v_sub_f32_e32 v9, v10, v9
	v_add_f32_e32 v10, v14, v16
	v_sub_f32_e32 v11, v10, v14
	v_ldexp_f32 v14, v12, 1
	v_mul_f32_e32 v12, v12, v13
	v_mul_f32_e32 v12, v12, v15
	v_add_f32_e32 v13, v14, v12
	v_sub_f32_e32 v14, v13, v14
	v_ldexp_f32 v9, v9, 1
	v_sub_f32_e32 v12, v12, v14
	v_add_f32_e32 v9, v9, v12
	v_add_f32_e32 v12, v13, v9
	v_sub_f32_e32 v13, v12, v13
	v_sub_f32_e32 v9, v9, v13
	v_add_f32_e32 v13, v10, v12
	v_sub_f32_e32 v14, v13, v10
	v_sub_f32_e32 v15, v13, v14
	;; [unrolled: 1-line block ×5, first 2 shown]
	v_add_f32_e32 v10, v12, v10
	v_add_f32_e32 v12, v11, v9
	v_sub_f32_e32 v14, v12, v11
	v_sub_f32_e32 v15, v12, v14
	;; [unrolled: 1-line block ×4, first 2 shown]
	v_add_f32_e32 v10, v12, v10
	v_add_f32_e32 v9, v9, v11
	;; [unrolled: 1-line block ×3, first 2 shown]
	v_sub_f32_e32 v12, v11, v13
	v_sub_f32_e32 v10, v10, v12
	v_add_f32_e32 v9, v9, v10
	s_mov_b32 s4, 0x7f800000
	v_add_f32_e32 v9, v11, v9
	v_mov_b32_e32 v10, 0x7f800000
	v_cmp_neq_f32_e32 vcc, s4, v8
	v_cndmask_b32_e32 v9, v10, v9, vcc
	v_mov_b32_e32 v10, 0x7fc00000
	v_cmp_ngt_f32_e32 vcc, -1.0, v8
	v_cndmask_b32_e32 v9, v10, v9, vcc
	v_mov_b32_e32 v10, 0xff800000
	v_cmp_neq_f32_e32 vcc, -1.0, v8
	s_mov_b32 s4, 0x33800000
	v_cndmask_b32_e32 v9, v10, v9, vcc
	v_cmp_lt_f32_e64 vcc, |v8|, s4
	v_cndmask_b32_e32 v8, v9, v8, vcc
.LBB17_72:
	s_andn2_saveexec_b64 s[22:23], s[22:23]
	s_cbranch_execz .LBB17_74
; %bb.73:
	v_sub_f32_e64 v8, 1.0, |v0|
	v_mul_f32_e32 v8, v8, v4
	s_mov_b32 s4, 0xf800000
	v_mul_f32_e32 v9, 0x4f800000, v8
	v_cmp_gt_f32_e32 vcc, s4, v8
	v_cndmask_b32_e32 v8, v8, v9, vcc
	v_sqrt_f32_e32 v9, v8
	v_add_u32_e32 v10, -1, v9
	v_fma_f32 v11, -v10, v9, v8
	v_cmp_ge_f32_e64 s[4:5], 0, v11
	v_add_u32_e32 v11, 1, v9
	v_cndmask_b32_e64 v10, v9, v10, s[4:5]
	v_fma_f32 v9, -v11, v9, v8
	v_cmp_lt_f32_e64 s[4:5], 0, v9
	v_cndmask_b32_e64 v9, v10, v11, s[4:5]
	v_mul_f32_e32 v10, 0x37800000, v9
	v_cndmask_b32_e32 v9, v9, v10, vcc
	v_mov_b32_e32 v10, 0x260
	v_cmp_class_f32_e32 vcc, v8, v10
	v_cndmask_b32_e32 v8, v9, v8, vcc
	v_and_b32_e32 v9, 0x7fffffff, v1
	v_div_scale_f32 v10, s[4:5], v8, v8, v9
	v_div_scale_f32 v9, vcc, v9, v8, v9
	v_rcp_f32_e32 v11, v10
	v_fma_f32 v12, -v10, v11, 1.0
	v_fmac_f32_e32 v11, v12, v11
	v_mul_f32_e32 v12, v9, v11
	v_fma_f32 v13, -v10, v12, v9
	v_fmac_f32_e32 v12, v13, v11
	v_fma_f32 v9, -v10, v12, v9
	v_div_fmas_f32 v9, v9, v11, v12
	v_div_fixup_f32 v8, v9, v8, |v1|
.LBB17_74:
	s_or_b64 exec, exec, s[22:23]
.LBB17_75:
	s_or_b64 exec, exec, s[20:21]
.LBB17_76:
	s_andn2_saveexec_b64 s[18:19], s[18:19]
	s_cbranch_execz .LBB17_78
; %bb.77:
	s_mov_b32 s4, 0xf800000
	s_mov_b32 s5, 0x4f800000
	v_mul_f32_e64 v8, |v1|, s5
	v_cmp_lt_f32_e64 vcc, |v1|, s4
	v_cndmask_b32_e64 v8, |v1|, v8, vcc
	v_sqrt_f32_e32 v9, v8
	v_add_u32_e32 v10, -1, v9
	v_fma_f32 v11, -v10, v9, v8
	v_cmp_ge_f32_e64 s[4:5], 0, v11
	v_add_u32_e32 v11, 1, v9
	v_cndmask_b32_e64 v10, v9, v10, s[4:5]
	v_fma_f32 v9, -v11, v9, v8
	v_cmp_lt_f32_e64 s[4:5], 0, v9
	v_cndmask_b32_e64 v9, v10, v11, s[4:5]
	v_mul_f32_e32 v10, 0x37800000, v9
	v_cndmask_b32_e32 v9, v9, v10, vcc
	v_mov_b32_e32 v10, 0x260
	v_cmp_class_f32_e32 vcc, v8, v10
	v_cndmask_b32_e32 v8, v9, v8, vcc
.LBB17_78:
	s_or_b64 exec, exec, s[18:19]
.LBB17_79:
	s_or_b64 exec, exec, s[16:17]
	s_mov_b32 s4, 0x21000000
	v_cmp_nlt_f32_e64 s[16:17], |v0|, s4
                                        ; implicit-def: $sgpr4_sgpr5
                                        ; implicit-def: $vgpr9
                                        ; implicit-def: $vgpr11
                                        ; implicit-def: $vgpr10
	s_and_saveexec_b64 s[18:19], s[16:17]
	s_xor_b64 s[16:17], exec, s[18:19]
	s_cbranch_execz .LBB17_103
; %bb.80:
	v_and_b32_e32 v10, 0x7fffffff, v0
	v_div_scale_f32 v9, s[4:5], v2, v2, v10
	v_div_scale_f32 v11, vcc, v10, v2, v10
	s_mov_b32 s4, 0x3f244674
	v_rcp_f32_e32 v12, v9
	v_fma_f32 v13, -v9, v12, 1.0
	v_fmac_f32_e32 v12, v13, v12
	v_mul_f32_e32 v13, v11, v12
	v_fma_f32 v14, -v9, v13, v11
	v_fmac_f32_e32 v13, v14, v12
	v_fma_f32 v9, -v9, v13, v11
	v_div_fmas_f32 v9, v9, v12, v13
                                        ; implicit-def: $vgpr11
	v_div_fixup_f32 v9, v9, v2, |v0|
	v_cmp_lt_f32_e32 vcc, s4, v9
	s_mov_b64 s[4:5], 0
	s_and_saveexec_b64 s[18:19], vcc
	s_cbranch_execz .LBB17_102
; %bb.81:
	s_mov_b32 s20, 0x30800000
	v_cmp_neq_f32_e64 s[4:5], |v0|, 1.0
	v_cmp_nlt_f32_e64 s[20:21], |v1|, s20
	s_or_b64 s[4:5], s[4:5], s[20:21]
                                        ; implicit-def: $vgpr11
	s_and_saveexec_b64 s[20:21], s[4:5]
	s_xor_b64 s[20:21], exec, s[20:21]
	s_cbranch_execz .LBB17_99
; %bb.82:
	s_brev_b32 s4, 44
	v_mul_f32_e64 v11, |v3|, s4
	v_cmp_ge_f32_e64 s[4:5], |v1|, v11
                                        ; implicit-def: $vgpr11
	s_and_saveexec_b64 s[22:23], s[4:5]
	s_xor_b64 s[22:23], exec, s[22:23]
	s_cbranch_execz .LBB17_92
; %bb.83:
	v_cmp_neq_f32_e32 vcc, 0, v4
	v_mov_b32_e32 v11, v6
	s_and_saveexec_b64 s[4:5], vcc
	s_cbranch_execz .LBB17_85
; %bb.84:
	v_mul_f32_e32 v11, v1, v1
	v_add_f32_e32 v4, v4, v7
	v_div_scale_f32 v7, s[24:25], v4, v4, v11
	v_div_scale_f32 v12, vcc, v11, v4, v11
	v_rcp_f32_e32 v13, v7
	v_fma_f32 v14, -v7, v13, 1.0
	v_fmac_f32_e32 v13, v14, v13
	v_mul_f32_e32 v14, v12, v13
	v_fma_f32 v15, -v7, v14, v12
	v_fmac_f32_e32 v14, v15, v13
	v_fma_f32 v7, -v7, v14, v12
	v_div_fmas_f32 v7, v7, v13, v14
	v_div_fixup_f32 v11, v7, v4, v11
.LBB17_85:
	s_or_b64 exec, exec, s[4:5]
	v_cmp_ngt_f32_e32 vcc, 0, v3
	s_and_saveexec_b64 s[4:5], vcc
	s_xor_b64 s[4:5], exec, s[4:5]
	s_cbranch_execz .LBB17_89
; %bb.86:
	v_cmp_neq_f32_e32 vcc, 0, v3
	s_and_saveexec_b64 s[24:25], vcc
	s_cbranch_execz .LBB17_88
; %bb.87:
	v_mul_f32_e32 v4, v1, v1
	v_add_f32_e32 v3, v3, v5
	v_div_scale_f32 v5, s[26:27], v3, v3, v4
	v_div_scale_f32 v6, vcc, v4, v3, v4
	v_rcp_f32_e32 v7, v5
	v_fma_f32 v12, -v5, v7, 1.0
	v_fmac_f32_e32 v7, v12, v7
	v_mul_f32_e32 v12, v6, v7
	v_fma_f32 v13, -v5, v12, v6
	v_fmac_f32_e32 v12, v13, v7
	v_fma_f32 v5, -v5, v12, v6
	v_div_fmas_f32 v5, v5, v7, v12
	v_div_fixup_f32 v6, v5, v3, v4
.LBB17_88:
	s_or_b64 exec, exec, s[24:25]
                                        ; implicit-def: $vgpr5
                                        ; implicit-def: $vgpr3
.LBB17_89:
	s_andn2_saveexec_b64 s[4:5], s[4:5]
; %bb.90:
	v_sub_f32_e32 v6, v5, v3
; %bb.91:
	s_or_b64 exec, exec, s[4:5]
	v_mul_f32_e32 v3, 0.5, v6
	v_fmac_f32_e32 v3, 0.5, v11
	v_add_f32_e64 v2, |v0|, v2
	v_mul_f32_e32 v2, v2, v3
	s_mov_b32 s4, 0xf800000
	v_mul_f32_e32 v3, 0x4f800000, v2
	v_cmp_gt_f32_e32 vcc, s4, v2
	v_cndmask_b32_e32 v2, v2, v3, vcc
	v_sqrt_f32_e32 v3, v2
	v_add_u32_e32 v4, -1, v3
	v_fma_f32 v5, -v4, v3, v2
	v_cmp_ge_f32_e64 s[4:5], 0, v5
	v_add_u32_e32 v5, 1, v3
	v_cndmask_b32_e64 v4, v3, v4, s[4:5]
	v_fma_f32 v3, -v5, v3, v2
	v_cmp_lt_f32_e64 s[4:5], 0, v3
	v_cndmask_b32_e64 v3, v4, v5, s[4:5]
	v_mul_f32_e32 v4, 0x37800000, v3
	v_cndmask_b32_e32 v3, v3, v4, vcc
	v_mov_b32_e32 v4, 0x260
	v_cmp_class_f32_e32 vcc, v2, v4
	v_cndmask_b32_e32 v11, v3, v2, vcc
                                        ; implicit-def: $vgpr4
                                        ; implicit-def: $vgpr3
.LBB17_92:
	s_andn2_saveexec_b64 s[22:23], s[22:23]
	s_cbranch_execz .LBB17_98
; %bb.93:
	v_cmp_ngt_f32_e64 s[4:5], |v0|, 1.0
                                        ; implicit-def: $vgpr11
	s_and_saveexec_b64 s[24:25], s[4:5]
	s_xor_b64 s[24:25], exec, s[24:25]
	s_cbranch_execz .LBB17_95
; %bb.94:
	v_sub_f32_e64 v2, 1.0, |v0|
	v_mul_f32_e32 v2, v2, v4
	s_mov_b32 s4, 0xf800000
	v_mul_f32_e32 v3, 0x4f800000, v2
	v_cmp_gt_f32_e32 vcc, s4, v2
	v_cndmask_b32_e32 v2, v2, v3, vcc
	v_sqrt_f32_e32 v3, v2
	v_add_u32_e32 v4, -1, v3
	v_fma_f32 v5, -v4, v3, v2
	v_cmp_ge_f32_e64 s[4:5], 0, v5
	v_add_u32_e32 v5, 1, v3
	v_cndmask_b32_e64 v4, v3, v4, s[4:5]
	v_fma_f32 v3, -v5, v3, v2
	v_cmp_lt_f32_e64 s[4:5], 0, v3
	v_cndmask_b32_e64 v3, v4, v5, s[4:5]
	v_mul_f32_e32 v4, 0x37800000, v3
	v_cndmask_b32_e32 v3, v3, v4, vcc
	v_mov_b32_e32 v4, 0x260
	v_cmp_class_f32_e32 vcc, v2, v4
	v_cndmask_b32_e32 v11, v3, v2, vcc
                                        ; implicit-def: $vgpr4
                                        ; implicit-def: $vgpr3
.LBB17_95:
	s_andn2_saveexec_b64 s[24:25], s[24:25]
	s_cbranch_execz .LBB17_97
; %bb.96:
	v_mul_f32_e32 v2, v4, v3
	s_mov_b32 s4, 0xf800000
	v_mul_f32_e32 v3, 0x4f800000, v2
	v_cmp_gt_f32_e32 vcc, s4, v2
	v_cndmask_b32_e32 v2, v2, v3, vcc
	v_sqrt_f32_e32 v3, v2
	s_mov_b32 s26, 0x57800000
	v_mul_f32_e64 v4, |v1|, s26
	v_mul_f32_e64 v4, |v0|, v4
	v_add_u32_e32 v5, -1, v3
	v_fma_f32 v6, -v5, v3, v2
	v_cmp_ge_f32_e64 s[4:5], 0, v6
	v_add_u32_e32 v6, 1, v3
	v_cndmask_b32_e64 v5, v3, v5, s[4:5]
	v_fma_f32 v3, -v6, v3, v2
	v_cmp_lt_f32_e64 s[4:5], 0, v3
	v_cndmask_b32_e64 v3, v5, v6, s[4:5]
	v_mul_f32_e32 v5, 0x37800000, v3
	v_cndmask_b32_e32 v3, v3, v5, vcc
	v_mov_b32_e32 v5, 0x260
	v_cmp_class_f32_e32 vcc, v2, v5
	v_cndmask_b32_e32 v2, v3, v2, vcc
	v_div_scale_f32 v3, s[4:5], v2, v2, v4
	v_div_scale_f32 v5, vcc, v4, v2, v4
	v_rcp_f32_e32 v6, v3
	v_fma_f32 v7, -v3, v6, 1.0
	v_fmac_f32_e32 v6, v7, v6
	v_mul_f32_e32 v7, v5, v6
	v_fma_f32 v10, -v3, v7, v5
	v_fmac_f32_e32 v7, v10, v6
	v_fma_f32 v3, -v3, v7, v5
	v_div_fmas_f32 v3, v3, v6, v7
	v_mul_f32_e64 v10, |v0|, s26
	v_div_fixup_f32 v11, v3, v2, v4
.LBB17_97:
	s_or_b64 exec, exec, s[24:25]
.LBB17_98:
	s_or_b64 exec, exec, s[22:23]
                                        ; implicit-def: $vgpr2
.LBB17_99:
	s_andn2_saveexec_b64 s[20:21], s[20:21]
	s_cbranch_execz .LBB17_101
; %bb.100:
	s_mov_b32 s22, 0xf800000
	s_mov_b32 s4, 0x4f800000
	v_mul_f32_e64 v3, |v1|, s4
	v_cmp_lt_f32_e64 vcc, |v1|, s22
	v_cndmask_b32_e64 v3, |v1|, v3, vcc
	v_sqrt_f32_e32 v4, v3
	v_add_f32_e32 v2, 1.0, v2
	v_mul_f32_e32 v2, 0.5, v2
	v_mov_b32_e32 v10, 1.0
	v_add_u32_e32 v5, -1, v4
	v_fma_f32 v6, -v5, v4, v3
	v_cmp_ge_f32_e64 s[4:5], 0, v6
	v_add_u32_e32 v6, 1, v4
	v_cndmask_b32_e64 v5, v4, v5, s[4:5]
	v_fma_f32 v4, -v6, v4, v3
	v_cmp_lt_f32_e64 s[4:5], 0, v4
	v_cndmask_b32_e64 v4, v5, v6, s[4:5]
	v_mul_f32_e32 v5, 0x37800000, v4
	v_cndmask_b32_e32 v4, v4, v5, vcc
	v_mul_f32_e32 v6, 0x4f800000, v2
	v_cmp_gt_f32_e32 vcc, s22, v2
	v_cndmask_b32_e32 v2, v2, v6, vcc
	v_sqrt_f32_e32 v6, v2
	v_mov_b32_e32 v5, 0x260
	v_cmp_class_f32_e64 s[4:5], v3, v5
	v_cndmask_b32_e64 v3, v4, v3, s[4:5]
	v_add_u32_e32 v4, -1, v6
	v_fma_f32 v7, -v4, v6, v2
	v_cmp_ge_f32_e64 s[4:5], 0, v7
	v_add_u32_e32 v7, 1, v6
	v_cndmask_b32_e64 v4, v6, v4, s[4:5]
	v_fma_f32 v6, -v7, v6, v2
	v_cmp_lt_f32_e64 s[4:5], 0, v6
	v_cndmask_b32_e64 v4, v4, v7, s[4:5]
	v_mul_f32_e32 v6, 0x37800000, v4
	v_cndmask_b32_e32 v4, v4, v6, vcc
	v_cmp_class_f32_e32 vcc, v2, v5
	v_cndmask_b32_e32 v2, v4, v2, vcc
	v_mul_f32_e32 v11, v3, v2
.LBB17_101:
	s_or_b64 exec, exec, s[20:21]
	s_mov_b64 s[4:5], exec
.LBB17_102:
	s_or_b64 exec, exec, s[18:19]
                                        ; implicit-def: $vgpr2
.LBB17_103:
	s_andn2_saveexec_b64 s[16:17], s[16:17]
; %bb.104:
	s_mov_b32 s18, 0x4b800000
	v_mul_f32_e32 v11, 0x4b800000, v2
	v_mul_f32_e64 v10, |v0|, s18
	s_or_b64 s[4:5], s[4:5], exec
                                        ; implicit-def: $vgpr9
; %bb.105:
	s_or_b64 exec, exec, s[16:17]
	s_xor_b64 s[4:5], s[4:5], -1
                                        ; implicit-def: $vgpr2
	s_and_saveexec_b64 s[16:17], s[4:5]
	s_xor_b64 s[4:5], exec, s[16:17]
	s_cbranch_execz .LBB17_107
; %bb.106:
	v_fma_f32 v2, |v9|, -0.5, 0.5
	v_mul_f32_e32 v3, v9, v9
	v_cmp_ge_f32_e64 vcc, |v9|, 0.5
	v_cndmask_b32_e32 v2, v3, v2, vcc
	v_mov_b32_e32 v3, 0x3c5fc5da
	v_fmac_f32_e32 v3, 0x3d1c21a7, v2
	v_mov_b32_e32 v4, 0x3d034c3c
	v_fmac_f32_e32 v4, v2, v3
	;; [unrolled: 2-line block ×4, first 2 shown]
	v_sqrt_f32_e32 v3, v2
	v_mov_b32_e32 v5, 0x3e2aaaac
	v_fmac_f32_e32 v5, v2, v4
	v_mul_f32_e32 v2, v2, v5
	v_fmac_f32_e32 v3, v3, v2
	v_add_f32_e32 v3, v3, v3
	v_sub_f32_e32 v3, 0x3fc90fdb, v3
	v_fma_f32 v2, |v9|, v2, |v9|
	v_cmp_lt_f32_e64 vcc, |v9|, 0.5
	v_cndmask_b32_e32 v2, v3, v2, vcc
	s_brev_b32 s16, -2
	v_bfi_b32 v2, s16, v2, v9
                                        ; implicit-def: $vgpr10
                                        ; implicit-def: $vgpr11
.LBB17_107:
	s_andn2_saveexec_b64 s[16:17], s[4:5]
	s_cbranch_execz .LBB17_109
; %bb.108:
	v_max_f32_e32 v2, v10, v10
	v_max_f32_e64 v3, |v11|, |v11|
	v_min_f32_e32 v4, v3, v2
	v_max_f32_e32 v2, v3, v2
	v_frexp_mant_f32_e32 v3, v2
	v_rcp_f32_e32 v3, v3
	v_frexp_exp_i32_f32_e32 v2, v2
	v_frexp_exp_i32_f32_e32 v5, v4
	v_frexp_mant_f32_e32 v4, v4
	v_mul_f32_e32 v3, v4, v3
	v_sub_u32_e32 v2, v5, v2
	v_ldexp_f32 v2, v3, v2
	v_mul_f32_e32 v3, v2, v2
	v_mov_b32_e32 v4, 0xbc7a590c
	v_fmac_f32_e32 v4, 0x3b2d2a58, v3
	v_mov_b32_e32 v5, 0x3d29fb3f
	v_fmac_f32_e32 v5, v3, v4
	v_mov_b32_e32 v4, 0xbd97d4d7
	v_fmac_f32_e32 v4, v3, v5
	v_mov_b32_e32 v5, 0x3dd931b2
	v_fmac_f32_e32 v5, v3, v4
	v_mov_b32_e32 v4, 0xbe1160e6
	v_fmac_f32_e32 v4, v3, v5
	v_mov_b32_e32 v5, 0x3e4cb8bf
	v_fmac_f32_e32 v5, v3, v4
	v_mov_b32_e32 v4, 0xbeaaaa62
	v_fmac_f32_e32 v4, v3, v5
	v_mul_f32_e32 v3, v3, v4
	v_fmac_f32_e32 v2, v2, v3
	v_sub_f32_e32 v3, 0x3fc90fdb, v2
	v_cmp_gt_f32_e64 vcc, v10, |v11|
	v_cndmask_b32_e32 v2, v2, v3, vcc
	v_sub_f32_e32 v3, 0x40490fdb, v2
	v_cmp_gt_f32_e32 vcc, 0, v11
	v_cndmask_b32_e32 v2, v2, v3, vcc
	v_mov_b32_e32 v3, 0x40490fdb
	v_cmp_gt_i32_e64 s[4:5], 0, v11
	v_cndmask_b32_e64 v3, 0, v3, s[4:5]
	s_movk_i32 s4, 0x204
	v_mov_b32_e32 v4, 0x3f490fdb
	v_mov_b32_e32 v5, 0x4016cbe4
	v_cmp_class_f32_e64 s[18:19], v11, s4
	s_mov_b32 s4, 0x7f800000
	v_cndmask_b32_e32 v4, v4, v5, vcc
	v_cmp_eq_f32_e32 vcc, s4, v10
	v_cmp_eq_f32_e64 s[4:5], 0, v10
	v_cndmask_b32_e64 v2, |v2|, v3, s[4:5]
	s_and_b64 vcc, vcc, s[18:19]
	v_cndmask_b32_e32 v2, v2, v4, vcc
	v_mov_b32_e32 v3, 0x7fc00000
	v_cmp_o_f32_e32 vcc, v11, v11
	v_cndmask_b32_e32 v2, v3, v2, vcc
.LBB17_109:
	s_or_b64 exec, exec, s[16:17]
	s_brev_b32 s4, -2
	v_bfi_b32 v1, s4, v8, v1
	v_bfi_b32 v0, s4, v2, v0
.LBB17_110:
	s_or_b64 exec, exec, s[14:15]
.LBB17_111:
	s_or_b64 exec, exec, s[12:13]
                                        ; implicit-def: $vgpr2
                                        ; implicit-def: $vgpr5
                                        ; implicit-def: $vgpr4
.LBB17_112:
	s_andn2_saveexec_b64 s[12:13], s[6:7]
	s_cbranch_execz .LBB17_134
; %bb.113:
	v_cmp_lt_i32_e32 vcc, -1, v1
                                        ; implicit-def: $vgpr6
                                        ; implicit-def: $vgpr3
	s_and_saveexec_b64 s[4:5], vcc
	s_xor_b64 s[14:15], exec, s[4:5]
	s_cbranch_execz .LBB17_123
; %bb.114:
	v_cmp_lt_f32_e64 s[4:5], |v1|, |v0|
	v_cndmask_b32_e64 v7, |v1|, |v0|, s[4:5]
	s_mov_b32 s6, 0x7effffff
	v_cmp_nlt_f32_e32 vcc, s6, v7
                                        ; implicit-def: $vgpr3
                                        ; implicit-def: $vgpr6
	s_and_saveexec_b64 s[6:7], vcc
	s_xor_b64 s[16:17], exec, s[6:7]
	s_cbranch_execz .LBB17_120
; %bb.115:
	s_mov_b32 s6, 0x5e000000
	v_cndmask_b32_e64 v8, |v0|, |v1|, s[4:5]
	v_cmp_nlt_f32_e32 vcc, s6, v7
	s_brev_b32 s6, 4
	v_cmp_ngt_f32_e64 s[6:7], s6, v8
	s_and_b64 s[6:7], vcc, s[6:7]
                                        ; implicit-def: $vgpr3
                                        ; implicit-def: $vgpr6
	s_and_saveexec_b64 s[18:19], s[6:7]
	s_xor_b64 s[18:19], exec, s[18:19]
	s_cbranch_execz .LBB17_117
; %bb.116:
	v_mul_f32_e32 v3, v8, v8
	v_fmac_f32_e32 v3, v7, v7
	s_mov_b32 s6, 0x800000
	v_cmp_gt_f32_e32 vcc, s6, v3
	v_cndmask_b32_e64 v6, 0, 32, vcc
	v_ldexp_f32 v3, v3, v6
	v_log_f32_e32 v3, v3
	s_mov_b32 s6, 0x3f317217
	s_waitcnt lgkmcnt(0)
	v_min_f32_e32 v2, v5, v2
	v_frexp_mant_f32_e32 v5, v4
	v_mul_f32_e32 v6, 0x3f317217, v3
	v_fma_f32 v6, v3, s6, -v6
	v_fmac_f32_e32 v6, 0x3377d1cf, v3
	s_mov_b32 s6, 0x7f800000
	v_fmac_f32_e32 v6, 0x3f317217, v3
	v_cmp_lt_f32_e64 s[6:7], |v3|, s6
	v_rcp_f32_e32 v5, v5
	v_cndmask_b32_e64 v3, v3, v6, s[6:7]
	v_mov_b32_e32 v6, 0x41b17218
	v_cndmask_b32_e32 v6, 0, v6, vcc
	v_sub_f32_e32 v3, v3, v6
	v_frexp_exp_i32_f32_e32 v4, v4
	v_frexp_exp_i32_f32_e32 v6, v2
	v_frexp_mant_f32_e32 v2, v2
	v_mul_f32_e32 v2, v2, v5
	v_sub_u32_e32 v4, v6, v4
	v_ldexp_f32 v6, v2, v4
	v_mul_f32_e32 v2, v6, v6
	v_mov_b32_e32 v4, 0xbc7a590c
	v_fmac_f32_e32 v4, 0x3b2d2a58, v2
	v_mov_b32_e32 v5, 0x3d29fb3f
	v_fmac_f32_e32 v5, v2, v4
	;; [unrolled: 2-line block ×7, first 2 shown]
	v_mul_f32_e32 v2, v2, v4
	v_mul_f32_e32 v3, 0.5, v3
	v_fmac_f32_e32 v6, v6, v2
                                        ; implicit-def: $vgpr4
                                        ; implicit-def: $vgpr5
                                        ; implicit-def: $vgpr2
.LBB17_117:
	s_andn2_saveexec_b64 s[6:7], s[18:19]
	s_cbranch_execz .LBB17_119
; %bb.118:
	v_cvt_f64_f32_e32 v[6:7], v4
	s_waitcnt lgkmcnt(0)
	v_min_f32_e32 v2, v5, v2
	s_mov_b32 s18, 0x7f800000
	v_cmp_neq_f32_e32 vcc, s18, v4
	v_frexp_exp_i32_f64_e32 v3, v[6:7]
	v_mov_b32_e32 v6, 0x7f800000
	s_mov_b32 s19, 0x800000
	v_frexp_mant_f32_e32 v9, v4
	v_rcp_f32_e32 v9, v9
	s_mov_b32 s20, 0x3f317217
	v_mov_b32_e32 v7, 0x41b17218
	v_sub_u32_e32 v5, 0, v3
	v_ldexp_f32 v8, |v1|, v5
	v_ldexp_f32 v5, |v0|, v5
	v_mul_f32_e32 v5, v5, v5
	v_fmac_f32_e32 v5, v8, v8
	v_sqrt_f32_e32 v5, v5
	v_frexp_exp_i32_f32_e32 v8, v4
	v_ldexp_f32 v3, v5, v3
	v_cndmask_b32_e32 v3, v6, v3, vcc
	v_cmp_gt_f32_e32 vcc, s19, v3
	v_cndmask_b32_e64 v4, 0, 32, vcc
	v_ldexp_f32 v3, v3, v4
	v_log_f32_e32 v3, v3
	v_frexp_exp_i32_f32_e32 v4, v2
	v_frexp_mant_f32_e32 v2, v2
	v_cndmask_b32_e32 v5, 0, v7, vcc
	v_mul_f32_e32 v6, 0x3f317217, v3
	v_fma_f32 v6, v3, s20, -v6
	v_fmac_f32_e32 v6, 0x3377d1cf, v3
	v_fmac_f32_e32 v6, 0x3f317217, v3
	v_cmp_lt_f32_e64 vcc, |v3|, s18
	v_mul_f32_e32 v2, v2, v9
	v_sub_u32_e32 v4, v4, v8
	v_cndmask_b32_e32 v3, v3, v6, vcc
	v_ldexp_f32 v6, v2, v4
	v_mul_f32_e32 v2, v6, v6
	v_mov_b32_e32 v4, 0xbc7a590c
	v_sub_f32_e32 v3, v3, v5
	v_fmac_f32_e32 v4, 0x3b2d2a58, v2
	v_mov_b32_e32 v5, 0x3d29fb3f
	v_fmac_f32_e32 v5, v2, v4
	v_mov_b32_e32 v4, 0xbd97d4d7
	;; [unrolled: 2-line block ×6, first 2 shown]
	v_fmac_f32_e32 v4, v2, v5
	v_mul_f32_e32 v2, v2, v4
	v_fmac_f32_e32 v6, v6, v2
.LBB17_119:
	s_or_b64 exec, exec, s[6:7]
                                        ; implicit-def: $vgpr5
                                        ; implicit-def: $vgpr2
                                        ; implicit-def: $vgpr4
.LBB17_120:
	s_andn2_saveexec_b64 s[16:17], s[16:17]
	s_cbranch_execz .LBB17_122
; %bb.121:
	s_mov_b32 s18, 0x402df854
	v_div_scale_f32 v3, s[6:7], s18, s18, v1
	v_div_scale_f32 v6, s[6:7], s18, s18, v0
	v_div_scale_f32 v7, vcc, v1, s18, v1
	v_div_scale_f32 v8, s[6:7], v0, s18, v0
	s_waitcnt lgkmcnt(0)
	v_min_f32_e32 v5, v5, v2
	s_mov_b32 s19, 0x3f317217
	v_mov_b32_e32 v17, 0xbe1160e6
	v_mov_b32_e32 v18, 0x3e4cb8bf
	v_rcp_f32_e32 v9, v3
	v_rcp_f32_e32 v10, v6
	v_fma_f32 v11, -v3, v9, 1.0
	v_fmac_f32_e32 v9, v11, v9
	v_fma_f32 v12, -v6, v10, 1.0
	v_fmac_f32_e32 v10, v12, v10
	v_mul_f32_e32 v11, v7, v9
	v_mul_f32_e32 v12, v8, v10
	v_fma_f32 v13, -v3, v11, v7
	v_fma_f32 v14, -v6, v12, v8
	v_fmac_f32_e32 v11, v13, v9
	v_fmac_f32_e32 v12, v14, v10
	v_fma_f32 v3, -v3, v11, v7
	v_fma_f32 v6, -v6, v12, v8
	v_div_fmas_f32 v3, v3, v9, v11
	s_mov_b64 vcc, s[6:7]
	v_div_fmas_f32 v6, v6, v10, v12
	v_frexp_exp_i32_f32_e32 v9, v4
	v_frexp_mant_f32_e32 v4, v4
	v_rcp_f32_e32 v4, v4
	s_mov_b32 s6, 0x7f800000
	v_mov_b32_e32 v7, 0x7f800000
	s_mov_b32 s7, 0x800000
	v_mov_b32_e32 v10, 0xbc7a590c
	v_mov_b32_e32 v11, 0x3d29fb3f
	;; [unrolled: 1-line block ×5, first 2 shown]
	v_div_fixup_f32 v14, v3, s18, v1
	v_div_fixup_f32 v15, v6, s18, v0
	v_max_f32_e64 v16, v14, |v15|
	v_cvt_f64_f32_e32 v[2:3], v16
	v_cmp_neq_f32_e32 vcc, s6, v16
	v_frexp_exp_i32_f64_e32 v2, v[2:3]
	v_frexp_exp_i32_f32_e32 v3, v5
	v_frexp_mant_f32_e32 v5, v5
	v_sub_u32_e32 v3, v3, v9
	v_mul_f32_e32 v4, v5, v4
	v_ldexp_f32 v6, v4, v3
	v_mul_f32_e32 v4, v6, v6
	v_fmac_f32_e32 v10, 0x3b2d2a58, v4
	v_sub_u32_e32 v3, 0, v2
	v_ldexp_f32 v5, v14, v3
	v_ldexp_f32 v3, |v15|, v3
	v_mul_f32_e32 v3, v3, v3
	v_fmac_f32_e32 v3, v5, v5
	v_sqrt_f32_e32 v3, v3
	v_fmac_f32_e32 v11, v4, v10
	v_fmac_f32_e32 v12, v4, v11
	;; [unrolled: 1-line block ×3, first 2 shown]
	v_ldexp_f32 v2, v3, v2
	v_cndmask_b32_e32 v2, v7, v2, vcc
	v_cmp_gt_f32_e32 vcc, s7, v2
	v_cndmask_b32_e64 v3, 0, 32, vcc
	v_ldexp_f32 v2, v2, v3
	v_log_f32_e32 v2, v2
	v_cndmask_b32_e32 v3, 0, v8, vcc
	v_fmac_f32_e32 v17, v4, v13
	v_fmac_f32_e32 v18, v4, v17
	v_mul_f32_e32 v5, 0x3f317217, v2
	v_fma_f32 v5, v2, s19, -v5
	v_fmac_f32_e32 v5, 0x3377d1cf, v2
	v_fmac_f32_e32 v5, 0x3f317217, v2
	v_cmp_lt_f32_e64 vcc, |v2|, s6
	v_cndmask_b32_e32 v2, v2, v5, vcc
	v_sub_f32_e32 v2, v2, v3
	v_add_f32_e32 v3, 1.0, v2
	v_mov_b32_e32 v2, 0xbeaaaa62
	v_fmac_f32_e32 v2, v4, v18
	v_mul_f32_e32 v2, v4, v2
	v_fmac_f32_e32 v6, v6, v2
.LBB17_122:
	s_or_b64 exec, exec, s[16:17]
	s_waitcnt lgkmcnt(0)
	v_sub_f32_e32 v2, 0x3fc90fdb, v6
	s_movk_i32 s6, 0x204
	v_cndmask_b32_e64 v2, v6, v2, s[4:5]
	v_cmp_neq_f32_e32 vcc, 0, v0
	v_cmp_class_f32_e64 s[4:5], v1, s6
	v_cmp_class_f32_e64 s[6:7], v0, s6
	v_cndmask_b32_e32 v2, 0, v2, vcc
	v_mov_b32_e32 v4, 0x3f490fdb
	s_and_b64 vcc, s[6:7], s[4:5]
	v_cndmask_b32_e32 v2, v2, v4, vcc
	s_brev_b32 s4, -2
	v_bfi_b32 v6, s4, v2, v0
                                        ; implicit-def: $vgpr2
.LBB17_123:
	s_andn2_saveexec_b64 s[14:15], s[14:15]
	s_cbranch_execz .LBB17_133
; %bb.124:
	v_cmp_gt_f32_e64 s[4:5], |v0|, -v1
	v_cndmask_b32_e64 v5, -v1, |v0|, s[4:5]
	s_mov_b32 s6, 0x7effffff
	v_cmp_nlt_f32_e32 vcc, s6, v5
                                        ; implicit-def: $vgpr3
                                        ; implicit-def: $vgpr4
	s_and_saveexec_b64 s[6:7], vcc
	s_xor_b64 s[16:17], exec, s[6:7]
	s_cbranch_execz .LBB17_130
; %bb.125:
	v_xor_b32_e32 v3, 0x80000000, v1
	s_mov_b32 s6, 0x5e000000
	v_cndmask_b32_e64 v6, |v0|, v3, s[4:5]
	v_cmp_nlt_f32_e32 vcc, s6, v5
	s_brev_b32 s6, 4
	v_cmp_ngt_f32_e64 s[6:7], s6, v6
	s_and_b64 s[6:7], vcc, s[6:7]
                                        ; implicit-def: $vgpr3
                                        ; implicit-def: $vgpr4
	s_and_saveexec_b64 s[18:19], s[6:7]
	s_xor_b64 s[18:19], exec, s[18:19]
	s_cbranch_execz .LBB17_127
; %bb.126:
	v_mul_f32_e32 v3, v6, v6
	v_fmac_f32_e32 v3, v5, v5
	s_mov_b32 s6, 0x800000
	v_cmp_gt_f32_e32 vcc, s6, v3
	v_cndmask_b32_e64 v4, 0, 32, vcc
	v_ldexp_f32 v3, v3, v4
	v_log_f32_e32 v3, v3
	s_mov_b32 s6, 0x3f317217
	v_mul_f32_e32 v4, 0x3f317217, v3
	v_fma_f32 v4, v3, s6, -v4
	v_fmac_f32_e32 v4, 0x3377d1cf, v3
	s_mov_b32 s6, 0x7f800000
	v_fmac_f32_e32 v4, 0x3f317217, v3
	v_cmp_lt_f32_e64 s[6:7], |v3|, s6
	v_cndmask_b32_e64 v3, v3, v4, s[6:7]
	v_mov_b32_e32 v4, 0x41b17218
	v_cndmask_b32_e32 v4, 0, v4, vcc
	v_sub_f32_e32 v3, v3, v4
	v_max_f32_e64 v4, -v1, -v1
	s_waitcnt lgkmcnt(0)
	v_min_f32_e32 v5, v4, v2
	v_max_f32_e32 v2, v4, v2
	v_frexp_mant_f32_e32 v4, v2
	v_rcp_f32_e32 v4, v4
	v_frexp_exp_i32_f32_e32 v2, v2
	v_frexp_exp_i32_f32_e32 v6, v5
	v_frexp_mant_f32_e32 v5, v5
	v_mul_f32_e32 v4, v5, v4
	v_sub_u32_e32 v2, v6, v2
	v_ldexp_f32 v4, v4, v2
	v_mul_f32_e32 v2, v4, v4
	v_mov_b32_e32 v5, 0xbc7a590c
	v_fmac_f32_e32 v5, 0x3b2d2a58, v2
	v_mov_b32_e32 v6, 0x3d29fb3f
	v_fmac_f32_e32 v6, v2, v5
	;; [unrolled: 2-line block ×7, first 2 shown]
	v_mul_f32_e32 v2, v2, v5
	v_mul_f32_e32 v3, 0.5, v3
	v_fmac_f32_e32 v4, v4, v2
                                        ; implicit-def: $vgpr2
.LBB17_127:
	s_andn2_saveexec_b64 s[6:7], s[18:19]
	s_cbranch_execz .LBB17_129
; %bb.128:
	v_max_f32_e64 v5, -v1, -v1
	s_waitcnt lgkmcnt(0)
	v_max_f32_e32 v6, v5, v2
	v_cvt_f64_f32_e32 v[3:4], v6
	v_min_f32_e32 v2, v5, v2
	s_mov_b32 s18, 0x7f800000
	v_cmp_neq_f32_e32 vcc, s18, v6
	v_frexp_exp_i32_f64_e32 v3, v[3:4]
	v_mov_b32_e32 v4, 0x7f800000
	s_mov_b32 s19, 0x800000
	v_frexp_mant_f32_e32 v9, v6
	s_mov_b32 s20, 0x3f317217
	v_mov_b32_e32 v7, 0x41b17218
	v_frexp_exp_i32_f32_e32 v10, v2
	v_frexp_mant_f32_e32 v2, v2
	v_sub_u32_e32 v5, 0, v3
	v_ldexp_f32 v8, -v1, v5
	v_ldexp_f32 v5, |v0|, v5
	v_mul_f32_e32 v5, v5, v5
	v_fmac_f32_e32 v5, v8, v8
	v_sqrt_f32_e32 v5, v5
	v_frexp_exp_i32_f32_e32 v8, v6
	v_ldexp_f32 v3, v5, v3
	v_cndmask_b32_e32 v3, v4, v3, vcc
	v_cmp_gt_f32_e32 vcc, s19, v3
	v_cndmask_b32_e64 v4, 0, 32, vcc
	v_ldexp_f32 v3, v3, v4
	v_log_f32_e32 v3, v3
	v_rcp_f32_e32 v4, v9
	v_cndmask_b32_e32 v5, 0, v7, vcc
	v_mul_f32_e32 v6, 0x3f317217, v3
	v_fma_f32 v6, v3, s20, -v6
	v_fmac_f32_e32 v6, 0x3377d1cf, v3
	v_fmac_f32_e32 v6, 0x3f317217, v3
	v_cmp_lt_f32_e64 vcc, |v3|, s18
	v_mul_f32_e32 v2, v2, v4
	v_sub_u32_e32 v4, v10, v8
	v_cndmask_b32_e32 v3, v3, v6, vcc
	v_ldexp_f32 v4, v2, v4
	v_sub_f32_e32 v3, v3, v5
	v_mul_f32_e32 v2, v4, v4
	v_mov_b32_e32 v5, 0xbc7a590c
	v_fmac_f32_e32 v5, 0x3b2d2a58, v2
	v_mov_b32_e32 v6, 0x3d29fb3f
	v_fmac_f32_e32 v6, v2, v5
	v_mov_b32_e32 v5, 0xbd97d4d7
	v_fmac_f32_e32 v5, v2, v6
	v_mov_b32_e32 v6, 0x3dd931b2
	v_fmac_f32_e32 v6, v2, v5
	v_mov_b32_e32 v5, 0xbe1160e6
	v_fmac_f32_e32 v5, v2, v6
	v_mov_b32_e32 v6, 0x3e4cb8bf
	v_fmac_f32_e32 v6, v2, v5
	v_mov_b32_e32 v5, 0xbeaaaa62
	v_fmac_f32_e32 v5, v2, v6
	v_mul_f32_e32 v2, v2, v5
	v_fmac_f32_e32 v4, v4, v2
.LBB17_129:
	s_or_b64 exec, exec, s[6:7]
                                        ; implicit-def: $vgpr2
.LBB17_130:
	s_andn2_saveexec_b64 s[16:17], s[16:17]
	s_cbranch_execz .LBB17_132
; %bb.131:
	s_mov_b32 s18, 0xc02df854
	v_div_scale_f32 v3, s[6:7], s18, s18, v1
	v_div_scale_f32 v4, s[6:7], s18, s18, v0
	v_div_scale_f32 v5, vcc, v1, s18, v1
	v_div_scale_f32 v6, s[6:7], v0, s18, v0
	s_mov_b32 s19, 0x3f317217
	v_rcp_f32_e32 v7, v3
	v_rcp_f32_e32 v8, v4
	v_fma_f32 v9, -v3, v7, 1.0
	v_fmac_f32_e32 v7, v9, v7
	v_fma_f32 v10, -v4, v8, 1.0
	v_fmac_f32_e32 v8, v10, v8
	v_mul_f32_e32 v9, v5, v7
	v_mul_f32_e32 v10, v6, v8
	v_fma_f32 v11, -v3, v9, v5
	v_fma_f32 v12, -v4, v10, v6
	v_fmac_f32_e32 v9, v11, v7
	v_fmac_f32_e32 v10, v12, v8
	v_fma_f32 v3, -v3, v9, v5
	v_fma_f32 v4, -v4, v10, v6
	v_div_fmas_f32 v3, v3, v7, v9
	s_mov_b64 vcc, s[6:7]
	v_div_fmas_f32 v4, v4, v8, v10
	v_max_f32_e64 v7, -v1, -v1
	s_waitcnt lgkmcnt(0)
	v_min_f32_e32 v13, v7, v2
	v_max_f32_e32 v2, v7, v2
	v_frexp_exp_i32_f32_e32 v7, v2
	v_frexp_mant_f32_e32 v2, v2
	v_rcp_f32_e32 v2, v2
	s_mov_b32 s6, 0x7f800000
	v_mov_b32_e32 v5, 0x7f800000
	s_mov_b32 s7, 0x800000
	v_mov_b32_e32 v6, 0x41b17218
	v_mov_b32_e32 v8, 0xbc7a590c
	;; [unrolled: 1-line block ×4, first 2 shown]
	v_div_fixup_f32 v14, v3, s18, v1
	v_mov_b32_e32 v11, 0x3dd931b2
	v_div_fixup_f32 v15, v4, s18, v0
	v_max_f32_e64 v16, |v14|, |v15|
	v_cvt_f64_f32_e32 v[3:4], v16
	v_cmp_neq_f32_e32 vcc, s6, v16
	v_mov_b32_e32 v12, 0xbe1160e6
	v_frexp_exp_i32_f64_e32 v3, v[3:4]
	v_frexp_exp_i32_f32_e32 v4, v13
	v_frexp_mant_f32_e32 v13, v13
	v_sub_u32_e32 v4, v4, v7
	v_mul_f32_e32 v2, v13, v2
	v_ldexp_f32 v4, v2, v4
	v_mul_f32_e32 v2, v4, v4
	v_fmac_f32_e32 v8, 0x3b2d2a58, v2
	v_sub_u32_e32 v7, 0, v3
	v_ldexp_f32 v13, |v14|, v7
	v_ldexp_f32 v7, |v15|, v7
	v_mul_f32_e32 v7, v7, v7
	v_fmac_f32_e32 v7, v13, v13
	v_sqrt_f32_e32 v7, v7
	v_fmac_f32_e32 v9, v2, v8
	v_fmac_f32_e32 v10, v2, v9
	;; [unrolled: 1-line block ×3, first 2 shown]
	v_ldexp_f32 v3, v7, v3
	v_cndmask_b32_e32 v3, v5, v3, vcc
	v_cmp_gt_f32_e32 vcc, s7, v3
	v_cndmask_b32_e64 v5, 0, 32, vcc
	v_ldexp_f32 v3, v3, v5
	v_log_f32_e32 v3, v3
	v_cndmask_b32_e32 v5, 0, v6, vcc
	v_fmac_f32_e32 v12, v2, v11
	v_mul_f32_e32 v6, 0x3f317217, v3
	v_fma_f32 v6, v3, s19, -v6
	v_fmac_f32_e32 v6, 0x3377d1cf, v3
	v_fmac_f32_e32 v6, 0x3f317217, v3
	v_cmp_lt_f32_e64 vcc, |v3|, s6
	v_cndmask_b32_e32 v3, v3, v6, vcc
	v_sub_f32_e32 v3, v3, v5
	v_mov_b32_e32 v5, 0x3e4cb8bf
	v_fmac_f32_e32 v5, v2, v12
	v_mov_b32_e32 v6, 0xbeaaaa62
	v_fmac_f32_e32 v6, v2, v5
	v_mul_f32_e32 v2, v2, v6
	v_add_f32_e32 v3, 1.0, v3
	v_fmac_f32_e32 v4, v4, v2
.LBB17_132:
	s_or_b64 exec, exec, s[16:17]
	s_waitcnt lgkmcnt(0)
	v_sub_f32_e32 v2, 0x3fc90fdb, v4
	v_cndmask_b32_e64 v2, v4, v2, s[4:5]
	v_cmp_neq_f32_e32 vcc, 0, v0
	s_mov_b32 s4, 0xff800000
	v_cndmask_b32_e32 v2, 0, v2, vcc
	v_cmp_eq_f32_e32 vcc, s4, v1
	s_movk_i32 s4, 0x204
	v_cmp_class_f32_e64 s[4:5], v0, s4
	v_mov_b32_e32 v4, 0x3f490fdb
	s_and_b64 vcc, vcc, s[4:5]
	v_cndmask_b32_e32 v2, v2, v4, vcc
	v_xor_b32_e32 v4, 0x80000000, v0
	s_brev_b32 s4, -2
	v_bfi_b32 v6, s4, v2, v4
.LBB17_133:
	s_or_b64 exec, exec, s[14:15]
	s_waitcnt lgkmcnt(0)
	v_add_f32_e32 v2, 0x3f317218, v3
	s_brev_b32 s4, -2
	v_bfi_b32 v1, s4, v2, v1
	v_bfi_b32 v0, s4, v6, v0
.LBB17_134:
	s_or_b64 exec, exec, s[12:13]
.LBB17_135:
	s_andn2_saveexec_b64 s[4:5], s[10:11]
	s_cbranch_execz .LBB17_149
; %bb.136:
	s_mov_b32 s10, 0x7f800000
	v_cmp_neq_f32_e64 s[6:7], |v1|, s10
                                        ; implicit-def: $vgpr2
                                        ; implicit-def: $vgpr3
	s_and_saveexec_b64 s[12:13], s[6:7]
	s_xor_b64 s[6:7], exec, s[12:13]
	s_cbranch_execz .LBB17_146
; %bb.137:
	v_cmp_neq_f32_e64 s[10:11], |v0|, s10
                                        ; implicit-def: $vgpr2
                                        ; implicit-def: $vgpr3
	s_and_saveexec_b64 s[12:13], s[10:11]
	s_xor_b64 s[10:11], exec, s[12:13]
	s_cbranch_execz .LBB17_143
; %bb.138:
	v_cmp_neq_f32_e32 vcc, 0, v0
                                        ; implicit-def: $vgpr2
	s_and_saveexec_b64 s[12:13], vcc
	s_xor_b64 s[12:13], exec, s[12:13]
	s_cbranch_execz .LBB17_140
; %bb.139:
	v_add_f32_e32 v1, 0, v1
	s_waitcnt lgkmcnt(0)
	v_add_f32_e32 v2, v0, v1
                                        ; implicit-def: $vgpr1
.LBB17_140:
	s_or_saveexec_b64 s[12:13], s[12:13]
	s_waitcnt lgkmcnt(0)
	v_mov_b32_e32 v3, v2
	s_xor_b64 exec, exec, s[12:13]
; %bb.141:
	v_add_f32_e32 v3, v1, v1
	v_mov_b32_e32 v2, v0
; %bb.142:
	s_or_b64 exec, exec, s[12:13]
                                        ; implicit-def: $vgpr1
.LBB17_143:
	s_andn2_saveexec_b64 s[10:11], s[10:11]
	s_cbranch_execz .LBB17_145
; %bb.144:
	s_waitcnt lgkmcnt(0)
	v_add_f32_e32 v2, v1, v1
	v_mov_b32_e32 v3, v0
.LBB17_145:
	s_or_b64 exec, exec, s[10:11]
                                        ; implicit-def: $vgpr0
.LBB17_146:
	s_andn2_saveexec_b64 s[6:7], s[6:7]
	s_cbranch_execz .LBB17_148
; %bb.147:
	s_waitcnt lgkmcnt(0)
	v_add_f32_e32 v2, v0, v0
	v_mov_b32_e32 v3, v1
.LBB17_148:
	s_or_b64 exec, exec, s[6:7]
	v_mov_b32_e32 v1, v3
	s_waitcnt lgkmcnt(0)
	v_mov_b32_e32 v0, v2
.LBB17_149:
	s_or_b64 exec, exec, s[4:5]
	s_or_b64 exec, exec, s[8:9]
	s_waitcnt lgkmcnt(0)
	s_setpc_b64 s[30:31]
.LBB17_150:
	v_mov_b32_e32 v0, 28
	v_cmp_gt_i16_sdwa s[10:11], v3, v0 src0_sel:BYTE_0 src1_sel:DWORD
	s_mov_b64 s[14:15], 0
                                        ; implicit-def: $vgpr1
	s_and_saveexec_b64 s[16:17], s[10:11]
	s_xor_b64 s[10:11], exec, s[16:17]
	s_cbranch_execz .LBB17_166
; %bb.151:
	v_mov_b32_e32 v0, 43
	v_cmp_gt_i16_sdwa s[12:13], v3, v0 src0_sel:BYTE_0 src1_sel:DWORD
	s_mov_b64 s[16:17], 0
	s_mov_b64 s[18:19], 0
                                        ; implicit-def: $vgpr1
	s_and_saveexec_b64 s[14:15], s[12:13]
	s_xor_b64 s[12:13], exec, s[14:15]
	s_cbranch_execz .LBB17_161
; %bb.152:
	v_mov_b32_e32 v0, 45
	v_cmp_gt_i16_sdwa s[18:19], v3, v0 src0_sel:BYTE_0 src1_sel:DWORD
	s_mov_b64 s[14:15], 0
                                        ; implicit-def: $vgpr1
	s_and_saveexec_b64 s[20:21], s[18:19]
	s_xor_b64 s[18:19], exec, s[20:21]
	s_cbranch_execz .LBB17_156
; %bb.153:
	v_mov_b32_e32 v0, 46
	v_cmp_eq_u16_sdwa s[22:23], v3, v0 src0_sel:BYTE_0 src1_sel:DWORD
	s_mov_b64 s[20:21], -1
                                        ; implicit-def: $vgpr1
	s_and_saveexec_b64 s[16:17], s[22:23]
	s_cbranch_execz .LBB17_155
; %bb.154:
	flat_load_dword v0, v[4:5]
	s_mov_b64 s[14:15], exec
	s_xor_b64 s[20:21], exec, -1
	s_waitcnt vmcnt(0) lgkmcnt(0)
	v_and_b32_e32 v1, 0xffff0000, v0
	v_lshlrev_b32_e32 v0, 16, v0
.LBB17_155:
	s_or_b64 exec, exec, s[16:17]
	s_and_b64 s[16:17], s[14:15], exec
	s_and_b64 s[14:15], s[20:21], exec
                                        ; implicit-def: $vgpr3
.LBB17_156:
	s_andn2_saveexec_b64 s[18:19], s[18:19]
	s_cbranch_execz .LBB17_160
; %bb.157:
	v_mov_b32_e32 v0, 44
	v_cmp_eq_u16_sdwa s[26:27], v3, v0 src0_sel:BYTE_0 src1_sel:DWORD
	s_mov_b64 s[24:25], -1
	s_mov_b64 s[22:23], s[16:17]
                                        ; implicit-def: $vgpr0
	s_and_saveexec_b64 s[20:21], s[26:27]
	s_cbranch_execz .LBB17_159
; %bb.158:
	flat_load_ubyte v0, v[4:5]
	s_movk_i32 s24, 0xff
	v_mov_b32_e32 v1, 0x7f800001
	v_mov_b32_e32 v2, 0x400000
	s_or_b64 s[22:23], s[16:17], exec
	s_waitcnt vmcnt(0) lgkmcnt(0)
	v_lshlrev_b32_e32 v3, 23, v0
	v_cmp_ne_u32_e32 vcc, s24, v0
	v_cndmask_b32_e32 v1, v1, v3, vcc
	v_cmp_ne_u32_e32 vcc, 0, v0
	v_cndmask_b32_e32 v0, v2, v1, vcc
	s_xor_b64 s[24:25], exec, -1
.LBB17_159:
	s_or_b64 exec, exec, s[20:21]
	s_andn2_b64 s[16:17], s[16:17], exec
	s_and_b64 s[20:21], s[22:23], exec
	s_or_b64 s[16:17], s[16:17], s[20:21]
	s_andn2_b64 s[14:15], s[14:15], exec
	s_and_b64 s[20:21], s[24:25], exec
	v_mov_b32_e32 v1, 0
	s_or_b64 s[14:15], s[14:15], s[20:21]
.LBB17_160:
	s_or_b64 exec, exec, s[18:19]
	s_and_b64 s[18:19], s[16:17], exec
	s_and_b64 s[16:17], s[14:15], exec
                                        ; implicit-def: $vgpr3
.LBB17_161:
	s_andn2_saveexec_b64 s[12:13], s[12:13]
	s_cbranch_execz .LBB17_165
; %bb.162:
	v_mov_b32_e32 v0, 29
	v_cmp_eq_u16_sdwa s[24:25], v3, v0 src0_sel:BYTE_0 src1_sel:DWORD
	s_mov_b64 s[20:21], -1
	s_mov_b64 s[22:23], s[18:19]
                                        ; implicit-def: $vgpr0
	s_and_saveexec_b64 s[14:15], s[24:25]
	s_cbranch_execz .LBB17_164
; %bb.163:
	flat_load_dwordx2 v[0:1], v[4:5]
	s_or_b64 s[22:23], s[18:19], exec
	s_xor_b64 s[20:21], exec, -1
	s_waitcnt vmcnt(0) lgkmcnt(0)
	v_ffbh_u32_e32 v2, v1
	v_min_u32_e32 v2, 32, v2
	v_lshlrev_b64 v[0:1], v2, v[0:1]
	v_min_u32_e32 v0, 1, v0
	v_or_b32_e32 v0, v1, v0
	v_cvt_f32_u32_e32 v0, v0
	v_sub_u32_e32 v1, 32, v2
	v_ldexp_f32 v0, v0, v1
.LBB17_164:
	s_or_b64 exec, exec, s[14:15]
	s_andn2_b64 s[14:15], s[18:19], exec
	s_and_b64 s[18:19], s[22:23], exec
	s_or_b64 s[18:19], s[14:15], s[18:19]
	s_andn2_b64 s[14:15], s[16:17], exec
	s_and_b64 s[16:17], s[20:21], exec
	v_mov_b32_e32 v1, 0
	s_or_b64 s[16:17], s[14:15], s[16:17]
.LBB17_165:
	s_or_b64 exec, exec, s[12:13]
	s_and_b64 s[14:15], s[18:19], exec
	s_and_b64 s[12:13], s[16:17], exec
                                        ; implicit-def: $vgpr3
.LBB17_166:
	s_andn2_saveexec_b64 s[10:11], s[10:11]
	s_cbranch_execz .LBB17_180
; %bb.167:
	v_mov_b32_e32 v0, 26
	v_cmp_gt_i16_sdwa s[16:17], v3, v0 src0_sel:BYTE_0 src1_sel:DWORD
                                        ; implicit-def: $vgpr0
	s_and_saveexec_b64 s[18:19], s[16:17]
	s_xor_b64 s[16:17], exec, s[18:19]
	s_cbranch_execz .LBB17_173
; %bb.168:
	v_mov_b32_e32 v0, 27
	v_cmp_gt_i16_sdwa s[18:19], v3, v0 src0_sel:BYTE_0 src1_sel:DWORD
                                        ; implicit-def: $vgpr0
	s_and_saveexec_b64 s[20:21], s[18:19]
	s_xor_b64 s[18:19], exec, s[20:21]
	s_cbranch_execz .LBB17_170
; %bb.169:
	flat_load_dword v0, v[4:5]
	s_waitcnt vmcnt(0) lgkmcnt(0)
	v_cvt_f32_u32_e32 v0, v0
.LBB17_170:
	s_andn2_saveexec_b64 s[18:19], s[18:19]
	s_cbranch_execz .LBB17_172
; %bb.171:
	flat_load_ushort v0, v[4:5]
	s_waitcnt vmcnt(0) lgkmcnt(0)
	v_cvt_f32_u32_e32 v0, v0
.LBB17_172:
	s_or_b64 exec, exec, s[18:19]
.LBB17_173:
	s_andn2_saveexec_b64 s[16:17], s[16:17]
	s_cbranch_execz .LBB17_179
; %bb.174:
	flat_load_ubyte v1, v[4:5]
	s_movk_i32 s18, 0x7f
	s_waitcnt vmcnt(0) lgkmcnt(0)
	v_cmp_lt_i16_e32 vcc, s18, v1
	s_mov_b64 s[18:19], 0
	s_and_saveexec_b64 s[20:21], vcc
	s_xor_b64 s[20:21], exec, s[20:21]
	s_cbranch_execnz .LBB17_205
; %bb.175:
	s_or_saveexec_b64 s[20:21], s[20:21]
	v_mov_b32_e32 v0, 0x7f800001
	s_xor_b64 exec, exec, s[20:21]
	s_cbranch_execnz .LBB17_208
.LBB17_176:
	s_or_b64 exec, exec, s[20:21]
	s_and_saveexec_b64 s[20:21], s[18:19]
	s_cbranch_execz .LBB17_178
.LBB17_177:
	v_lshlrev_b32_e32 v0, 24, v1
	v_and_b32_e32 v1, 0xffff, v1
	v_and_b32_e32 v2, 7, v1
	v_ffbh_u32_e32 v6, v2
	v_min_u32_e32 v6, 32, v6
	v_subrev_u32_e32 v7, 28, v6
	v_bfe_u32 v3, v1, 3, 4
	v_lshlrev_b32_e32 v1, v7, v1
	v_sub_u32_e32 v6, 29, v6
	v_and_b32_e32 v1, 7, v1
	v_cmp_eq_u32_e32 vcc, 0, v3
	v_cndmask_b32_e32 v3, v3, v6, vcc
	v_cndmask_b32_e32 v1, v2, v1, vcc
	v_mov_b32_e32 v2, 0x3b800000
	v_lshlrev_b32_e32 v1, 20, v1
	v_and_b32_e32 v0, 0x80000000, v0
	v_lshl_add_u32 v2, v3, 23, v2
	v_or3_b32 v0, v0, v2, v1
.LBB17_178:
	s_or_b64 exec, exec, s[20:21]
.LBB17_179:
	s_or_b64 exec, exec, s[16:17]
	v_mov_b32_e32 v1, 0
	s_or_b64 s[14:15], s[14:15], exec
.LBB17_180:
	s_or_b64 exec, exec, s[10:11]
	s_and_b64 s[10:11], s[14:15], exec
	s_and_b64 s[12:13], s[12:13], exec
                                        ; implicit-def: $vgpr3
	s_andn2_saveexec_b64 s[8:9], s[8:9]
	s_cbranch_execz .LBB17_6
.LBB17_181:
	v_mov_b32_e32 v0, 22
	v_cmp_gt_i16_sdwa s[6:7], v3, v0 src0_sel:BYTE_0 src1_sel:DWORD
	s_mov_b64 s[14:15], s[10:11]
                                        ; implicit-def: $vgpr0
	s_and_saveexec_b64 s[16:17], s[6:7]
	s_xor_b64 s[6:7], exec, s[16:17]
	s_cbranch_execz .LBB17_195
; %bb.182:
	v_mov_b32_e32 v0, 23
	v_cmp_gt_i16_sdwa s[14:15], v3, v0 src0_sel:BYTE_0 src1_sel:DWORD
                                        ; implicit-def: $vgpr0
	s_and_saveexec_b64 s[16:17], s[14:15]
	s_xor_b64 s[14:15], exec, s[16:17]
	s_cbranch_execz .LBB17_192
; %bb.183:
	v_mov_b32_e32 v0, 24
	v_cmp_gt_i16_sdwa s[16:17], v3, v0 src0_sel:BYTE_0 src1_sel:DWORD
                                        ; implicit-def: $vgpr0
	s_and_saveexec_b64 s[18:19], s[16:17]
	s_xor_b64 s[16:17], exec, s[18:19]
	s_cbranch_execz .LBB17_189
; %bb.184:
	flat_load_ubyte v1, v[4:5]
	s_movk_i32 s18, 0x7f
	s_waitcnt vmcnt(0) lgkmcnt(0)
	v_cmp_lt_i16_e32 vcc, s18, v1
	s_mov_b64 s[18:19], 0
	s_and_saveexec_b64 s[20:21], vcc
	s_xor_b64 s[20:21], exec, s[20:21]
	s_cbranch_execnz .LBB17_209
; %bb.185:
	s_or_saveexec_b64 s[20:21], s[20:21]
	v_mov_b32_e32 v0, 0x7f800001
	s_xor_b64 exec, exec, s[20:21]
	s_cbranch_execnz .LBB17_212
.LBB17_186:
	s_or_b64 exec, exec, s[20:21]
	s_and_saveexec_b64 s[20:21], s[18:19]
	s_cbranch_execz .LBB17_188
.LBB17_187:
	v_lshlrev_b32_e32 v0, 24, v1
	v_and_b32_e32 v1, 0xffff, v1
	v_and_b32_e32 v2, 3, v1
	v_ffbh_u32_e32 v6, v2
	v_min_u32_e32 v6, 32, v6
	v_subrev_u32_e32 v7, 29, v6
	v_bfe_u32 v3, v1, 2, 5
	v_lshlrev_b32_e32 v1, v7, v1
	v_sub_u32_e32 v6, 30, v6
	v_and_b32_e32 v1, 3, v1
	v_cmp_eq_u32_e32 vcc, 0, v3
	v_cndmask_b32_e32 v3, v3, v6, vcc
	v_cndmask_b32_e32 v1, v2, v1, vcc
	v_mov_b32_e32 v2, 0x37800000
	v_lshlrev_b32_e32 v1, 21, v1
	v_and_b32_e32 v0, 0x80000000, v0
	v_lshl_add_u32 v2, v3, 23, v2
	v_or3_b32 v0, v0, v2, v1
.LBB17_188:
	s_or_b64 exec, exec, s[20:21]
.LBB17_189:
	s_andn2_saveexec_b64 s[16:17], s[16:17]
	s_cbranch_execz .LBB17_191
; %bb.190:
	flat_load_ubyte v0, v[4:5]
	s_mov_b32 s18, 0x7f800000
	s_waitcnt vmcnt(0) lgkmcnt(0)
	v_lshlrev_b32_e32 v0, 24, v0
	v_and_b32_e32 v1, 0x7f000000, v0
	v_ffbh_u32_e32 v2, v1
	v_min_u32_e32 v2, 32, v2
	v_sub_u32_e64 v2, v2, 4 clamp
	v_lshlrev_b32_e32 v6, v2, v1
	v_lshlrev_b32_e32 v2, 23, v2
	v_lshrrev_b32_e32 v6, 4, v6
	v_add_u32_e32 v3, 0x1000000, v1
	v_sub_u32_e32 v2, v6, v2
	v_ashrrev_i32_e32 v3, 8, v3
	v_add_u32_e32 v2, 0x3c000000, v2
	v_and_or_b32 v2, v3, s18, v2
	v_cmp_ne_u32_e32 vcc, 0, v1
	v_cndmask_b32_e32 v1, 0, v2, vcc
	s_brev_b32 s18, 1
	v_and_or_b32 v0, v0, s18, v1
.LBB17_191:
	s_or_b64 exec, exec, s[16:17]
.LBB17_192:
	s_andn2_saveexec_b64 s[14:15], s[14:15]
	s_cbranch_execz .LBB17_194
; %bb.193:
	flat_load_ubyte v0, v[4:5]
	s_movk_i32 s16, 0x7f00
	s_brev_b32 s17, 16
	s_waitcnt vmcnt(0) lgkmcnt(0)
	v_lshlrev_b16_e32 v1, 8, v0
	v_lshlrev_b32_e32 v0, 25, v0
	v_lshrrev_b32_e32 v2, 4, v0
	v_and_or_b32 v3, v1, s16, 0.5
	v_or_b32_e32 v2, 0x70000000, v2
	v_add_f32_e32 v3, -0.5, v3
	v_mul_f32_e32 v2, 0x7800000, v2
	v_cmp_gt_u32_e32 vcc, s17, v0
	v_bfe_i32 v1, v1, 0, 16
	v_cndmask_b32_e32 v0, v2, v3, vcc
	s_brev_b32 s16, 1
	v_and_or_b32 v0, v1, s16, v0
.LBB17_194:
	s_or_b64 exec, exec, s[14:15]
	s_or_b64 s[14:15], s[10:11], exec
                                        ; implicit-def: $vgpr3
.LBB17_195:
	s_or_saveexec_b64 s[6:7], s[6:7]
	s_mov_b64 s[18:19], 0
	s_mov_b64 s[16:17], s[12:13]
	s_xor_b64 exec, exec, s[6:7]
	s_cbranch_execz .LBB17_203
; %bb.196:
	v_mov_b32_e32 v0, 14
	v_cmp_gt_i16_sdwa s[20:21], v3, v0 src0_sel:BYTE_0 src1_sel:DWORD
	s_mov_b64 s[16:17], s[12:13]
	s_mov_b64 s[18:19], s[14:15]
                                        ; implicit-def: $vgpr0
	s_and_saveexec_b64 s[22:23], s[20:21]
	s_xor_b64 s[20:21], exec, s[22:23]
	s_cbranch_execz .LBB17_200
; %bb.197:
	v_mov_b32_e32 v0, 15
	v_cmp_eq_u16_sdwa s[24:25], v3, v0 src0_sel:BYTE_0 src1_sel:DWORD
	s_mov_b64 s[16:17], -1
	s_mov_b64 s[18:19], s[14:15]
                                        ; implicit-def: $vgpr0
	s_and_saveexec_b64 s[22:23], s[24:25]
	s_cbranch_execz .LBB17_199
; %bb.198:
	flat_load_ushort v0, v[4:5]
	s_or_b64 s[18:19], s[14:15], exec
	s_xor_b64 s[16:17], exec, -1
	s_waitcnt vmcnt(0) lgkmcnt(0)
	v_lshlrev_b32_e32 v0, 16, v0
.LBB17_199:
	s_or_b64 exec, exec, s[22:23]
	s_andn2_b64 s[22:23], s[14:15], exec
	s_and_b64 s[18:19], s[18:19], exec
	s_or_b64 s[18:19], s[22:23], s[18:19]
	s_andn2_b64 s[22:23], s[12:13], exec
	s_and_b64 s[16:17], s[16:17], exec
	s_or_b64 s[16:17], s[22:23], s[16:17]
                                        ; implicit-def: $vgpr3
.LBB17_200:
	s_or_saveexec_b64 s[20:21], s[20:21]
	s_mov_b64 s[22:23], 0
	s_xor_b64 exec, exec, s[20:21]
; %bb.201:
	v_mov_b32_e32 v1, 11
	v_cmp_ne_u16_sdwa s[24:25], v3, v1 src0_sel:BYTE_0 src1_sel:DWORD
	s_andn2_b64 s[16:17], s[16:17], exec
	s_and_b64 s[24:25], s[24:25], exec
	s_mov_b64 s[22:23], exec
	s_or_b64 s[16:17], s[16:17], s[24:25]
; %bb.202:
	s_or_b64 exec, exec, s[20:21]
	s_andn2_b64 s[14:15], s[14:15], exec
	s_and_b64 s[18:19], s[18:19], exec
	s_andn2_b64 s[20:21], s[12:13], exec
	s_and_b64 s[16:17], s[16:17], exec
	s_or_b64 s[14:15], s[14:15], s[18:19]
	s_and_b64 s[18:19], s[22:23], exec
	s_or_b64 s[16:17], s[20:21], s[16:17]
.LBB17_203:
	s_or_b64 exec, exec, s[6:7]
	s_andn2_b64 s[6:7], s[10:11], exec
	s_and_b64 s[10:11], s[14:15], exec
	s_andn2_b64 s[12:13], s[12:13], exec
	s_and_b64 s[14:15], s[16:17], exec
	v_mov_b32_e32 v1, 0
	s_or_b64 s[10:11], s[6:7], s[10:11]
	s_and_b64 s[6:7], s[18:19], exec
	s_or_b64 s[12:13], s[12:13], s[14:15]
	s_or_b64 exec, exec, s[8:9]
	s_and_saveexec_b64 s[8:9], s[12:13]
	s_cbranch_execz .LBB17_7
.LBB17_204:
	s_trap 2
	; divergent unreachable
	s_andn2_b64 s[6:7], s[6:7], exec
	s_or_b64 exec, exec, s[8:9]
	s_and_saveexec_b64 s[8:9], s[6:7]
	s_xor_b64 s[6:7], exec, s[8:9]
	s_cbranch_execnz .LBB17_8
	s_branch .LBB17_9
.LBB17_205:
	s_movk_i32 s18, 0x80
	v_cmp_eq_u16_e32 vcc, s18, v1
	s_mov_b64 s[18:19], -1
	s_and_saveexec_b64 s[22:23], vcc
; %bb.206:
	s_xor_b64 s[18:19], exec, -1
; %bb.207:
	s_or_b64 exec, exec, s[22:23]
	s_and_b64 s[18:19], s[18:19], exec
	s_or_saveexec_b64 s[20:21], s[20:21]
	v_mov_b32_e32 v0, 0x7f800001
	s_xor_b64 exec, exec, s[20:21]
	s_cbranch_execz .LBB17_176
.LBB17_208:
	v_cmp_ne_u16_e32 vcc, 0, v1
	s_andn2_b64 s[18:19], s[18:19], exec
	s_and_b64 s[22:23], vcc, exec
	v_mov_b32_e32 v0, 0
	s_or_b64 s[18:19], s[18:19], s[22:23]
	s_or_b64 exec, exec, s[20:21]
	s_and_saveexec_b64 s[20:21], s[18:19]
	s_cbranch_execnz .LBB17_177
	s_branch .LBB17_178
.LBB17_209:
	s_movk_i32 s18, 0x80
	v_cmp_eq_u16_e32 vcc, s18, v1
	s_mov_b64 s[18:19], -1
	s_and_saveexec_b64 s[22:23], vcc
; %bb.210:
	s_xor_b64 s[18:19], exec, -1
; %bb.211:
	s_or_b64 exec, exec, s[22:23]
	s_and_b64 s[18:19], s[18:19], exec
	s_or_saveexec_b64 s[20:21], s[20:21]
	v_mov_b32_e32 v0, 0x7f800001
	s_xor_b64 exec, exec, s[20:21]
	s_cbranch_execz .LBB17_186
.LBB17_212:
	v_cmp_ne_u16_e32 vcc, 0, v1
	s_andn2_b64 s[18:19], s[18:19], exec
	s_and_b64 s[22:23], vcc, exec
	v_mov_b32_e32 v0, 0
	s_or_b64 s[18:19], s[18:19], s[22:23]
	s_or_b64 exec, exec, s[20:21]
	s_and_saveexec_b64 s[20:21], s[18:19]
	s_cbranch_execnz .LBB17_187
	s_branch .LBB17_188
.Lfunc_end17:
	.size	_ZN2at6native6invokeIZZZNS0_16asin_kernel_cudaERNS_18TensorIteratorBaseEENKUlvE_clEvENKUlvE0_clEvEUlN3c107complexIfEEE_i15function_traitsIS9_EEENT1_11result_typeERKT_PrKPcPKT0_PKNS6_10ScalarTypeEi, .Lfunc_end17-_ZN2at6native6invokeIZZZNS0_16asin_kernel_cudaERNS_18TensorIteratorBaseEENKUlvE_clEvENKUlvE0_clEvEUlN3c107complexIfEEE_i15function_traitsIS9_EEENT1_11result_typeERKT_PrKPcPKT0_PKNS6_10ScalarTypeEi
                                        ; -- End function
	.set .L_ZN2at6native6invokeIZZZNS0_16asin_kernel_cudaERNS_18TensorIteratorBaseEENKUlvE_clEvENKUlvE0_clEvEUlN3c107complexIfEEE_i15function_traitsIS9_EEENT1_11result_typeERKT_PrKPcPKT0_PKNS6_10ScalarTypeEi.num_vgpr, 20
	.set .L_ZN2at6native6invokeIZZZNS0_16asin_kernel_cudaERNS_18TensorIteratorBaseEENKUlvE_clEvENKUlvE0_clEvEUlN3c107complexIfEEE_i15function_traitsIS9_EEENT1_11result_typeERKT_PrKPcPKT0_PKNS6_10ScalarTypeEi.num_agpr, 0
	.set .L_ZN2at6native6invokeIZZZNS0_16asin_kernel_cudaERNS_18TensorIteratorBaseEENKUlvE_clEvENKUlvE0_clEvEUlN3c107complexIfEEE_i15function_traitsIS9_EEENT1_11result_typeERKT_PrKPcPKT0_PKNS6_10ScalarTypeEi.numbered_sgpr, 33
	.set .L_ZN2at6native6invokeIZZZNS0_16asin_kernel_cudaERNS_18TensorIteratorBaseEENKUlvE_clEvENKUlvE0_clEvEUlN3c107complexIfEEE_i15function_traitsIS9_EEENT1_11result_typeERKT_PrKPcPKT0_PKNS6_10ScalarTypeEi.num_named_barrier, 0
	.set .L_ZN2at6native6invokeIZZZNS0_16asin_kernel_cudaERNS_18TensorIteratorBaseEENKUlvE_clEvENKUlvE0_clEvEUlN3c107complexIfEEE_i15function_traitsIS9_EEENT1_11result_typeERKT_PrKPcPKT0_PKNS6_10ScalarTypeEi.private_seg_size, 12
	.set .L_ZN2at6native6invokeIZZZNS0_16asin_kernel_cudaERNS_18TensorIteratorBaseEENKUlvE_clEvENKUlvE0_clEvEUlN3c107complexIfEEE_i15function_traitsIS9_EEENT1_11result_typeERKT_PrKPcPKT0_PKNS6_10ScalarTypeEi.uses_vcc, 1
	.set .L_ZN2at6native6invokeIZZZNS0_16asin_kernel_cudaERNS_18TensorIteratorBaseEENKUlvE_clEvENKUlvE0_clEvEUlN3c107complexIfEEE_i15function_traitsIS9_EEENT1_11result_typeERKT_PrKPcPKT0_PKNS6_10ScalarTypeEi.uses_flat_scratch, 0
	.set .L_ZN2at6native6invokeIZZZNS0_16asin_kernel_cudaERNS_18TensorIteratorBaseEENKUlvE_clEvENKUlvE0_clEvEUlN3c107complexIfEEE_i15function_traitsIS9_EEENT1_11result_typeERKT_PrKPcPKT0_PKNS6_10ScalarTypeEi.has_dyn_sized_stack, 0
	.set .L_ZN2at6native6invokeIZZZNS0_16asin_kernel_cudaERNS_18TensorIteratorBaseEENKUlvE_clEvENKUlvE0_clEvEUlN3c107complexIfEEE_i15function_traitsIS9_EEENT1_11result_typeERKT_PrKPcPKT0_PKNS6_10ScalarTypeEi.has_recursion, 0
	.set .L_ZN2at6native6invokeIZZZNS0_16asin_kernel_cudaERNS_18TensorIteratorBaseEENKUlvE_clEvENKUlvE0_clEvEUlN3c107complexIfEEE_i15function_traitsIS9_EEENT1_11result_typeERKT_PrKPcPKT0_PKNS6_10ScalarTypeEi.has_indirect_call, 0
	.section	.AMDGPU.csdata,"",@progbits
; Function info:
; codeLenInByte = 9816
; TotalNumSgprs: 37
; NumVgprs: 20
; ScratchSize: 12
; MemoryBound: 1
	.section	.text._ZN2at6native32elementwise_kernel_manual_unrollILi128ELi4EZNS0_15gpu_kernel_implIZZZNS0_16asin_kernel_cudaERNS_18TensorIteratorBaseEENKUlvE_clEvENKUlvE0_clEvEUlN3c107complexIfEEE_EEvS4_RKT_EUlibE_EEviT1_,"axG",@progbits,_ZN2at6native32elementwise_kernel_manual_unrollILi128ELi4EZNS0_15gpu_kernel_implIZZZNS0_16asin_kernel_cudaERNS_18TensorIteratorBaseEENKUlvE_clEvENKUlvE0_clEvEUlN3c107complexIfEEE_EEvS4_RKT_EUlibE_EEviT1_,comdat
	.globl	_ZN2at6native32elementwise_kernel_manual_unrollILi128ELi4EZNS0_15gpu_kernel_implIZZZNS0_16asin_kernel_cudaERNS_18TensorIteratorBaseEENKUlvE_clEvENKUlvE0_clEvEUlN3c107complexIfEEE_EEvS4_RKT_EUlibE_EEviT1_ ; -- Begin function _ZN2at6native32elementwise_kernel_manual_unrollILi128ELi4EZNS0_15gpu_kernel_implIZZZNS0_16asin_kernel_cudaERNS_18TensorIteratorBaseEENKUlvE_clEvENKUlvE0_clEvEUlN3c107complexIfEEE_EEvS4_RKT_EUlibE_EEviT1_
	.p2align	8
	.type	_ZN2at6native32elementwise_kernel_manual_unrollILi128ELi4EZNS0_15gpu_kernel_implIZZZNS0_16asin_kernel_cudaERNS_18TensorIteratorBaseEENKUlvE_clEvENKUlvE0_clEvEUlN3c107complexIfEEE_EEvS4_RKT_EUlibE_EEviT1_,@function
_ZN2at6native32elementwise_kernel_manual_unrollILi128ELi4EZNS0_15gpu_kernel_implIZZZNS0_16asin_kernel_cudaERNS_18TensorIteratorBaseEENKUlvE_clEvENKUlvE0_clEvEUlN3c107complexIfEEE_EEvS4_RKT_EUlibE_EEviT1_: ; @_ZN2at6native32elementwise_kernel_manual_unrollILi128ELi4EZNS0_15gpu_kernel_implIZZZNS0_16asin_kernel_cudaERNS_18TensorIteratorBaseEENKUlvE_clEvENKUlvE0_clEvEUlN3c107complexIfEEE_EEvS4_RKT_EUlibE_EEviT1_
; %bb.0:
	v_mov_b32_e32 v1, 0
	global_load_ushort v1, v1, s[4:5] offset:33
	s_load_dword s54, s[4:5], 0x0
	s_load_dwordx2 s[28:29], s[4:5], 0x18
	s_load_dwordx4 s[36:39], s[4:5], 0x8
	s_add_u32 flat_scratch_lo, s6, s9
	s_addc_u32 flat_scratch_hi, s7, 0
	v_lshl_or_b32 v26, s8, 9, v0
	s_add_u32 s0, s0, s9
	v_mov_b32_e32 v2, 8
	v_or_b32_e32 v28, 0x180, v26
	s_addc_u32 s1, s1, 0
	s_mov_b64 s[34:35], 0
	s_waitcnt lgkmcnt(0)
	v_cmp_le_i32_e32 vcc, s54, v28
	s_mov_b64 s[42:43], 0
	s_mov_b32 s32, 0
	s_waitcnt vmcnt(0)
	v_readfirstlane_b32 s33, v1
	v_lshrrev_b32_sdwa v27, v2, v1 dst_sel:DWORD dst_unused:UNUSED_PAD src0_sel:DWORD src1_sel:WORD_0
	s_and_saveexec_b64 s[4:5], vcc
	s_xor_b64 s[40:41], exec, s[4:5]
	s_cbranch_execz .LBB18_508
; %bb.1:
	v_cmp_gt_i32_e32 vcc, s54, v26
	s_mov_b64 s[4:5], -1
	s_mov_b64 s[48:49], 0
	s_and_saveexec_b64 s[44:45], vcc
	s_cbranch_execz .LBB18_124
; %bb.2:
	s_getpc_b64 s[4:5]
	s_add_u32 s4, s4, _ZN2at6native6invokeIZZZNS0_16asin_kernel_cudaERNS_18TensorIteratorBaseEENKUlvE_clEvENKUlvE0_clEvEUlN3c107complexIfEEE_i15function_traitsIS9_EEENT1_11result_typeERKT_PrKPcPKT0_PKNS6_10ScalarTypeEi@rel32@lo+4
	s_addc_u32 s5, s5, _ZN2at6native6invokeIZZZNS0_16asin_kernel_cudaERNS_18TensorIteratorBaseEENKUlvE_clEvENKUlvE0_clEvEUlN3c107complexIfEEE_i15function_traitsIS9_EEENT1_11result_typeERKT_PrKPcPKT0_PKNS6_10ScalarTypeEi@rel32@hi+12
	v_mov_b32_e32 v0, s38
	v_mov_b32_e32 v1, s39
	;; [unrolled: 1-line block ×5, first 2 shown]
	s_swappc_b64 s[30:31], s[4:5]
	v_mul_lo_u32 v2, v26, s28
	v_mov_b32_e32 v3, s37
	s_and_b32 s12, s33, 0xff
	s_cmp_lt_i32 s12, 11
	v_ashrrev_i32_e32 v4, 31, v2
	v_add_co_u32_e32 v2, vcc, s36, v2
	v_addc_co_u32_e32 v3, vcc, v3, v4, vcc
	s_cbranch_scc1 .LBB18_9
; %bb.3:
	s_and_b32 s13, 0xffff, s12
	s_cmp_gt_i32 s13, 25
	s_cbranch_scc0 .LBB18_12
; %bb.4:
	s_cmp_gt_i32 s13, 28
	s_cbranch_scc0 .LBB18_13
; %bb.5:
	;; [unrolled: 3-line block ×4, first 2 shown]
	s_mov_b64 s[8:9], 0
	s_mov_b64 s[4:5], -1
	s_cmp_eq_u32 s13, 46
	s_mov_b64 s[6:7], 0
	s_cbranch_scc0 .LBB18_16
; %bb.8:
	s_movk_i32 s4, 0x7fff
	v_bfe_u32 v5, v1, 16, 1
	v_add3_u32 v5, v1, v5, s4
	v_bfe_u32 v4, v0, 16, 1
	v_and_b32_e32 v5, 0xffff0000, v5
	v_mov_b32_e32 v6, 0x7fc00000
	v_cmp_o_f32_e32 vcc, v1, v1
	v_add3_u32 v4, v0, v4, s4
	v_cndmask_b32_e32 v5, v6, v5, vcc
	v_cmp_o_f32_e32 vcc, v0, v0
	v_mov_b32_e32 v6, 0x7fc0
	v_cndmask_b32_sdwa v4, v6, v4, vcc dst_sel:DWORD dst_unused:UNUSED_PAD src0_sel:DWORD src1_sel:WORD_1
	v_or_b32_e32 v4, v5, v4
	global_store_dword v[2:3], v4, off
	s_mov_b64 s[6:7], -1
	s_mov_b64 s[4:5], 0
	s_branch .LBB18_16
.LBB18_9:
	s_mov_b64 s[4:5], 0
	s_mov_b64 s[6:7], 0
	s_cbranch_execnz .LBB18_84
.LBB18_10:
	s_andn2_b64 vcc, exec, s[6:7]
	s_cbranch_vccnz .LBB18_122
.LBB18_11:
	v_add_u32_e32 v26, 0x80, v26
	s_mov_b64 s[6:7], -1
	s_branch .LBB18_123
.LBB18_12:
	s_mov_b64 s[4:5], 0
	s_mov_b64 s[6:7], 0
	s_cbranch_execnz .LBB18_43
	s_branch .LBB18_83
.LBB18_13:
	s_mov_b64 s[8:9], -1
	s_mov_b64 s[4:5], 0
	s_mov_b64 s[6:7], 0
	s_branch .LBB18_26
.LBB18_14:
	s_mov_b64 s[8:9], -1
	s_mov_b64 s[4:5], 0
	s_mov_b64 s[6:7], 0
	s_branch .LBB18_22
.LBB18_15:
	s_mov_b64 s[8:9], -1
	s_mov_b64 s[4:5], 0
	s_mov_b64 s[6:7], 0
.LBB18_16:
	s_and_b64 vcc, exec, s[8:9]
	s_cbranch_vccz .LBB18_21
; %bb.17:
	s_cmp_eq_u32 s13, 44
	s_mov_b64 s[4:5], -1
	s_cbranch_scc0 .LBB18_21
; %bb.18:
	v_bfe_u32 v4, v0, 23, 8
	s_movk_i32 s4, 0xff
	v_cmp_ne_u32_e32 vcc, s4, v4
	v_mov_b32_e32 v5, 0xff
	s_and_saveexec_b64 s[6:7], vcc
; %bb.19:
	s_mov_b32 s4, 0x3fffff
	v_and_b32_e32 v6, 0x400000, v0
	v_and_or_b32 v4, v0, s4, v4
	v_cmp_ne_u32_e32 vcc, 0, v6
	v_cmp_ne_u32_e64 s[4:5], 0, v4
	s_and_b64 s[4:5], vcc, s[4:5]
	v_lshrrev_b32_e32 v5, 23, v0
	v_cndmask_b32_e64 v4, 0, 1, s[4:5]
	v_add_u32_e32 v5, v5, v4
; %bb.20:
	s_or_b64 exec, exec, s[6:7]
	s_mov_b64 s[6:7], -1
	s_mov_b64 s[4:5], 0
	global_store_byte v[2:3], v5, off
.LBB18_21:
	s_mov_b64 s[8:9], 0
.LBB18_22:
	s_and_b64 vcc, exec, s[8:9]
	s_cbranch_vccz .LBB18_25
; %bb.23:
	s_cmp_eq_u32 s13, 29
	s_mov_b64 s[4:5], -1
	s_cbranch_scc0 .LBB18_25
; %bb.24:
	v_trunc_f32_e32 v4, v0
	v_mul_f32_e32 v5, 0x2f800000, v4
	v_floor_f32_e32 v6, v5
	v_fmac_f32_e32 v4, 0xcf800000, v6
	v_cvt_u32_f32_e32 v5, v6
	v_cvt_u32_f32_e32 v4, v4
	s_mov_b64 s[6:7], -1
	s_mov_b64 s[4:5], 0
	s_mov_b64 s[8:9], 0
	global_store_dwordx2 v[2:3], v[4:5], off
	s_branch .LBB18_26
.LBB18_25:
	s_mov_b64 s[8:9], 0
.LBB18_26:
	s_and_b64 vcc, exec, s[8:9]
	s_cbranch_vccz .LBB18_42
; %bb.27:
	s_cmp_lt_i32 s13, 27
	s_mov_b64 s[6:7], -1
	s_cbranch_scc1 .LBB18_33
; %bb.28:
	v_cvt_u32_f32_e32 v4, v0
	s_cmp_gt_i32 s13, 27
	s_cbranch_scc0 .LBB18_30
; %bb.29:
	s_mov_b64 s[6:7], 0
	global_store_dword v[2:3], v4, off
.LBB18_30:
	s_andn2_b64 vcc, exec, s[6:7]
	s_cbranch_vccnz .LBB18_32
; %bb.31:
	global_store_short v[2:3], v4, off
.LBB18_32:
	s_mov_b64 s[6:7], 0
.LBB18_33:
	s_andn2_b64 vcc, exec, s[6:7]
	s_cbranch_vccnz .LBB18_41
; %bb.34:
	v_and_b32_e32 v4, 0x7fffffff, v0
	s_mov_b32 s6, 0x43800000
	v_cmp_gt_u32_e32 vcc, s6, v4
	v_mov_b32_e32 v5, 0x80
	s_and_saveexec_b64 s[6:7], vcc
	s_cbranch_execz .LBB18_40
; %bb.35:
	s_mov_b32 s8, 0x3bffffff
	v_cmp_lt_u32_e32 vcc, s8, v4
	s_mov_b64 s[8:9], 0
                                        ; implicit-def: $vgpr4
	s_and_saveexec_b64 s[10:11], vcc
	s_xor_b64 s[10:11], exec, s[10:11]
	s_cbranch_execz .LBB18_141
; %bb.36:
	v_bfe_u32 v4, v0, 20, 1
	s_mov_b32 s14, 0x487ffff
	v_add3_u32 v4, v0, v4, s14
	s_mov_b64 s[8:9], exec
	v_lshrrev_b32_e32 v4, 20, v4
	s_andn2_saveexec_b64 s[10:11], s[10:11]
	s_cbranch_execnz .LBB18_142
.LBB18_37:
	s_or_b64 exec, exec, s[10:11]
	v_mov_b32_e32 v5, 0
	s_and_saveexec_b64 s[10:11], s[8:9]
.LBB18_38:
	v_lshrrev_b32_e32 v5, 24, v0
	s_movk_i32 s8, 0x80
	v_and_or_b32 v5, v5, s8, v4
.LBB18_39:
	s_or_b64 exec, exec, s[10:11]
.LBB18_40:
	s_or_b64 exec, exec, s[6:7]
	global_store_byte v[2:3], v5, off
.LBB18_41:
	s_mov_b64 s[6:7], -1
.LBB18_42:
	s_branch .LBB18_83
.LBB18_43:
	s_cmp_gt_i32 s13, 22
	s_mov_b64 s[8:9], -1
	s_cbranch_scc0 .LBB18_75
; %bb.44:
	s_cmp_lt_i32 s13, 24
	s_mov_b64 s[6:7], -1
	s_cbranch_scc1 .LBB18_64
; %bb.45:
	s_cmp_gt_i32 s13, 24
	s_cbranch_scc0 .LBB18_53
; %bb.46:
	v_and_b32_e32 v4, 0x7fffffff, v0
	s_mov_b32 s6, 0x47800000
	v_cmp_gt_u32_e32 vcc, s6, v4
	v_mov_b32_e32 v5, 0x80
	s_and_saveexec_b64 s[6:7], vcc
	s_cbranch_execz .LBB18_52
; %bb.47:
	s_mov_b32 s8, 0x37ffffff
	v_cmp_lt_u32_e32 vcc, s8, v4
	s_mov_b64 s[8:9], 0
                                        ; implicit-def: $vgpr4
	s_and_saveexec_b64 s[10:11], vcc
	s_xor_b64 s[10:11], exec, s[10:11]
	s_cbranch_execz .LBB18_144
; %bb.48:
	v_bfe_u32 v4, v0, 21, 1
	s_mov_b32 s14, 0x88fffff
	v_add3_u32 v4, v0, v4, s14
	s_mov_b64 s[8:9], exec
	v_lshrrev_b32_e32 v4, 21, v4
	s_andn2_saveexec_b64 s[10:11], s[10:11]
	s_cbranch_execnz .LBB18_145
.LBB18_49:
	s_or_b64 exec, exec, s[10:11]
	v_mov_b32_e32 v5, 0
	s_and_saveexec_b64 s[10:11], s[8:9]
.LBB18_50:
	v_lshrrev_b32_e32 v5, 24, v0
	s_movk_i32 s8, 0x80
	v_and_or_b32 v5, v5, s8, v4
.LBB18_51:
	s_or_b64 exec, exec, s[10:11]
.LBB18_52:
	s_or_b64 exec, exec, s[6:7]
	s_mov_b64 s[6:7], 0
	global_store_byte v[2:3], v5, off
.LBB18_53:
	s_and_b64 vcc, exec, s[6:7]
	s_cbranch_vccz .LBB18_63
; %bb.54:
	v_and_b32_e32 v5, 0x7fffffff, v0
	s_mov_b32 s6, 0x43f00000
	v_cmp_gt_u32_e32 vcc, s6, v5
                                        ; implicit-def: $vgpr4
	s_and_saveexec_b64 s[6:7], vcc
	s_xor_b64 s[6:7], exec, s[6:7]
	s_cbranch_execz .LBB18_60
; %bb.55:
	s_mov_b32 s8, 0x3c7fffff
	v_cmp_lt_u32_e32 vcc, s8, v5
                                        ; implicit-def: $vgpr4
	s_and_saveexec_b64 s[8:9], vcc
	s_xor_b64 s[8:9], exec, s[8:9]
; %bb.56:
	v_bfe_u32 v4, v0, 20, 1
	s_mov_b32 s10, 0x407ffff
	v_add3_u32 v4, v0, v4, s10
	v_lshrrev_b32_e32 v5, 20, v4
	v_and_b32_e32 v4, 0xff00000, v4
	s_mov_b32 s10, 0x7f00000
	v_mov_b32_e32 v6, 0x7e
	v_cmp_ne_u32_e32 vcc, s10, v4
	v_cndmask_b32_e32 v4, v6, v5, vcc
; %bb.57:
	s_andn2_saveexec_b64 s[8:9], s[8:9]
; %bb.58:
	s_mov_b32 s10, 0x46800000
	v_add_f32_e64 v4, |v0|, s10
; %bb.59:
	s_or_b64 exec, exec, s[8:9]
                                        ; implicit-def: $vgpr5
.LBB18_60:
	s_andn2_saveexec_b64 s[6:7], s[6:7]
; %bb.61:
	s_mov_b32 s8, 0x7f800000
	v_mov_b32_e32 v4, 0x7e
	v_mov_b32_e32 v6, 0x7f
	v_cmp_lt_u32_e32 vcc, s8, v5
	v_cndmask_b32_e32 v4, v4, v6, vcc
; %bb.62:
	s_or_b64 exec, exec, s[6:7]
	v_lshrrev_b32_e32 v5, 24, v0
	s_movk_i32 s6, 0x80
	v_and_or_b32 v4, v5, s6, v4
	global_store_byte v[2:3], v4, off
.LBB18_63:
	s_mov_b64 s[6:7], 0
.LBB18_64:
	s_andn2_b64 vcc, exec, s[6:7]
	s_cbranch_vccnz .LBB18_74
; %bb.65:
	v_and_b32_e32 v5, 0x7fffffff, v0
	s_mov_b32 s6, 0x47800000
	v_cmp_gt_u32_e32 vcc, s6, v5
                                        ; implicit-def: $vgpr4
	s_and_saveexec_b64 s[6:7], vcc
	s_xor_b64 s[6:7], exec, s[6:7]
	s_cbranch_execz .LBB18_71
; %bb.66:
	s_mov_b32 s8, 0x387fffff
	v_cmp_lt_u32_e32 vcc, s8, v5
                                        ; implicit-def: $vgpr4
	s_and_saveexec_b64 s[8:9], vcc
	s_xor_b64 s[8:9], exec, s[8:9]
; %bb.67:
	v_bfe_u32 v4, v0, 21, 1
	s_mov_b32 s10, 0x80fffff
	v_add3_u32 v4, v0, v4, s10
	v_lshrrev_b32_e32 v4, 21, v4
; %bb.68:
	s_andn2_saveexec_b64 s[8:9], s[8:9]
; %bb.69:
	s_mov_b32 s10, 0x43000000
	v_add_f32_e64 v4, |v0|, s10
; %bb.70:
	s_or_b64 exec, exec, s[8:9]
                                        ; implicit-def: $vgpr5
.LBB18_71:
	s_andn2_saveexec_b64 s[6:7], s[6:7]
; %bb.72:
	s_mov_b32 s8, 0x7f800000
	v_mov_b32_e32 v4, 0x7c
	v_mov_b32_e32 v6, 0x7f
	v_cmp_lt_u32_e32 vcc, s8, v5
	v_cndmask_b32_e32 v4, v4, v6, vcc
; %bb.73:
	s_or_b64 exec, exec, s[6:7]
	v_lshrrev_b32_e32 v5, 24, v0
	s_movk_i32 s6, 0x80
	v_and_or_b32 v4, v5, s6, v4
	global_store_byte v[2:3], v4, off
.LBB18_74:
	s_mov_b64 s[8:9], 0
	s_mov_b64 s[6:7], -1
.LBB18_75:
	s_andn2_b64 vcc, exec, s[8:9]
	s_cbranch_vccnz .LBB18_83
; %bb.76:
	s_cmp_gt_i32 s13, 14
	s_mov_b64 s[8:9], -1
	s_cbranch_scc0 .LBB18_80
; %bb.77:
	s_cmp_eq_u32 s13, 15
	s_mov_b64 s[4:5], -1
	s_cbranch_scc0 .LBB18_79
; %bb.78:
	v_bfe_u32 v4, v0, 16, 1
	s_movk_i32 s4, 0x7fff
	v_add3_u32 v4, v0, v4, s4
	v_cmp_o_f32_e32 vcc, v0, v0
	v_mov_b32_e32 v5, 0x7fc0
	v_cndmask_b32_sdwa v4, v5, v4, vcc dst_sel:DWORD dst_unused:UNUSED_PAD src0_sel:DWORD src1_sel:WORD_1
	global_store_short v[2:3], v4, off
	s_mov_b64 s[6:7], -1
	s_mov_b64 s[4:5], 0
.LBB18_79:
	s_mov_b64 s[8:9], 0
.LBB18_80:
	s_and_b64 vcc, exec, s[8:9]
	s_cbranch_vccz .LBB18_83
; %bb.81:
	s_cmp_eq_u32 s13, 11
	s_mov_b64 s[4:5], -1
	s_cbranch_scc0 .LBB18_83
; %bb.82:
	v_or_b32_e32 v4, v0, v1
	v_and_b32_e32 v4, 0x7fffffff, v4
	v_cmp_ne_u32_e32 vcc, 0, v4
	v_cndmask_b32_e64 v4, 0, 1, vcc
	s_mov_b64 s[6:7], -1
	s_mov_b64 s[4:5], 0
	global_store_byte v[2:3], v4, off
.LBB18_83:
	s_branch .LBB18_10
.LBB18_84:
	s_and_b32 s8, 0xffff, s12
	s_cmp_lt_i32 s8, 5
	s_mov_b64 s[6:7], -1
	s_cbranch_scc1 .LBB18_105
; %bb.85:
	s_cmp_lt_i32 s8, 8
	s_cbranch_scc1 .LBB18_95
; %bb.86:
	s_cmp_lt_i32 s8, 9
	s_cbranch_scc1 .LBB18_92
; %bb.87:
	s_cmp_gt_i32 s8, 9
	s_cbranch_scc0 .LBB18_89
; %bb.88:
	v_cvt_f64_f32_e32 v[4:5], v0
	v_cvt_f64_f32_e32 v[6:7], v1
	s_mov_b64 s[6:7], 0
	global_store_dwordx4 v[2:3], v[4:7], off
.LBB18_89:
	s_andn2_b64 vcc, exec, s[6:7]
	s_cbranch_vccnz .LBB18_91
; %bb.90:
	global_store_dwordx2 v[2:3], v[0:1], off
.LBB18_91:
	s_mov_b64 s[6:7], 0
.LBB18_92:
	s_andn2_b64 vcc, exec, s[6:7]
	s_cbranch_vccnz .LBB18_94
; %bb.93:
	v_cvt_f16_f32_e32 v4, v0
	v_cvt_f16_f32_sdwa v1, v1 dst_sel:WORD_1 dst_unused:UNUSED_PAD src0_sel:DWORD
	v_or_b32_e32 v1, v1, v4
	global_store_dword v[2:3], v1, off
.LBB18_94:
	s_mov_b64 s[6:7], 0
.LBB18_95:
	s_andn2_b64 vcc, exec, s[6:7]
	s_cbranch_vccnz .LBB18_104
; %bb.96:
	s_cmp_lt_i32 s8, 6
	s_mov_b64 s[6:7], -1
	s_cbranch_scc1 .LBB18_102
; %bb.97:
	s_cmp_gt_i32 s8, 6
	s_cbranch_scc0 .LBB18_99
; %bb.98:
	v_cvt_f64_f32_e32 v[4:5], v0
	s_mov_b64 s[6:7], 0
	global_store_dwordx2 v[2:3], v[4:5], off
.LBB18_99:
	s_andn2_b64 vcc, exec, s[6:7]
	s_cbranch_vccnz .LBB18_101
; %bb.100:
	global_store_dword v[2:3], v0, off
.LBB18_101:
	s_mov_b64 s[6:7], 0
.LBB18_102:
	s_andn2_b64 vcc, exec, s[6:7]
	s_cbranch_vccnz .LBB18_104
; %bb.103:
	v_cvt_f16_f32_e32 v1, v0
	global_store_short v[2:3], v1, off
.LBB18_104:
	s_mov_b64 s[6:7], 0
.LBB18_105:
	s_andn2_b64 vcc, exec, s[6:7]
	s_cbranch_vccnz .LBB18_121
; %bb.106:
	s_cmp_lt_i32 s8, 2
	s_mov_b64 s[6:7], -1
	s_cbranch_scc1 .LBB18_116
; %bb.107:
	s_cmp_lt_i32 s8, 3
	s_cbranch_scc1 .LBB18_113
; %bb.108:
	s_cmp_gt_i32 s8, 3
	s_cbranch_scc0 .LBB18_110
; %bb.109:
	v_trunc_f32_e32 v1, v0
	s_mov_b32 s6, 0x2f800000
	v_mul_f32_e64 v4, |v1|, s6
	v_floor_f32_e32 v4, v4
	s_mov_b32 s6, 0xcf800000
	v_cvt_u32_f32_e32 v5, v4
	v_fma_f32 v4, v4, s6, |v1|
	v_cvt_u32_f32_e32 v4, v4
	v_ashrrev_i32_e32 v1, 31, v1
	v_xor_b32_e32 v5, v5, v1
	s_mov_b64 s[6:7], 0
	v_xor_b32_e32 v4, v4, v1
	v_sub_co_u32_e32 v4, vcc, v4, v1
	v_subb_co_u32_e32 v5, vcc, v5, v1, vcc
	global_store_dwordx2 v[2:3], v[4:5], off
.LBB18_110:
	s_andn2_b64 vcc, exec, s[6:7]
	s_cbranch_vccnz .LBB18_112
; %bb.111:
	v_cvt_i32_f32_e32 v1, v0
	global_store_dword v[2:3], v1, off
.LBB18_112:
	s_mov_b64 s[6:7], 0
.LBB18_113:
	s_andn2_b64 vcc, exec, s[6:7]
	s_cbranch_vccnz .LBB18_115
; %bb.114:
	v_cvt_i32_f32_e32 v1, v0
	global_store_short v[2:3], v1, off
.LBB18_115:
	s_mov_b64 s[6:7], 0
.LBB18_116:
	s_andn2_b64 vcc, exec, s[6:7]
	s_cbranch_vccnz .LBB18_121
; %bb.117:
	s_cmp_gt_i32 s8, 0
	s_mov_b64 s[6:7], -1
	s_cbranch_scc0 .LBB18_119
; %bb.118:
	v_cvt_i32_f32_e32 v1, v0
	s_mov_b64 s[6:7], 0
	global_store_byte v[2:3], v1, off
.LBB18_119:
	s_andn2_b64 vcc, exec, s[6:7]
	s_cbranch_vccnz .LBB18_121
; %bb.120:
	v_trunc_f32_e32 v0, v0
	s_mov_b32 s6, 0x2f800000
	v_mul_f32_e64 v1, |v0|, s6
	v_floor_f32_e32 v1, v1
	s_mov_b32 s6, 0xcf800000
	v_fma_f32 v1, v1, s6, |v0|
	v_cvt_u32_f32_e32 v1, v1
	v_ashrrev_i32_e32 v0, 31, v0
	v_xor_b32_e32 v1, v1, v0
	v_sub_u32_e32 v0, v1, v0
	global_store_byte v[2:3], v0, off
.LBB18_121:
	s_branch .LBB18_11
.LBB18_122:
	s_mov_b64 s[6:7], 0
                                        ; implicit-def: $vgpr26
.LBB18_123:
	s_and_b64 s[42:43], s[4:5], exec
	s_orn2_b64 s[4:5], s[6:7], exec
.LBB18_124:
	s_or_b64 exec, exec, s[44:45]
	s_mov_b64 s[6:7], 0
                                        ; implicit-def: $sgpr14
                                        ; implicit-def: $vgpr2_vgpr3
                                        ; implicit-def: $vgpr0
	s_and_saveexec_b64 s[44:45], s[4:5]
	s_cbranch_execz .LBB18_133
; %bb.125:
	v_cmp_gt_i32_e32 vcc, s54, v26
	s_mov_b64 s[8:9], -1
	s_mov_b64 s[46:47], s[42:43]
	s_and_saveexec_b64 s[48:49], vcc
	s_cbranch_execz .LBB18_256
; %bb.126:
	s_getpc_b64 s[4:5]
	s_add_u32 s4, s4, _ZN2at6native6invokeIZZZNS0_16asin_kernel_cudaERNS_18TensorIteratorBaseEENKUlvE_clEvENKUlvE0_clEvEUlN3c107complexIfEEE_i15function_traitsIS9_EEENT1_11result_typeERKT_PrKPcPKT0_PKNS6_10ScalarTypeEi@rel32@lo+4
	s_addc_u32 s5, s5, _ZN2at6native6invokeIZZZNS0_16asin_kernel_cudaERNS_18TensorIteratorBaseEENKUlvE_clEvENKUlvE0_clEvEUlN3c107complexIfEEE_i15function_traitsIS9_EEENT1_11result_typeERKT_PrKPcPKT0_PKNS6_10ScalarTypeEi@rel32@hi+12
	v_mov_b32_e32 v0, s38
	v_mov_b32_e32 v1, s39
	;; [unrolled: 1-line block ×5, first 2 shown]
	s_swappc_b64 s[30:31], s[4:5]
	v_mul_lo_u32 v2, v26, s28
	v_mov_b32_e32 v3, s37
	s_and_b32 s12, s33, 0xff
	s_cmp_lt_i32 s12, 11
	v_ashrrev_i32_e32 v4, 31, v2
	v_add_co_u32_e32 v2, vcc, s36, v2
	v_addc_co_u32_e32 v3, vcc, v3, v4, vcc
	s_cbranch_scc1 .LBB18_136
; %bb.127:
	s_and_b32 s13, 0xffff, s12
	s_cmp_gt_i32 s13, 25
	s_cbranch_scc0 .LBB18_139
; %bb.128:
	s_cmp_gt_i32 s13, 28
	s_cbranch_scc0 .LBB18_140
; %bb.129:
	;; [unrolled: 3-line block ×4, first 2 shown]
	s_mov_b64 s[8:9], 0
	s_mov_b64 s[4:5], -1
	s_cmp_eq_u32 s13, 46
	s_mov_b64 s[6:7], 0
	s_cbranch_scc0 .LBB18_147
; %bb.132:
	s_movk_i32 s4, 0x7fff
	v_bfe_u32 v5, v1, 16, 1
	v_add3_u32 v5, v1, v5, s4
	v_bfe_u32 v4, v0, 16, 1
	v_and_b32_e32 v5, 0xffff0000, v5
	v_mov_b32_e32 v6, 0x7fc00000
	v_cmp_o_f32_e32 vcc, v1, v1
	v_add3_u32 v4, v0, v4, s4
	v_cndmask_b32_e32 v5, v6, v5, vcc
	v_cmp_o_f32_e32 vcc, v0, v0
	v_mov_b32_e32 v6, 0x7fc0
	v_cndmask_b32_sdwa v4, v6, v4, vcc dst_sel:DWORD dst_unused:UNUSED_PAD src0_sel:DWORD src1_sel:WORD_1
	v_or_b32_e32 v4, v5, v4
	global_store_dword v[2:3], v4, off
	s_mov_b64 s[6:7], -1
	s_mov_b64 s[4:5], 0
	s_branch .LBB18_147
.LBB18_133:
	s_or_b64 exec, exec, s[44:45]
	s_mov_b64 s[4:5], 0
	s_and_saveexec_b64 s[8:9], s[42:43]
	s_cbranch_execnz .LBB18_468
.LBB18_134:
	s_or_b64 exec, exec, s[8:9]
	s_and_saveexec_b64 s[8:9], s[48:49]
	s_xor_b64 s[8:9], exec, s[8:9]
	s_cbranch_execz .LBB18_469
.LBB18_135:
	v_or_b32_e32 v4, v0, v1
	v_and_b32_e32 v4, 0x7fffffff, v4
	v_cmp_ne_u32_e32 vcc, 0, v4
	v_cndmask_b32_e64 v4, 0, 1, vcc
	global_store_byte v[2:3], v4, off
	s_or_b64 exec, exec, s[8:9]
	s_and_saveexec_b64 s[8:9], s[6:7]
	s_xor_b64 s[6:7], exec, s[8:9]
	s_cbranch_execz .LBB18_507
	s_branch .LBB18_470
.LBB18_136:
	s_mov_b64 s[6:7], 0
	s_mov_b64 s[4:5], s[42:43]
	s_cbranch_execnz .LBB18_216
.LBB18_137:
	s_andn2_b64 vcc, exec, s[6:7]
	s_cbranch_vccnz .LBB18_254
.LBB18_138:
	v_add_u32_e32 v26, 0x80, v26
	s_mov_b64 s[6:7], -1
	s_branch .LBB18_255
.LBB18_139:
	s_mov_b64 s[8:9], -1
	s_mov_b64 s[6:7], 0
	s_mov_b64 s[4:5], s[42:43]
	s_branch .LBB18_174
.LBB18_140:
	s_mov_b64 s[8:9], -1
	s_mov_b64 s[6:7], 0
	s_mov_b64 s[4:5], s[42:43]
	s_branch .LBB18_157
.LBB18_141:
	s_andn2_saveexec_b64 s[10:11], s[10:11]
	s_cbranch_execz .LBB18_37
.LBB18_142:
	s_mov_b32 s14, 0x46000000
	v_add_f32_e64 v4, |v0|, s14
	v_and_b32_e32 v4, 0xff, v4
	v_cmp_ne_u32_e32 vcc, 0, v4
	s_andn2_b64 s[8:9], s[8:9], exec
	s_and_b64 s[14:15], vcc, exec
	s_or_b64 s[8:9], s[8:9], s[14:15]
	s_or_b64 exec, exec, s[10:11]
	v_mov_b32_e32 v5, 0
	s_and_saveexec_b64 s[10:11], s[8:9]
	s_cbranch_execnz .LBB18_38
	s_branch .LBB18_39
.LBB18_143:
	s_mov_b64 s[8:9], -1
	s_mov_b64 s[6:7], 0
	s_mov_b64 s[4:5], s[42:43]
	s_branch .LBB18_153
.LBB18_144:
	s_andn2_saveexec_b64 s[10:11], s[10:11]
	s_cbranch_execz .LBB18_49
.LBB18_145:
	s_mov_b32 s14, 0x42800000
	v_add_f32_e64 v4, |v0|, s14
	v_and_b32_e32 v4, 0xff, v4
	v_cmp_ne_u32_e32 vcc, 0, v4
	s_andn2_b64 s[8:9], s[8:9], exec
	s_and_b64 s[14:15], vcc, exec
	s_or_b64 s[8:9], s[8:9], s[14:15]
	s_or_b64 exec, exec, s[10:11]
	v_mov_b32_e32 v5, 0
	s_and_saveexec_b64 s[10:11], s[8:9]
	s_cbranch_execnz .LBB18_50
	s_branch .LBB18_51
.LBB18_146:
	s_mov_b64 s[8:9], -1
	s_mov_b64 s[6:7], 0
	s_mov_b64 s[4:5], s[42:43]
.LBB18_147:
	s_and_b64 vcc, exec, s[8:9]
	s_cbranch_vccz .LBB18_152
; %bb.148:
	s_cmp_eq_u32 s13, 44
	s_mov_b64 s[4:5], -1
	s_cbranch_scc0 .LBB18_152
; %bb.149:
	v_bfe_u32 v4, v0, 23, 8
	s_movk_i32 s4, 0xff
	v_cmp_ne_u32_e32 vcc, s4, v4
	v_mov_b32_e32 v5, 0xff
	s_and_saveexec_b64 s[6:7], vcc
; %bb.150:
	s_mov_b32 s4, 0x3fffff
	v_and_b32_e32 v6, 0x400000, v0
	v_and_or_b32 v4, v0, s4, v4
	v_cmp_ne_u32_e32 vcc, 0, v6
	v_cmp_ne_u32_e64 s[4:5], 0, v4
	s_and_b64 s[4:5], vcc, s[4:5]
	v_lshrrev_b32_e32 v5, 23, v0
	v_cndmask_b32_e64 v4, 0, 1, s[4:5]
	v_add_u32_e32 v5, v5, v4
; %bb.151:
	s_or_b64 exec, exec, s[6:7]
	s_mov_b64 s[6:7], -1
	s_mov_b64 s[4:5], 0
	global_store_byte v[2:3], v5, off
.LBB18_152:
	s_mov_b64 s[8:9], 0
.LBB18_153:
	s_and_b64 vcc, exec, s[8:9]
	s_cbranch_vccz .LBB18_156
; %bb.154:
	s_cmp_eq_u32 s13, 29
	s_mov_b64 s[4:5], -1
	s_cbranch_scc0 .LBB18_156
; %bb.155:
	v_trunc_f32_e32 v4, v0
	v_mul_f32_e32 v5, 0x2f800000, v4
	v_floor_f32_e32 v6, v5
	v_fmac_f32_e32 v4, 0xcf800000, v6
	v_cvt_u32_f32_e32 v5, v6
	v_cvt_u32_f32_e32 v4, v4
	s_mov_b64 s[6:7], -1
	s_mov_b64 s[4:5], 0
	s_mov_b64 s[8:9], 0
	global_store_dwordx2 v[2:3], v[4:5], off
	s_branch .LBB18_157
.LBB18_156:
	s_mov_b64 s[8:9], 0
.LBB18_157:
	s_and_b64 vcc, exec, s[8:9]
	s_cbranch_vccz .LBB18_173
; %bb.158:
	s_cmp_lt_i32 s13, 27
	s_mov_b64 s[6:7], -1
	s_cbranch_scc1 .LBB18_164
; %bb.159:
	v_cvt_u32_f32_e32 v4, v0
	s_cmp_gt_i32 s13, 27
	s_cbranch_scc0 .LBB18_161
; %bb.160:
	s_mov_b64 s[6:7], 0
	global_store_dword v[2:3], v4, off
.LBB18_161:
	s_andn2_b64 vcc, exec, s[6:7]
	s_cbranch_vccnz .LBB18_163
; %bb.162:
	global_store_short v[2:3], v4, off
.LBB18_163:
	s_mov_b64 s[6:7], 0
.LBB18_164:
	s_andn2_b64 vcc, exec, s[6:7]
	s_cbranch_vccnz .LBB18_172
; %bb.165:
	v_and_b32_e32 v4, 0x7fffffff, v0
	s_mov_b32 s6, 0x43800000
	v_cmp_gt_u32_e32 vcc, s6, v4
	v_mov_b32_e32 v5, 0x80
	s_and_saveexec_b64 s[6:7], vcc
	s_cbranch_execz .LBB18_171
; %bb.166:
	s_mov_b32 s8, 0x3bffffff
	v_cmp_lt_u32_e32 vcc, s8, v4
	s_mov_b64 s[8:9], 0
                                        ; implicit-def: $vgpr4
	s_and_saveexec_b64 s[10:11], vcc
	s_xor_b64 s[10:11], exec, s[10:11]
	s_cbranch_execz .LBB18_268
; %bb.167:
	v_bfe_u32 v4, v0, 20, 1
	s_mov_b32 s14, 0x487ffff
	v_add3_u32 v4, v0, v4, s14
	s_mov_b64 s[8:9], exec
	v_lshrrev_b32_e32 v4, 20, v4
	s_andn2_saveexec_b64 s[10:11], s[10:11]
	s_cbranch_execnz .LBB18_269
.LBB18_168:
	s_or_b64 exec, exec, s[10:11]
	v_mov_b32_e32 v5, 0
	s_and_saveexec_b64 s[10:11], s[8:9]
.LBB18_169:
	v_lshrrev_b32_e32 v5, 24, v0
	s_movk_i32 s8, 0x80
	v_and_or_b32 v5, v5, s8, v4
.LBB18_170:
	s_or_b64 exec, exec, s[10:11]
.LBB18_171:
	s_or_b64 exec, exec, s[6:7]
	global_store_byte v[2:3], v5, off
.LBB18_172:
	s_mov_b64 s[6:7], -1
.LBB18_173:
	s_mov_b64 s[8:9], 0
.LBB18_174:
	s_and_b64 vcc, exec, s[8:9]
	s_cbranch_vccz .LBB18_215
; %bb.175:
	s_cmp_gt_i32 s13, 22
	s_mov_b64 s[8:9], -1
	s_cbranch_scc0 .LBB18_207
; %bb.176:
	s_cmp_lt_i32 s13, 24
	s_mov_b64 s[6:7], -1
	s_cbranch_scc1 .LBB18_196
; %bb.177:
	s_cmp_gt_i32 s13, 24
	s_cbranch_scc0 .LBB18_185
; %bb.178:
	v_and_b32_e32 v4, 0x7fffffff, v0
	s_mov_b32 s6, 0x47800000
	v_cmp_gt_u32_e32 vcc, s6, v4
	v_mov_b32_e32 v5, 0x80
	s_and_saveexec_b64 s[6:7], vcc
	s_cbranch_execz .LBB18_184
; %bb.179:
	s_mov_b32 s8, 0x37ffffff
	v_cmp_lt_u32_e32 vcc, s8, v4
	s_mov_b64 s[8:9], 0
                                        ; implicit-def: $vgpr4
	s_and_saveexec_b64 s[10:11], vcc
	s_xor_b64 s[10:11], exec, s[10:11]
	s_cbranch_execz .LBB18_271
; %bb.180:
	v_bfe_u32 v4, v0, 21, 1
	s_mov_b32 s14, 0x88fffff
	v_add3_u32 v4, v0, v4, s14
	s_mov_b64 s[8:9], exec
	v_lshrrev_b32_e32 v4, 21, v4
	s_andn2_saveexec_b64 s[10:11], s[10:11]
	s_cbranch_execnz .LBB18_272
.LBB18_181:
	s_or_b64 exec, exec, s[10:11]
	v_mov_b32_e32 v5, 0
	s_and_saveexec_b64 s[10:11], s[8:9]
.LBB18_182:
	v_lshrrev_b32_e32 v5, 24, v0
	s_movk_i32 s8, 0x80
	v_and_or_b32 v5, v5, s8, v4
.LBB18_183:
	s_or_b64 exec, exec, s[10:11]
.LBB18_184:
	s_or_b64 exec, exec, s[6:7]
	s_mov_b64 s[6:7], 0
	global_store_byte v[2:3], v5, off
.LBB18_185:
	s_and_b64 vcc, exec, s[6:7]
	s_cbranch_vccz .LBB18_195
; %bb.186:
	v_and_b32_e32 v5, 0x7fffffff, v0
	s_mov_b32 s6, 0x43f00000
	v_cmp_gt_u32_e32 vcc, s6, v5
                                        ; implicit-def: $vgpr4
	s_and_saveexec_b64 s[6:7], vcc
	s_xor_b64 s[6:7], exec, s[6:7]
	s_cbranch_execz .LBB18_192
; %bb.187:
	s_mov_b32 s8, 0x3c7fffff
	v_cmp_lt_u32_e32 vcc, s8, v5
                                        ; implicit-def: $vgpr4
	s_and_saveexec_b64 s[8:9], vcc
	s_xor_b64 s[8:9], exec, s[8:9]
; %bb.188:
	v_bfe_u32 v4, v0, 20, 1
	s_mov_b32 s10, 0x407ffff
	v_add3_u32 v4, v0, v4, s10
	v_lshrrev_b32_e32 v5, 20, v4
	v_and_b32_e32 v4, 0xff00000, v4
	s_mov_b32 s10, 0x7f00000
	v_mov_b32_e32 v6, 0x7e
	v_cmp_ne_u32_e32 vcc, s10, v4
	v_cndmask_b32_e32 v4, v6, v5, vcc
; %bb.189:
	s_andn2_saveexec_b64 s[8:9], s[8:9]
; %bb.190:
	s_mov_b32 s10, 0x46800000
	v_add_f32_e64 v4, |v0|, s10
; %bb.191:
	s_or_b64 exec, exec, s[8:9]
                                        ; implicit-def: $vgpr5
.LBB18_192:
	s_andn2_saveexec_b64 s[6:7], s[6:7]
; %bb.193:
	s_mov_b32 s8, 0x7f800000
	v_mov_b32_e32 v4, 0x7e
	v_mov_b32_e32 v6, 0x7f
	v_cmp_lt_u32_e32 vcc, s8, v5
	v_cndmask_b32_e32 v4, v4, v6, vcc
; %bb.194:
	s_or_b64 exec, exec, s[6:7]
	v_lshrrev_b32_e32 v5, 24, v0
	s_movk_i32 s6, 0x80
	v_and_or_b32 v4, v5, s6, v4
	global_store_byte v[2:3], v4, off
.LBB18_195:
	s_mov_b64 s[6:7], 0
.LBB18_196:
	s_andn2_b64 vcc, exec, s[6:7]
	s_cbranch_vccnz .LBB18_206
; %bb.197:
	v_and_b32_e32 v5, 0x7fffffff, v0
	s_mov_b32 s6, 0x47800000
	v_cmp_gt_u32_e32 vcc, s6, v5
                                        ; implicit-def: $vgpr4
	s_and_saveexec_b64 s[6:7], vcc
	s_xor_b64 s[6:7], exec, s[6:7]
	s_cbranch_execz .LBB18_203
; %bb.198:
	s_mov_b32 s8, 0x387fffff
	v_cmp_lt_u32_e32 vcc, s8, v5
                                        ; implicit-def: $vgpr4
	s_and_saveexec_b64 s[8:9], vcc
	s_xor_b64 s[8:9], exec, s[8:9]
; %bb.199:
	v_bfe_u32 v4, v0, 21, 1
	s_mov_b32 s10, 0x80fffff
	v_add3_u32 v4, v0, v4, s10
	v_lshrrev_b32_e32 v4, 21, v4
; %bb.200:
	s_andn2_saveexec_b64 s[8:9], s[8:9]
; %bb.201:
	s_mov_b32 s10, 0x43000000
	v_add_f32_e64 v4, |v0|, s10
; %bb.202:
	s_or_b64 exec, exec, s[8:9]
                                        ; implicit-def: $vgpr5
.LBB18_203:
	s_andn2_saveexec_b64 s[6:7], s[6:7]
; %bb.204:
	s_mov_b32 s8, 0x7f800000
	v_mov_b32_e32 v4, 0x7c
	v_mov_b32_e32 v6, 0x7f
	v_cmp_lt_u32_e32 vcc, s8, v5
	v_cndmask_b32_e32 v4, v4, v6, vcc
; %bb.205:
	s_or_b64 exec, exec, s[6:7]
	v_lshrrev_b32_e32 v5, 24, v0
	s_movk_i32 s6, 0x80
	v_and_or_b32 v4, v5, s6, v4
	global_store_byte v[2:3], v4, off
.LBB18_206:
	s_mov_b64 s[8:9], 0
	s_mov_b64 s[6:7], -1
.LBB18_207:
	s_andn2_b64 vcc, exec, s[8:9]
	s_cbranch_vccnz .LBB18_215
; %bb.208:
	s_cmp_gt_i32 s13, 14
	s_mov_b64 s[8:9], -1
	s_cbranch_scc0 .LBB18_212
; %bb.209:
	s_cmp_eq_u32 s13, 15
	s_mov_b64 s[4:5], -1
	s_cbranch_scc0 .LBB18_211
; %bb.210:
	v_bfe_u32 v4, v0, 16, 1
	s_movk_i32 s4, 0x7fff
	v_add3_u32 v4, v0, v4, s4
	v_cmp_o_f32_e32 vcc, v0, v0
	v_mov_b32_e32 v5, 0x7fc0
	v_cndmask_b32_sdwa v4, v5, v4, vcc dst_sel:DWORD dst_unused:UNUSED_PAD src0_sel:DWORD src1_sel:WORD_1
	global_store_short v[2:3], v4, off
	s_mov_b64 s[6:7], -1
	s_mov_b64 s[4:5], 0
.LBB18_211:
	s_mov_b64 s[8:9], 0
.LBB18_212:
	s_and_b64 vcc, exec, s[8:9]
	s_cbranch_vccz .LBB18_215
; %bb.213:
	s_cmp_eq_u32 s13, 11
	s_mov_b64 s[4:5], -1
	s_cbranch_scc0 .LBB18_215
; %bb.214:
	v_or_b32_e32 v4, v0, v1
	v_and_b32_e32 v4, 0x7fffffff, v4
	v_cmp_ne_u32_e32 vcc, 0, v4
	v_cndmask_b32_e64 v4, 0, 1, vcc
	s_mov_b64 s[6:7], -1
	s_mov_b64 s[4:5], 0
	global_store_byte v[2:3], v4, off
.LBB18_215:
	s_branch .LBB18_137
.LBB18_216:
	s_and_b32 s8, 0xffff, s12
	s_cmp_lt_i32 s8, 5
	s_mov_b64 s[6:7], -1
	s_cbranch_scc1 .LBB18_237
; %bb.217:
	s_cmp_lt_i32 s8, 8
	s_cbranch_scc1 .LBB18_227
; %bb.218:
	s_cmp_lt_i32 s8, 9
	s_cbranch_scc1 .LBB18_224
; %bb.219:
	s_cmp_gt_i32 s8, 9
	s_cbranch_scc0 .LBB18_221
; %bb.220:
	v_cvt_f64_f32_e32 v[4:5], v0
	v_cvt_f64_f32_e32 v[6:7], v1
	s_mov_b64 s[6:7], 0
	global_store_dwordx4 v[2:3], v[4:7], off
.LBB18_221:
	s_andn2_b64 vcc, exec, s[6:7]
	s_cbranch_vccnz .LBB18_223
; %bb.222:
	global_store_dwordx2 v[2:3], v[0:1], off
.LBB18_223:
	s_mov_b64 s[6:7], 0
.LBB18_224:
	s_andn2_b64 vcc, exec, s[6:7]
	s_cbranch_vccnz .LBB18_226
; %bb.225:
	v_cvt_f16_f32_e32 v4, v0
	v_cvt_f16_f32_sdwa v1, v1 dst_sel:WORD_1 dst_unused:UNUSED_PAD src0_sel:DWORD
	v_or_b32_e32 v1, v1, v4
	global_store_dword v[2:3], v1, off
.LBB18_226:
	s_mov_b64 s[6:7], 0
.LBB18_227:
	s_andn2_b64 vcc, exec, s[6:7]
	s_cbranch_vccnz .LBB18_236
; %bb.228:
	s_cmp_lt_i32 s8, 6
	s_mov_b64 s[6:7], -1
	s_cbranch_scc1 .LBB18_234
; %bb.229:
	s_cmp_gt_i32 s8, 6
	s_cbranch_scc0 .LBB18_231
; %bb.230:
	v_cvt_f64_f32_e32 v[4:5], v0
	s_mov_b64 s[6:7], 0
	global_store_dwordx2 v[2:3], v[4:5], off
.LBB18_231:
	s_andn2_b64 vcc, exec, s[6:7]
	s_cbranch_vccnz .LBB18_233
; %bb.232:
	global_store_dword v[2:3], v0, off
.LBB18_233:
	s_mov_b64 s[6:7], 0
.LBB18_234:
	s_andn2_b64 vcc, exec, s[6:7]
	s_cbranch_vccnz .LBB18_236
; %bb.235:
	v_cvt_f16_f32_e32 v1, v0
	global_store_short v[2:3], v1, off
.LBB18_236:
	s_mov_b64 s[6:7], 0
.LBB18_237:
	s_andn2_b64 vcc, exec, s[6:7]
	s_cbranch_vccnz .LBB18_253
; %bb.238:
	s_cmp_lt_i32 s8, 2
	s_mov_b64 s[6:7], -1
	s_cbranch_scc1 .LBB18_248
; %bb.239:
	s_cmp_lt_i32 s8, 3
	s_cbranch_scc1 .LBB18_245
; %bb.240:
	s_cmp_gt_i32 s8, 3
	s_cbranch_scc0 .LBB18_242
; %bb.241:
	v_trunc_f32_e32 v1, v0
	s_mov_b32 s6, 0x2f800000
	v_mul_f32_e64 v4, |v1|, s6
	v_floor_f32_e32 v4, v4
	s_mov_b32 s6, 0xcf800000
	v_cvt_u32_f32_e32 v5, v4
	v_fma_f32 v4, v4, s6, |v1|
	v_cvt_u32_f32_e32 v4, v4
	v_ashrrev_i32_e32 v1, 31, v1
	v_xor_b32_e32 v5, v5, v1
	s_mov_b64 s[6:7], 0
	v_xor_b32_e32 v4, v4, v1
	v_sub_co_u32_e32 v4, vcc, v4, v1
	v_subb_co_u32_e32 v5, vcc, v5, v1, vcc
	global_store_dwordx2 v[2:3], v[4:5], off
.LBB18_242:
	s_andn2_b64 vcc, exec, s[6:7]
	s_cbranch_vccnz .LBB18_244
; %bb.243:
	v_cvt_i32_f32_e32 v1, v0
	global_store_dword v[2:3], v1, off
.LBB18_244:
	s_mov_b64 s[6:7], 0
.LBB18_245:
	s_andn2_b64 vcc, exec, s[6:7]
	s_cbranch_vccnz .LBB18_247
; %bb.246:
	v_cvt_i32_f32_e32 v1, v0
	global_store_short v[2:3], v1, off
.LBB18_247:
	s_mov_b64 s[6:7], 0
.LBB18_248:
	s_andn2_b64 vcc, exec, s[6:7]
	s_cbranch_vccnz .LBB18_253
; %bb.249:
	s_cmp_gt_i32 s8, 0
	s_mov_b64 s[6:7], -1
	s_cbranch_scc0 .LBB18_251
; %bb.250:
	v_cvt_i32_f32_e32 v1, v0
	s_mov_b64 s[6:7], 0
	global_store_byte v[2:3], v1, off
.LBB18_251:
	s_andn2_b64 vcc, exec, s[6:7]
	s_cbranch_vccnz .LBB18_253
; %bb.252:
	v_trunc_f32_e32 v0, v0
	s_mov_b32 s6, 0x2f800000
	v_mul_f32_e64 v1, |v0|, s6
	v_floor_f32_e32 v1, v1
	s_mov_b32 s6, 0xcf800000
	v_fma_f32 v1, v1, s6, |v0|
	v_cvt_u32_f32_e32 v1, v1
	v_ashrrev_i32_e32 v0, 31, v0
	v_xor_b32_e32 v1, v1, v0
	v_sub_u32_e32 v0, v1, v0
	global_store_byte v[2:3], v0, off
.LBB18_253:
	s_branch .LBB18_138
.LBB18_254:
	s_mov_b64 s[6:7], 0
                                        ; implicit-def: $vgpr26
.LBB18_255:
	s_andn2_b64 s[8:9], s[42:43], exec
	s_and_b64 s[4:5], s[4:5], exec
	s_or_b64 s[46:47], s[8:9], s[4:5]
	s_orn2_b64 s[8:9], s[6:7], exec
.LBB18_256:
	s_or_b64 exec, exec, s[48:49]
	s_mov_b64 s[4:5], 0
	s_mov_b64 s[6:7], 0
                                        ; implicit-def: $sgpr14
                                        ; implicit-def: $vgpr2_vgpr3
                                        ; implicit-def: $vgpr0
	s_and_saveexec_b64 s[48:49], s[8:9]
	s_cbranch_execz .LBB18_467
; %bb.257:
	v_cmp_gt_i32_e32 vcc, s54, v26
	s_mov_b64 s[6:7], -1
	s_mov_b64 s[52:53], s[46:47]
	s_and_saveexec_b64 s[50:51], vcc
	s_cbranch_execz .LBB18_386
; %bb.258:
	s_getpc_b64 s[4:5]
	s_add_u32 s4, s4, _ZN2at6native6invokeIZZZNS0_16asin_kernel_cudaERNS_18TensorIteratorBaseEENKUlvE_clEvENKUlvE0_clEvEUlN3c107complexIfEEE_i15function_traitsIS9_EEENT1_11result_typeERKT_PrKPcPKT0_PKNS6_10ScalarTypeEi@rel32@lo+4
	s_addc_u32 s5, s5, _ZN2at6native6invokeIZZZNS0_16asin_kernel_cudaERNS_18TensorIteratorBaseEENKUlvE_clEvENKUlvE0_clEvEUlN3c107complexIfEEE_i15function_traitsIS9_EEENT1_11result_typeERKT_PrKPcPKT0_PKNS6_10ScalarTypeEi@rel32@hi+12
	v_mov_b32_e32 v0, s38
	v_mov_b32_e32 v1, s39
	;; [unrolled: 1-line block ×5, first 2 shown]
	s_swappc_b64 s[30:31], s[4:5]
	v_mul_lo_u32 v2, v26, s28
	v_mov_b32_e32 v3, s37
	s_and_b32 s12, s33, 0xff
	s_cmp_lt_i32 s12, 11
	v_ashrrev_i32_e32 v4, 31, v2
	v_add_co_u32_e32 v2, vcc, s36, v2
	v_addc_co_u32_e32 v3, vcc, v3, v4, vcc
	s_cbranch_scc1 .LBB18_265
; %bb.259:
	s_and_b32 s13, 0xffff, s12
	s_cmp_gt_i32 s13, 25
	s_cbranch_scc0 .LBB18_266
; %bb.260:
	s_cmp_gt_i32 s13, 28
	s_cbranch_scc0 .LBB18_267
; %bb.261:
	;; [unrolled: 3-line block ×4, first 2 shown]
	s_mov_b64 s[8:9], 0
	s_mov_b64 s[4:5], -1
	s_cmp_eq_u32 s13, 46
	s_mov_b64 s[6:7], 0
	s_cbranch_scc0 .LBB18_274
; %bb.264:
	s_movk_i32 s4, 0x7fff
	v_bfe_u32 v5, v1, 16, 1
	v_add3_u32 v5, v1, v5, s4
	v_bfe_u32 v4, v0, 16, 1
	v_and_b32_e32 v5, 0xffff0000, v5
	v_mov_b32_e32 v6, 0x7fc00000
	v_cmp_o_f32_e32 vcc, v1, v1
	v_add3_u32 v4, v0, v4, s4
	v_cndmask_b32_e32 v5, v6, v5, vcc
	v_cmp_o_f32_e32 vcc, v0, v0
	v_mov_b32_e32 v6, 0x7fc0
	v_cndmask_b32_sdwa v4, v6, v4, vcc dst_sel:DWORD dst_unused:UNUSED_PAD src0_sel:DWORD src1_sel:WORD_1
	v_or_b32_e32 v4, v5, v4
	global_store_dword v[2:3], v4, off
	s_mov_b64 s[6:7], -1
	s_mov_b64 s[4:5], 0
	s_branch .LBB18_274
.LBB18_265:
	s_mov_b64 s[8:9], -1
	s_mov_b64 s[6:7], 0
	s_mov_b64 s[4:5], s[46:47]
	s_branch .LBB18_343
.LBB18_266:
	s_mov_b64 s[8:9], -1
	s_mov_b64 s[6:7], 0
	s_mov_b64 s[4:5], s[46:47]
	s_branch .LBB18_301
.LBB18_267:
	s_mov_b64 s[8:9], -1
	s_mov_b64 s[6:7], 0
	s_mov_b64 s[4:5], s[46:47]
	s_branch .LBB18_284
.LBB18_268:
	s_andn2_saveexec_b64 s[10:11], s[10:11]
	s_cbranch_execz .LBB18_168
.LBB18_269:
	s_mov_b32 s14, 0x46000000
	v_add_f32_e64 v4, |v0|, s14
	v_and_b32_e32 v4, 0xff, v4
	v_cmp_ne_u32_e32 vcc, 0, v4
	s_andn2_b64 s[8:9], s[8:9], exec
	s_and_b64 s[14:15], vcc, exec
	s_or_b64 s[8:9], s[8:9], s[14:15]
	s_or_b64 exec, exec, s[10:11]
	v_mov_b32_e32 v5, 0
	s_and_saveexec_b64 s[10:11], s[8:9]
	s_cbranch_execnz .LBB18_169
	s_branch .LBB18_170
.LBB18_270:
	s_mov_b64 s[8:9], -1
	s_mov_b64 s[6:7], 0
	s_mov_b64 s[4:5], s[46:47]
	s_branch .LBB18_280
.LBB18_271:
	s_andn2_saveexec_b64 s[10:11], s[10:11]
	s_cbranch_execz .LBB18_181
.LBB18_272:
	s_mov_b32 s14, 0x42800000
	v_add_f32_e64 v4, |v0|, s14
	v_and_b32_e32 v4, 0xff, v4
	v_cmp_ne_u32_e32 vcc, 0, v4
	s_andn2_b64 s[8:9], s[8:9], exec
	s_and_b64 s[14:15], vcc, exec
	s_or_b64 s[8:9], s[8:9], s[14:15]
	s_or_b64 exec, exec, s[10:11]
	v_mov_b32_e32 v5, 0
	s_and_saveexec_b64 s[10:11], s[8:9]
	s_cbranch_execnz .LBB18_182
	s_branch .LBB18_183
.LBB18_273:
	s_mov_b64 s[8:9], -1
	s_mov_b64 s[6:7], 0
	s_mov_b64 s[4:5], s[46:47]
.LBB18_274:
	s_and_b64 vcc, exec, s[8:9]
	s_cbranch_vccz .LBB18_279
; %bb.275:
	s_cmp_eq_u32 s13, 44
	s_mov_b64 s[4:5], -1
	s_cbranch_scc0 .LBB18_279
; %bb.276:
	v_bfe_u32 v4, v0, 23, 8
	s_movk_i32 s4, 0xff
	v_cmp_ne_u32_e32 vcc, s4, v4
	v_mov_b32_e32 v5, 0xff
	s_and_saveexec_b64 s[6:7], vcc
; %bb.277:
	s_mov_b32 s4, 0x3fffff
	v_and_b32_e32 v6, 0x400000, v0
	v_and_or_b32 v4, v0, s4, v4
	v_cmp_ne_u32_e32 vcc, 0, v6
	v_cmp_ne_u32_e64 s[4:5], 0, v4
	s_and_b64 s[4:5], vcc, s[4:5]
	v_lshrrev_b32_e32 v5, 23, v0
	v_cndmask_b32_e64 v4, 0, 1, s[4:5]
	v_add_u32_e32 v5, v5, v4
; %bb.278:
	s_or_b64 exec, exec, s[6:7]
	s_mov_b64 s[6:7], -1
	s_mov_b64 s[4:5], 0
	global_store_byte v[2:3], v5, off
.LBB18_279:
	s_mov_b64 s[8:9], 0
.LBB18_280:
	s_and_b64 vcc, exec, s[8:9]
	s_cbranch_vccz .LBB18_283
; %bb.281:
	s_cmp_eq_u32 s13, 29
	s_mov_b64 s[4:5], -1
	s_cbranch_scc0 .LBB18_283
; %bb.282:
	v_trunc_f32_e32 v4, v0
	v_mul_f32_e32 v5, 0x2f800000, v4
	v_floor_f32_e32 v6, v5
	v_fmac_f32_e32 v4, 0xcf800000, v6
	v_cvt_u32_f32_e32 v5, v6
	v_cvt_u32_f32_e32 v4, v4
	s_mov_b64 s[6:7], -1
	s_mov_b64 s[4:5], 0
	s_mov_b64 s[8:9], 0
	global_store_dwordx2 v[2:3], v[4:5], off
	s_branch .LBB18_284
.LBB18_283:
	s_mov_b64 s[8:9], 0
.LBB18_284:
	s_and_b64 vcc, exec, s[8:9]
	s_cbranch_vccz .LBB18_300
; %bb.285:
	s_cmp_lt_i32 s13, 27
	s_mov_b64 s[6:7], -1
	s_cbranch_scc1 .LBB18_291
; %bb.286:
	v_cvt_u32_f32_e32 v4, v0
	s_cmp_gt_i32 s13, 27
	s_cbranch_scc0 .LBB18_288
; %bb.287:
	s_mov_b64 s[6:7], 0
	global_store_dword v[2:3], v4, off
.LBB18_288:
	s_andn2_b64 vcc, exec, s[6:7]
	s_cbranch_vccnz .LBB18_290
; %bb.289:
	global_store_short v[2:3], v4, off
.LBB18_290:
	s_mov_b64 s[6:7], 0
.LBB18_291:
	s_andn2_b64 vcc, exec, s[6:7]
	s_cbranch_vccnz .LBB18_299
; %bb.292:
	v_and_b32_e32 v4, 0x7fffffff, v0
	s_mov_b32 s6, 0x43800000
	v_cmp_gt_u32_e32 vcc, s6, v4
	v_mov_b32_e32 v5, 0x80
	s_and_saveexec_b64 s[6:7], vcc
	s_cbranch_execz .LBB18_298
; %bb.293:
	s_mov_b32 s8, 0x3bffffff
	v_cmp_lt_u32_e32 vcc, s8, v4
	s_mov_b64 s[8:9], 0
                                        ; implicit-def: $vgpr4
	s_and_saveexec_b64 s[10:11], vcc
	s_xor_b64 s[10:11], exec, s[10:11]
	s_cbranch_execz .LBB18_998
; %bb.294:
	v_bfe_u32 v4, v0, 20, 1
	s_mov_b32 s14, 0x487ffff
	v_add3_u32 v4, v0, v4, s14
	s_mov_b64 s[8:9], exec
	v_lshrrev_b32_e32 v4, 20, v4
	s_andn2_saveexec_b64 s[10:11], s[10:11]
	s_cbranch_execnz .LBB18_999
.LBB18_295:
	s_or_b64 exec, exec, s[10:11]
	v_mov_b32_e32 v5, 0
	s_and_saveexec_b64 s[10:11], s[8:9]
.LBB18_296:
	v_lshrrev_b32_e32 v5, 24, v0
	s_movk_i32 s8, 0x80
	v_and_or_b32 v5, v5, s8, v4
.LBB18_297:
	s_or_b64 exec, exec, s[10:11]
.LBB18_298:
	s_or_b64 exec, exec, s[6:7]
	global_store_byte v[2:3], v5, off
.LBB18_299:
	s_mov_b64 s[6:7], -1
.LBB18_300:
	s_mov_b64 s[8:9], 0
.LBB18_301:
	s_and_b64 vcc, exec, s[8:9]
	s_cbranch_vccz .LBB18_342
; %bb.302:
	s_cmp_gt_i32 s13, 22
	s_mov_b64 s[8:9], -1
	s_cbranch_scc0 .LBB18_334
; %bb.303:
	s_cmp_lt_i32 s13, 24
	s_mov_b64 s[6:7], -1
	s_cbranch_scc1 .LBB18_323
; %bb.304:
	s_cmp_gt_i32 s13, 24
	s_cbranch_scc0 .LBB18_312
; %bb.305:
	v_and_b32_e32 v4, 0x7fffffff, v0
	s_mov_b32 s6, 0x47800000
	v_cmp_gt_u32_e32 vcc, s6, v4
	v_mov_b32_e32 v5, 0x80
	s_and_saveexec_b64 s[6:7], vcc
	s_cbranch_execz .LBB18_311
; %bb.306:
	s_mov_b32 s8, 0x37ffffff
	v_cmp_lt_u32_e32 vcc, s8, v4
	s_mov_b64 s[8:9], 0
                                        ; implicit-def: $vgpr4
	s_and_saveexec_b64 s[10:11], vcc
	s_xor_b64 s[10:11], exec, s[10:11]
	s_cbranch_execz .LBB18_1005
; %bb.307:
	v_bfe_u32 v4, v0, 21, 1
	s_mov_b32 s14, 0x88fffff
	v_add3_u32 v4, v0, v4, s14
	s_mov_b64 s[8:9], exec
	v_lshrrev_b32_e32 v4, 21, v4
	s_andn2_saveexec_b64 s[10:11], s[10:11]
	s_cbranch_execnz .LBB18_1006
.LBB18_308:
	s_or_b64 exec, exec, s[10:11]
	v_mov_b32_e32 v5, 0
	s_and_saveexec_b64 s[10:11], s[8:9]
.LBB18_309:
	v_lshrrev_b32_e32 v5, 24, v0
	s_movk_i32 s8, 0x80
	v_and_or_b32 v5, v5, s8, v4
.LBB18_310:
	s_or_b64 exec, exec, s[10:11]
.LBB18_311:
	s_or_b64 exec, exec, s[6:7]
	s_mov_b64 s[6:7], 0
	global_store_byte v[2:3], v5, off
.LBB18_312:
	s_and_b64 vcc, exec, s[6:7]
	s_cbranch_vccz .LBB18_322
; %bb.313:
	v_and_b32_e32 v5, 0x7fffffff, v0
	s_mov_b32 s6, 0x43f00000
	v_cmp_gt_u32_e32 vcc, s6, v5
                                        ; implicit-def: $vgpr4
	s_and_saveexec_b64 s[6:7], vcc
	s_xor_b64 s[6:7], exec, s[6:7]
	s_cbranch_execz .LBB18_319
; %bb.314:
	s_mov_b32 s8, 0x3c7fffff
	v_cmp_lt_u32_e32 vcc, s8, v5
                                        ; implicit-def: $vgpr4
	s_and_saveexec_b64 s[8:9], vcc
	s_xor_b64 s[8:9], exec, s[8:9]
; %bb.315:
	v_bfe_u32 v4, v0, 20, 1
	s_mov_b32 s10, 0x407ffff
	v_add3_u32 v4, v0, v4, s10
	v_lshrrev_b32_e32 v5, 20, v4
	v_and_b32_e32 v4, 0xff00000, v4
	s_mov_b32 s10, 0x7f00000
	v_mov_b32_e32 v6, 0x7e
	v_cmp_ne_u32_e32 vcc, s10, v4
	v_cndmask_b32_e32 v4, v6, v5, vcc
; %bb.316:
	s_andn2_saveexec_b64 s[8:9], s[8:9]
; %bb.317:
	s_mov_b32 s10, 0x46800000
	v_add_f32_e64 v4, |v0|, s10
; %bb.318:
	s_or_b64 exec, exec, s[8:9]
                                        ; implicit-def: $vgpr5
.LBB18_319:
	s_andn2_saveexec_b64 s[6:7], s[6:7]
; %bb.320:
	s_mov_b32 s8, 0x7f800000
	v_mov_b32_e32 v4, 0x7e
	v_mov_b32_e32 v6, 0x7f
	v_cmp_lt_u32_e32 vcc, s8, v5
	v_cndmask_b32_e32 v4, v4, v6, vcc
; %bb.321:
	s_or_b64 exec, exec, s[6:7]
	v_lshrrev_b32_e32 v5, 24, v0
	s_movk_i32 s6, 0x80
	v_and_or_b32 v4, v5, s6, v4
	global_store_byte v[2:3], v4, off
.LBB18_322:
	s_mov_b64 s[6:7], 0
.LBB18_323:
	s_andn2_b64 vcc, exec, s[6:7]
	s_cbranch_vccnz .LBB18_333
; %bb.324:
	v_and_b32_e32 v5, 0x7fffffff, v0
	s_mov_b32 s6, 0x47800000
	v_cmp_gt_u32_e32 vcc, s6, v5
                                        ; implicit-def: $vgpr4
	s_and_saveexec_b64 s[6:7], vcc
	s_xor_b64 s[6:7], exec, s[6:7]
	s_cbranch_execz .LBB18_330
; %bb.325:
	s_mov_b32 s8, 0x387fffff
	v_cmp_lt_u32_e32 vcc, s8, v5
                                        ; implicit-def: $vgpr4
	s_and_saveexec_b64 s[8:9], vcc
	s_xor_b64 s[8:9], exec, s[8:9]
; %bb.326:
	v_bfe_u32 v4, v0, 21, 1
	s_mov_b32 s10, 0x80fffff
	v_add3_u32 v4, v0, v4, s10
	v_lshrrev_b32_e32 v4, 21, v4
; %bb.327:
	s_andn2_saveexec_b64 s[8:9], s[8:9]
; %bb.328:
	s_mov_b32 s10, 0x43000000
	v_add_f32_e64 v4, |v0|, s10
; %bb.329:
	s_or_b64 exec, exec, s[8:9]
                                        ; implicit-def: $vgpr5
.LBB18_330:
	s_andn2_saveexec_b64 s[6:7], s[6:7]
; %bb.331:
	s_mov_b32 s8, 0x7f800000
	v_mov_b32_e32 v4, 0x7c
	v_mov_b32_e32 v6, 0x7f
	v_cmp_lt_u32_e32 vcc, s8, v5
	v_cndmask_b32_e32 v4, v4, v6, vcc
; %bb.332:
	s_or_b64 exec, exec, s[6:7]
	v_lshrrev_b32_e32 v5, 24, v0
	s_movk_i32 s6, 0x80
	v_and_or_b32 v4, v5, s6, v4
	global_store_byte v[2:3], v4, off
.LBB18_333:
	s_mov_b64 s[8:9], 0
	s_mov_b64 s[6:7], -1
.LBB18_334:
	s_andn2_b64 vcc, exec, s[8:9]
	s_cbranch_vccnz .LBB18_342
; %bb.335:
	s_cmp_gt_i32 s13, 14
	s_mov_b64 s[8:9], -1
	s_cbranch_scc0 .LBB18_339
; %bb.336:
	s_cmp_eq_u32 s13, 15
	s_mov_b64 s[4:5], -1
	s_cbranch_scc0 .LBB18_338
; %bb.337:
	v_bfe_u32 v4, v0, 16, 1
	s_movk_i32 s4, 0x7fff
	v_add3_u32 v4, v0, v4, s4
	v_cmp_o_f32_e32 vcc, v0, v0
	v_mov_b32_e32 v5, 0x7fc0
	v_cndmask_b32_sdwa v4, v5, v4, vcc dst_sel:DWORD dst_unused:UNUSED_PAD src0_sel:DWORD src1_sel:WORD_1
	global_store_short v[2:3], v4, off
	s_mov_b64 s[6:7], -1
	s_mov_b64 s[4:5], 0
.LBB18_338:
	s_mov_b64 s[8:9], 0
.LBB18_339:
	s_and_b64 vcc, exec, s[8:9]
	s_cbranch_vccz .LBB18_342
; %bb.340:
	s_cmp_eq_u32 s13, 11
	s_mov_b64 s[4:5], -1
	s_cbranch_scc0 .LBB18_342
; %bb.341:
	v_or_b32_e32 v4, v0, v1
	v_and_b32_e32 v4, 0x7fffffff, v4
	v_cmp_ne_u32_e32 vcc, 0, v4
	v_cndmask_b32_e64 v4, 0, 1, vcc
	s_mov_b64 s[6:7], -1
	s_mov_b64 s[4:5], 0
	global_store_byte v[2:3], v4, off
.LBB18_342:
	s_mov_b64 s[8:9], 0
.LBB18_343:
	s_and_b64 vcc, exec, s[8:9]
	s_cbranch_vccz .LBB18_382
; %bb.344:
	s_and_b32 s8, 0xffff, s12
	s_cmp_lt_i32 s8, 5
	s_mov_b64 s[6:7], -1
	s_cbranch_scc1 .LBB18_365
; %bb.345:
	s_cmp_lt_i32 s8, 8
	s_cbranch_scc1 .LBB18_355
; %bb.346:
	s_cmp_lt_i32 s8, 9
	s_cbranch_scc1 .LBB18_352
; %bb.347:
	s_cmp_gt_i32 s8, 9
	s_cbranch_scc0 .LBB18_349
; %bb.348:
	v_cvt_f64_f32_e32 v[4:5], v0
	v_cvt_f64_f32_e32 v[6:7], v1
	s_mov_b64 s[6:7], 0
	global_store_dwordx4 v[2:3], v[4:7], off
.LBB18_349:
	s_andn2_b64 vcc, exec, s[6:7]
	s_cbranch_vccnz .LBB18_351
; %bb.350:
	global_store_dwordx2 v[2:3], v[0:1], off
.LBB18_351:
	s_mov_b64 s[6:7], 0
.LBB18_352:
	s_andn2_b64 vcc, exec, s[6:7]
	s_cbranch_vccnz .LBB18_354
; %bb.353:
	v_cvt_f16_f32_e32 v4, v0
	v_cvt_f16_f32_sdwa v1, v1 dst_sel:WORD_1 dst_unused:UNUSED_PAD src0_sel:DWORD
	v_or_b32_e32 v1, v1, v4
	global_store_dword v[2:3], v1, off
.LBB18_354:
	s_mov_b64 s[6:7], 0
.LBB18_355:
	s_andn2_b64 vcc, exec, s[6:7]
	s_cbranch_vccnz .LBB18_364
; %bb.356:
	s_cmp_lt_i32 s8, 6
	s_mov_b64 s[6:7], -1
	s_cbranch_scc1 .LBB18_362
; %bb.357:
	s_cmp_gt_i32 s8, 6
	s_cbranch_scc0 .LBB18_359
; %bb.358:
	v_cvt_f64_f32_e32 v[4:5], v0
	s_mov_b64 s[6:7], 0
	global_store_dwordx2 v[2:3], v[4:5], off
.LBB18_359:
	s_andn2_b64 vcc, exec, s[6:7]
	s_cbranch_vccnz .LBB18_361
; %bb.360:
	global_store_dword v[2:3], v0, off
.LBB18_361:
	s_mov_b64 s[6:7], 0
.LBB18_362:
	s_andn2_b64 vcc, exec, s[6:7]
	s_cbranch_vccnz .LBB18_364
; %bb.363:
	v_cvt_f16_f32_e32 v1, v0
	global_store_short v[2:3], v1, off
.LBB18_364:
	s_mov_b64 s[6:7], 0
.LBB18_365:
	s_andn2_b64 vcc, exec, s[6:7]
	s_cbranch_vccnz .LBB18_381
; %bb.366:
	s_cmp_lt_i32 s8, 2
	s_mov_b64 s[6:7], -1
	s_cbranch_scc1 .LBB18_376
; %bb.367:
	s_cmp_lt_i32 s8, 3
	s_cbranch_scc1 .LBB18_373
; %bb.368:
	s_cmp_gt_i32 s8, 3
	s_cbranch_scc0 .LBB18_370
; %bb.369:
	v_trunc_f32_e32 v1, v0
	s_mov_b32 s6, 0x2f800000
	v_mul_f32_e64 v4, |v1|, s6
	v_floor_f32_e32 v4, v4
	s_mov_b32 s6, 0xcf800000
	v_cvt_u32_f32_e32 v5, v4
	v_fma_f32 v4, v4, s6, |v1|
	v_cvt_u32_f32_e32 v4, v4
	v_ashrrev_i32_e32 v1, 31, v1
	v_xor_b32_e32 v5, v5, v1
	s_mov_b64 s[6:7], 0
	v_xor_b32_e32 v4, v4, v1
	v_sub_co_u32_e32 v4, vcc, v4, v1
	v_subb_co_u32_e32 v5, vcc, v5, v1, vcc
	global_store_dwordx2 v[2:3], v[4:5], off
.LBB18_370:
	s_andn2_b64 vcc, exec, s[6:7]
	s_cbranch_vccnz .LBB18_372
; %bb.371:
	v_cvt_i32_f32_e32 v1, v0
	global_store_dword v[2:3], v1, off
.LBB18_372:
	s_mov_b64 s[6:7], 0
.LBB18_373:
	s_andn2_b64 vcc, exec, s[6:7]
	s_cbranch_vccnz .LBB18_375
; %bb.374:
	v_cvt_i32_f32_e32 v1, v0
	global_store_short v[2:3], v1, off
.LBB18_375:
	s_mov_b64 s[6:7], 0
.LBB18_376:
	s_andn2_b64 vcc, exec, s[6:7]
	s_cbranch_vccnz .LBB18_381
; %bb.377:
	s_cmp_gt_i32 s8, 0
	s_mov_b64 s[6:7], -1
	s_cbranch_scc0 .LBB18_379
; %bb.378:
	v_cvt_i32_f32_e32 v1, v0
	s_mov_b64 s[6:7], 0
	global_store_byte v[2:3], v1, off
.LBB18_379:
	s_andn2_b64 vcc, exec, s[6:7]
	s_cbranch_vccnz .LBB18_381
; %bb.380:
	v_trunc_f32_e32 v0, v0
	s_mov_b32 s6, 0x2f800000
	v_mul_f32_e64 v1, |v0|, s6
	v_floor_f32_e32 v1, v1
	s_mov_b32 s6, 0xcf800000
	v_fma_f32 v1, v1, s6, |v0|
	v_cvt_u32_f32_e32 v1, v1
	v_ashrrev_i32_e32 v0, 31, v0
	v_xor_b32_e32 v1, v1, v0
	v_sub_u32_e32 v0, v1, v0
	global_store_byte v[2:3], v0, off
.LBB18_381:
	s_mov_b64 s[6:7], -1
.LBB18_382:
	s_andn2_b64 vcc, exec, s[6:7]
	s_cbranch_vccnz .LBB18_384
; %bb.383:
	v_add_u32_e32 v26, 0x80, v26
	s_mov_b64 s[6:7], -1
	s_branch .LBB18_385
.LBB18_384:
	s_mov_b64 s[6:7], 0
                                        ; implicit-def: $vgpr26
.LBB18_385:
	s_andn2_b64 s[8:9], s[46:47], exec
	s_and_b64 s[4:5], s[4:5], exec
	s_or_b64 s[52:53], s[8:9], s[4:5]
	s_orn2_b64 s[6:7], s[6:7], exec
.LBB18_386:
	s_or_b64 exec, exec, s[50:51]
	s_mov_b64 s[4:5], 0
	s_mov_b64 s[10:11], 0
                                        ; implicit-def: $sgpr14
                                        ; implicit-def: $vgpr2_vgpr3
                                        ; implicit-def: $vgpr0
	s_and_saveexec_b64 s[50:51], s[6:7]
	s_cbranch_execz .LBB18_466
; %bb.387:
	v_cmp_gt_i32_e32 vcc, s54, v26
	s_mov_b64 s[6:7], 0
	s_mov_b64 s[8:9], s[52:53]
                                        ; implicit-def: $sgpr14
                                        ; implicit-def: $vgpr2_vgpr3
                                        ; implicit-def: $vgpr0
	s_and_saveexec_b64 s[54:55], vcc
	s_cbranch_execz .LBB18_465
; %bb.388:
	s_getpc_b64 s[4:5]
	s_add_u32 s4, s4, _ZN2at6native6invokeIZZZNS0_16asin_kernel_cudaERNS_18TensorIteratorBaseEENKUlvE_clEvENKUlvE0_clEvEUlN3c107complexIfEEE_i15function_traitsIS9_EEENT1_11result_typeERKT_PrKPcPKT0_PKNS6_10ScalarTypeEi@rel32@lo+4
	s_addc_u32 s5, s5, _ZN2at6native6invokeIZZZNS0_16asin_kernel_cudaERNS_18TensorIteratorBaseEENKUlvE_clEvENKUlvE0_clEvEUlN3c107complexIfEEE_i15function_traitsIS9_EEENT1_11result_typeERKT_PrKPcPKT0_PKNS6_10ScalarTypeEi@rel32@hi+12
	v_mov_b32_e32 v0, s38
	v_mov_b32_e32 v1, s39
	;; [unrolled: 1-line block ×5, first 2 shown]
	s_swappc_b64 s[30:31], s[4:5]
	v_mul_lo_u32 v2, v26, s28
	v_mov_b32_e32 v3, s37
	s_and_b32 s14, s33, 0xff
	s_cmp_lt_i32 s14, 11
	v_ashrrev_i32_e32 v4, 31, v2
	v_add_co_u32_e32 v2, vcc, s36, v2
	v_addc_co_u32_e32 v3, vcc, v3, v4, vcc
	s_cbranch_scc1 .LBB18_405
; %bb.389:
	s_and_b32 s15, 0xffff, s14
	s_mov_b64 s[8:9], -1
	s_cmp_gt_i32 s15, 25
	s_mov_b64 s[4:5], s[52:53]
	s_cbranch_scc0 .LBB18_423
; %bb.390:
	s_mov_b64 s[6:7], -1
	s_cmp_gt_i32 s15, 28
	s_mov_b64 s[4:5], s[52:53]
	s_cbranch_scc0 .LBB18_407
; %bb.391:
	s_cmp_gt_i32 s15, 43
	s_mov_b64 s[4:5], s[52:53]
	s_cbranch_scc0 .LBB18_402
; %bb.392:
	;; [unrolled: 4-line block ×3, first 2 shown]
	s_cmp_eq_u32 s15, 46
	s_mov_b64 s[4:5], -1
	s_cbranch_scc0 .LBB18_395
; %bb.394:
	s_movk_i32 s4, 0x7fff
	v_bfe_u32 v5, v1, 16, 1
	v_add3_u32 v5, v1, v5, s4
	v_bfe_u32 v4, v0, 16, 1
	v_and_b32_e32 v5, 0xffff0000, v5
	v_mov_b32_e32 v6, 0x7fc00000
	v_cmp_o_f32_e32 vcc, v1, v1
	v_add3_u32 v4, v0, v4, s4
	v_cndmask_b32_e32 v5, v6, v5, vcc
	v_cmp_o_f32_e32 vcc, v0, v0
	v_mov_b32_e32 v6, 0x7fc0
	v_cndmask_b32_sdwa v4, v6, v4, vcc dst_sel:DWORD dst_unused:UNUSED_PAD src0_sel:DWORD src1_sel:WORD_1
	v_or_b32_e32 v4, v5, v4
	global_store_dword v[2:3], v4, off
	s_mov_b64 s[4:5], 0
.LBB18_395:
	s_mov_b64 s[6:7], 0
.LBB18_396:
	s_and_b64 vcc, exec, s[6:7]
	s_cbranch_vccz .LBB18_401
; %bb.397:
	s_cmp_eq_u32 s15, 44
	s_mov_b64 s[4:5], -1
	s_cbranch_scc0 .LBB18_401
; %bb.398:
	v_bfe_u32 v4, v0, 23, 8
	s_movk_i32 s4, 0xff
	v_cmp_ne_u32_e32 vcc, s4, v4
	v_mov_b32_e32 v5, 0xff
	s_and_saveexec_b64 s[6:7], vcc
; %bb.399:
	s_mov_b32 s4, 0x3fffff
	v_and_b32_e32 v6, 0x400000, v0
	v_and_or_b32 v4, v0, s4, v4
	v_cmp_ne_u32_e32 vcc, 0, v6
	v_cmp_ne_u32_e64 s[4:5], 0, v4
	s_and_b64 s[4:5], vcc, s[4:5]
	v_lshrrev_b32_e32 v5, 23, v0
	v_cndmask_b32_e64 v4, 0, 1, s[4:5]
	v_add_u32_e32 v5, v5, v4
; %bb.400:
	s_or_b64 exec, exec, s[6:7]
	s_mov_b64 s[4:5], 0
	global_store_byte v[2:3], v5, off
.LBB18_401:
	s_mov_b64 s[6:7], 0
.LBB18_402:
	s_and_b64 vcc, exec, s[6:7]
	s_cbranch_vccz .LBB18_406
; %bb.403:
	s_cmp_eq_u32 s15, 29
	s_mov_b64 s[4:5], -1
	s_cbranch_scc0 .LBB18_406
; %bb.404:
	v_trunc_f32_e32 v4, v0
	v_mul_f32_e32 v5, 0x2f800000, v4
	v_floor_f32_e32 v6, v5
	v_fmac_f32_e32 v4, 0xcf800000, v6
	v_cvt_u32_f32_e32 v5, v6
	v_cvt_u32_f32_e32 v4, v4
	s_mov_b64 s[4:5], 0
	s_mov_b64 s[6:7], 0
	global_store_dwordx2 v[2:3], v[4:5], off
	s_branch .LBB18_407
.LBB18_405:
	s_mov_b64 s[8:9], 0
	s_mov_b64 s[6:7], -1
	s_mov_b64 s[4:5], s[52:53]
	s_branch .LBB18_464
.LBB18_406:
	s_mov_b64 s[6:7], 0
.LBB18_407:
	s_and_b64 vcc, exec, s[6:7]
	s_cbranch_vccz .LBB18_422
; %bb.408:
	s_cmp_lt_i32 s15, 27
	s_mov_b64 s[6:7], -1
	s_cbranch_scc1 .LBB18_414
; %bb.409:
	v_cvt_u32_f32_e32 v4, v0
	s_cmp_gt_i32 s15, 27
	s_cbranch_scc0 .LBB18_411
; %bb.410:
	s_mov_b64 s[6:7], 0
	global_store_dword v[2:3], v4, off
.LBB18_411:
	s_andn2_b64 vcc, exec, s[6:7]
	s_cbranch_vccnz .LBB18_413
; %bb.412:
	global_store_short v[2:3], v4, off
.LBB18_413:
	s_mov_b64 s[6:7], 0
.LBB18_414:
	s_andn2_b64 vcc, exec, s[6:7]
	s_cbranch_vccnz .LBB18_422
; %bb.415:
	v_and_b32_e32 v4, 0x7fffffff, v0
	s_mov_b32 s6, 0x43800000
	v_cmp_gt_u32_e32 vcc, s6, v4
	v_mov_b32_e32 v5, 0x80
	s_and_saveexec_b64 s[6:7], vcc
	s_cbranch_execz .LBB18_421
; %bb.416:
	s_mov_b32 s8, 0x3bffffff
	v_cmp_lt_u32_e32 vcc, s8, v4
	s_mov_b64 s[8:9], 0
                                        ; implicit-def: $vgpr4
	s_and_saveexec_b64 s[10:11], vcc
	s_xor_b64 s[10:11], exec, s[10:11]
	s_cbranch_execz .LBB18_1007
; %bb.417:
	v_bfe_u32 v4, v0, 20, 1
	s_mov_b32 s12, 0x487ffff
	v_add3_u32 v4, v0, v4, s12
	s_mov_b64 s[8:9], exec
	v_lshrrev_b32_e32 v4, 20, v4
	s_andn2_saveexec_b64 s[10:11], s[10:11]
	s_cbranch_execnz .LBB18_1008
.LBB18_418:
	s_or_b64 exec, exec, s[10:11]
	v_mov_b32_e32 v5, 0
	s_and_saveexec_b64 s[10:11], s[8:9]
.LBB18_419:
	v_lshrrev_b32_e32 v5, 24, v0
	s_movk_i32 s8, 0x80
	v_and_or_b32 v5, v5, s8, v4
.LBB18_420:
	s_or_b64 exec, exec, s[10:11]
.LBB18_421:
	s_or_b64 exec, exec, s[6:7]
	global_store_byte v[2:3], v5, off
.LBB18_422:
	s_mov_b64 s[8:9], 0
.LBB18_423:
	s_mov_b64 s[6:7], 0
	s_and_b64 vcc, exec, s[8:9]
	s_cbranch_vccz .LBB18_463
; %bb.424:
	s_cmp_gt_i32 s15, 22
	s_mov_b64 s[8:9], -1
	s_cbranch_scc0 .LBB18_456
; %bb.425:
	s_cmp_lt_i32 s15, 24
	s_cbranch_scc1 .LBB18_445
; %bb.426:
	s_cmp_gt_i32 s15, 24
	s_cbranch_scc0 .LBB18_434
; %bb.427:
	v_and_b32_e32 v4, 0x7fffffff, v0
	s_mov_b32 s8, 0x47800000
	v_cmp_gt_u32_e32 vcc, s8, v4
	v_mov_b32_e32 v5, 0x80
	s_and_saveexec_b64 s[8:9], vcc
	s_cbranch_execz .LBB18_433
; %bb.428:
	s_mov_b32 s10, 0x37ffffff
	v_cmp_lt_u32_e32 vcc, s10, v4
	s_mov_b64 s[10:11], 0
                                        ; implicit-def: $vgpr4
	s_and_saveexec_b64 s[12:13], vcc
	s_xor_b64 s[12:13], exec, s[12:13]
	s_cbranch_execz .LBB18_1011
; %bb.429:
	v_bfe_u32 v4, v0, 21, 1
	s_mov_b32 s16, 0x88fffff
	v_add3_u32 v4, v0, v4, s16
	s_mov_b64 s[10:11], exec
	v_lshrrev_b32_e32 v4, 21, v4
	s_andn2_saveexec_b64 s[12:13], s[12:13]
	s_cbranch_execnz .LBB18_1012
.LBB18_430:
	s_or_b64 exec, exec, s[12:13]
	v_mov_b32_e32 v5, 0
	s_and_saveexec_b64 s[12:13], s[10:11]
.LBB18_431:
	v_lshrrev_b32_e32 v5, 24, v0
	s_movk_i32 s10, 0x80
	v_and_or_b32 v5, v5, s10, v4
.LBB18_432:
	s_or_b64 exec, exec, s[12:13]
.LBB18_433:
	s_or_b64 exec, exec, s[8:9]
	s_mov_b64 s[8:9], 0
	global_store_byte v[2:3], v5, off
.LBB18_434:
	s_and_b64 vcc, exec, s[8:9]
	s_cbranch_vccz .LBB18_444
; %bb.435:
	v_and_b32_e32 v5, 0x7fffffff, v0
	s_mov_b32 s8, 0x43f00000
	v_cmp_gt_u32_e32 vcc, s8, v5
                                        ; implicit-def: $vgpr4
	s_and_saveexec_b64 s[8:9], vcc
	s_xor_b64 s[8:9], exec, s[8:9]
	s_cbranch_execz .LBB18_441
; %bb.436:
	s_mov_b32 s10, 0x3c7fffff
	v_cmp_lt_u32_e32 vcc, s10, v5
                                        ; implicit-def: $vgpr4
	s_and_saveexec_b64 s[10:11], vcc
	s_xor_b64 s[10:11], exec, s[10:11]
; %bb.437:
	v_bfe_u32 v4, v0, 20, 1
	s_mov_b32 s12, 0x407ffff
	v_add3_u32 v4, v0, v4, s12
	v_lshrrev_b32_e32 v5, 20, v4
	v_and_b32_e32 v4, 0xff00000, v4
	s_mov_b32 s12, 0x7f00000
	v_mov_b32_e32 v6, 0x7e
	v_cmp_ne_u32_e32 vcc, s12, v4
	v_cndmask_b32_e32 v4, v6, v5, vcc
; %bb.438:
	s_andn2_saveexec_b64 s[10:11], s[10:11]
; %bb.439:
	s_mov_b32 s12, 0x46800000
	v_add_f32_e64 v4, |v0|, s12
; %bb.440:
	s_or_b64 exec, exec, s[10:11]
                                        ; implicit-def: $vgpr5
.LBB18_441:
	s_andn2_saveexec_b64 s[8:9], s[8:9]
; %bb.442:
	s_mov_b32 s10, 0x7f800000
	v_mov_b32_e32 v4, 0x7e
	v_mov_b32_e32 v6, 0x7f
	v_cmp_lt_u32_e32 vcc, s10, v5
	v_cndmask_b32_e32 v4, v4, v6, vcc
; %bb.443:
	s_or_b64 exec, exec, s[8:9]
	v_lshrrev_b32_e32 v5, 24, v0
	s_movk_i32 s8, 0x80
	v_and_or_b32 v4, v5, s8, v4
	global_store_byte v[2:3], v4, off
.LBB18_444:
	s_mov_b64 s[8:9], 0
.LBB18_445:
	s_andn2_b64 vcc, exec, s[8:9]
	s_cbranch_vccnz .LBB18_455
; %bb.446:
	v_and_b32_e32 v5, 0x7fffffff, v0
	s_mov_b32 s8, 0x47800000
	v_cmp_gt_u32_e32 vcc, s8, v5
                                        ; implicit-def: $vgpr4
	s_and_saveexec_b64 s[8:9], vcc
	s_xor_b64 s[8:9], exec, s[8:9]
	s_cbranch_execz .LBB18_452
; %bb.447:
	s_mov_b32 s10, 0x387fffff
	v_cmp_lt_u32_e32 vcc, s10, v5
                                        ; implicit-def: $vgpr4
	s_and_saveexec_b64 s[10:11], vcc
	s_xor_b64 s[10:11], exec, s[10:11]
; %bb.448:
	v_bfe_u32 v4, v0, 21, 1
	s_mov_b32 s12, 0x80fffff
	v_add3_u32 v4, v0, v4, s12
	v_lshrrev_b32_e32 v4, 21, v4
; %bb.449:
	s_andn2_saveexec_b64 s[10:11], s[10:11]
; %bb.450:
	s_mov_b32 s12, 0x43000000
	v_add_f32_e64 v4, |v0|, s12
; %bb.451:
	s_or_b64 exec, exec, s[10:11]
                                        ; implicit-def: $vgpr5
.LBB18_452:
	s_andn2_saveexec_b64 s[8:9], s[8:9]
; %bb.453:
	s_mov_b32 s10, 0x7f800000
	v_mov_b32_e32 v4, 0x7c
	v_mov_b32_e32 v6, 0x7f
	v_cmp_lt_u32_e32 vcc, s10, v5
	v_cndmask_b32_e32 v4, v4, v6, vcc
; %bb.454:
	s_or_b64 exec, exec, s[8:9]
	v_lshrrev_b32_e32 v5, 24, v0
	s_movk_i32 s8, 0x80
	v_and_or_b32 v4, v5, s8, v4
	global_store_byte v[2:3], v4, off
.LBB18_455:
	s_mov_b64 s[8:9], 0
.LBB18_456:
	s_andn2_b64 vcc, exec, s[8:9]
	s_mov_b64 s[8:9], 0
	s_cbranch_vccnz .LBB18_464
; %bb.457:
	s_cmp_gt_i32 s15, 14
	s_mov_b64 s[10:11], -1
	s_cbranch_scc0 .LBB18_461
; %bb.458:
	s_cmp_eq_u32 s15, 15
	s_mov_b64 s[4:5], -1
	s_cbranch_scc0 .LBB18_460
; %bb.459:
	v_bfe_u32 v4, v0, 16, 1
	s_movk_i32 s4, 0x7fff
	v_add3_u32 v4, v0, v4, s4
	v_cmp_o_f32_e32 vcc, v0, v0
	v_mov_b32_e32 v5, 0x7fc0
	v_cndmask_b32_sdwa v4, v5, v4, vcc dst_sel:DWORD dst_unused:UNUSED_PAD src0_sel:DWORD src1_sel:WORD_1
	global_store_short v[2:3], v4, off
	s_mov_b64 s[4:5], 0
.LBB18_460:
	s_mov_b64 s[10:11], 0
.LBB18_461:
	s_and_b64 vcc, exec, s[10:11]
	s_cbranch_vccz .LBB18_464
; %bb.462:
	s_cmp_lg_u32 s15, 11
	s_cselect_b64 s[10:11], -1, 0
	s_andn2_b64 s[4:5], s[4:5], exec
	s_and_b64 s[10:11], s[10:11], exec
	s_mov_b64 s[8:9], -1
	s_or_b64 s[4:5], s[4:5], s[10:11]
	s_branch .LBB18_464
.LBB18_463:
	s_mov_b64 s[8:9], 0
.LBB18_464:
	s_and_b64 s[10:11], s[6:7], exec
	s_and_b64 s[6:7], s[8:9], exec
	s_andn2_b64 s[8:9], s[52:53], exec
	s_and_b64 s[4:5], s[4:5], exec
	s_or_b64 s[8:9], s[8:9], s[4:5]
.LBB18_465:
	s_or_b64 exec, exec, s[54:55]
	s_and_b64 s[4:5], s[6:7], exec
	s_andn2_b64 s[6:7], s[52:53], exec
	s_and_b64 s[8:9], s[8:9], exec
	s_and_b64 s[10:11], s[10:11], exec
	s_or_b64 s[52:53], s[6:7], s[8:9]
.LBB18_466:
	s_or_b64 exec, exec, s[50:51]
	s_and_b64 s[6:7], s[10:11], exec
	s_andn2_b64 s[8:9], s[46:47], exec
	s_and_b64 s[10:11], s[52:53], exec
	s_and_b64 s[4:5], s[4:5], exec
	s_or_b64 s[46:47], s[8:9], s[10:11]
.LBB18_467:
	s_or_b64 exec, exec, s[48:49]
	s_and_b64 s[48:49], s[4:5], exec
	s_andn2_b64 s[4:5], s[42:43], exec
	s_and_b64 s[8:9], s[46:47], exec
	s_and_b64 s[6:7], s[6:7], exec
	s_or_b64 s[42:43], s[4:5], s[8:9]
	s_or_b64 exec, exec, s[44:45]
	s_mov_b64 s[4:5], 0
	s_and_saveexec_b64 s[8:9], s[42:43]
	s_cbranch_execz .LBB18_134
.LBB18_468:
	s_mov_b64 s[4:5], exec
	s_andn2_b64 s[48:49], s[48:49], exec
	s_trap 2
	s_or_b64 exec, exec, s[8:9]
	s_and_saveexec_b64 s[8:9], s[48:49]
	s_xor_b64 s[8:9], exec, s[8:9]
	s_cbranch_execnz .LBB18_135
.LBB18_469:
	s_or_b64 exec, exec, s[8:9]
	s_and_saveexec_b64 s[8:9], s[6:7]
	s_xor_b64 s[6:7], exec, s[8:9]
	s_cbranch_execz .LBB18_507
.LBB18_470:
	s_sext_i32_i16 s10, s14
	s_cmp_lt_i32 s10, 5
	s_mov_b64 s[8:9], -1
	s_cbranch_scc1 .LBB18_491
; %bb.471:
	s_cmp_lt_i32 s10, 8
	s_cbranch_scc1 .LBB18_481
; %bb.472:
	s_cmp_lt_i32 s10, 9
	s_cbranch_scc1 .LBB18_478
; %bb.473:
	s_cmp_gt_i32 s10, 9
	s_cbranch_scc0 .LBB18_475
; %bb.474:
	v_cvt_f64_f32_e32 v[4:5], v0
	v_cvt_f64_f32_e32 v[6:7], v1
	s_mov_b64 s[8:9], 0
	global_store_dwordx4 v[2:3], v[4:7], off
.LBB18_475:
	s_andn2_b64 vcc, exec, s[8:9]
	s_cbranch_vccnz .LBB18_477
; %bb.476:
	global_store_dwordx2 v[2:3], v[0:1], off
.LBB18_477:
	s_mov_b64 s[8:9], 0
.LBB18_478:
	s_andn2_b64 vcc, exec, s[8:9]
	s_cbranch_vccnz .LBB18_480
; %bb.479:
	v_cvt_f16_f32_e32 v4, v0
	v_cvt_f16_f32_sdwa v1, v1 dst_sel:WORD_1 dst_unused:UNUSED_PAD src0_sel:DWORD
	v_or_b32_e32 v1, v1, v4
	global_store_dword v[2:3], v1, off
.LBB18_480:
	s_mov_b64 s[8:9], 0
.LBB18_481:
	s_andn2_b64 vcc, exec, s[8:9]
	s_cbranch_vccnz .LBB18_490
; %bb.482:
	s_sext_i32_i16 s10, s14
	s_cmp_lt_i32 s10, 6
	s_mov_b64 s[8:9], -1
	s_cbranch_scc1 .LBB18_488
; %bb.483:
	s_cmp_gt_i32 s10, 6
	s_cbranch_scc0 .LBB18_485
; %bb.484:
	v_cvt_f64_f32_e32 v[4:5], v0
	s_mov_b64 s[8:9], 0
	global_store_dwordx2 v[2:3], v[4:5], off
.LBB18_485:
	s_andn2_b64 vcc, exec, s[8:9]
	s_cbranch_vccnz .LBB18_487
; %bb.486:
	global_store_dword v[2:3], v0, off
.LBB18_487:
	s_mov_b64 s[8:9], 0
.LBB18_488:
	s_andn2_b64 vcc, exec, s[8:9]
	s_cbranch_vccnz .LBB18_490
; %bb.489:
	v_cvt_f16_f32_e32 v1, v0
	global_store_short v[2:3], v1, off
.LBB18_490:
	s_mov_b64 s[8:9], 0
.LBB18_491:
	s_andn2_b64 vcc, exec, s[8:9]
	s_cbranch_vccnz .LBB18_507
; %bb.492:
	s_sext_i32_i16 s10, s14
	s_cmp_lt_i32 s10, 2
	s_mov_b64 s[8:9], -1
	s_cbranch_scc1 .LBB18_502
; %bb.493:
	s_cmp_lt_i32 s10, 3
	s_cbranch_scc1 .LBB18_499
; %bb.494:
	s_cmp_gt_i32 s10, 3
	s_cbranch_scc0 .LBB18_496
; %bb.495:
	v_trunc_f32_e32 v1, v0
	s_mov_b32 s8, 0x2f800000
	v_mul_f32_e64 v4, |v1|, s8
	v_floor_f32_e32 v4, v4
	s_mov_b32 s8, 0xcf800000
	v_cvt_u32_f32_e32 v5, v4
	v_fma_f32 v4, v4, s8, |v1|
	v_cvt_u32_f32_e32 v4, v4
	v_ashrrev_i32_e32 v1, 31, v1
	v_xor_b32_e32 v5, v5, v1
	s_mov_b64 s[8:9], 0
	v_xor_b32_e32 v4, v4, v1
	v_sub_co_u32_e32 v4, vcc, v4, v1
	v_subb_co_u32_e32 v5, vcc, v5, v1, vcc
	global_store_dwordx2 v[2:3], v[4:5], off
.LBB18_496:
	s_andn2_b64 vcc, exec, s[8:9]
	s_cbranch_vccnz .LBB18_498
; %bb.497:
	v_cvt_i32_f32_e32 v1, v0
	global_store_dword v[2:3], v1, off
.LBB18_498:
	s_mov_b64 s[8:9], 0
.LBB18_499:
	s_andn2_b64 vcc, exec, s[8:9]
	s_cbranch_vccnz .LBB18_501
; %bb.500:
	v_cvt_i32_f32_e32 v1, v0
	global_store_short v[2:3], v1, off
.LBB18_501:
	s_mov_b64 s[8:9], 0
.LBB18_502:
	s_andn2_b64 vcc, exec, s[8:9]
	s_cbranch_vccnz .LBB18_507
; %bb.503:
	s_sext_i32_i16 s8, s14
	s_cmp_gt_i32 s8, 0
	s_mov_b64 s[8:9], -1
	s_cbranch_scc0 .LBB18_505
; %bb.504:
	v_cvt_i32_f32_e32 v1, v0
	s_mov_b64 s[8:9], 0
	global_store_byte v[2:3], v1, off
.LBB18_505:
	s_andn2_b64 vcc, exec, s[8:9]
	s_cbranch_vccnz .LBB18_507
; %bb.506:
	v_trunc_f32_e32 v0, v0
	s_mov_b32 s8, 0x2f800000
	v_mul_f32_e64 v1, |v0|, s8
	v_floor_f32_e32 v1, v1
	s_mov_b32 s8, 0xcf800000
	v_fma_f32 v1, v1, s8, |v0|
	v_cvt_u32_f32_e32 v1, v1
	v_ashrrev_i32_e32 v0, 31, v0
	v_xor_b32_e32 v1, v1, v0
	v_sub_u32_e32 v0, v1, v0
	global_store_byte v[2:3], v0, off
.LBB18_507:
	s_or_b64 exec, exec, s[6:7]
	s_and_b64 s[42:43], s[4:5], exec
                                        ; implicit-def: $vgpr26
                                        ; implicit-def: $vgpr27
                                        ; implicit-def: $vgpr28
.LBB18_508:
	s_or_saveexec_b64 s[40:41], s[40:41]
	s_mov_b64 s[4:5], 0
                                        ; implicit-def: $sgpr16
                                        ; implicit-def: $vgpr2_vgpr3
                                        ; implicit-def: $vgpr0
	s_xor_b64 exec, exec, s[40:41]
	s_cbranch_execz .LBB18_941
; %bb.509:
	s_getpc_b64 s[34:35]
	s_add_u32 s34, s34, _ZN2at6native6invokeIZZZNS0_16asin_kernel_cudaERNS_18TensorIteratorBaseEENKUlvE_clEvENKUlvE0_clEvEUlN3c107complexIfEEE_i15function_traitsIS9_EEENT1_11result_typeERKT_PrKPcPKT0_PKNS6_10ScalarTypeEi@rel32@lo+4
	s_addc_u32 s35, s35, _ZN2at6native6invokeIZZZNS0_16asin_kernel_cudaERNS_18TensorIteratorBaseEENKUlvE_clEvENKUlvE0_clEvEUlN3c107complexIfEEE_i15function_traitsIS9_EEENT1_11result_typeERKT_PrKPcPKT0_PKNS6_10ScalarTypeEi@rel32@hi+12
	v_mov_b32_e32 v0, s38
	v_mov_b32_e32 v1, s39
	;; [unrolled: 1-line block ×5, first 2 shown]
	v_add_u32_e32 v20, 0x80, v26
	v_add_u32_e32 v21, 0x100, v26
	s_swappc_b64 s[30:31], s[34:35]
	v_mov_b32_e32 v24, v0
	v_mov_b32_e32 v25, v1
	v_mov_b32_e32 v0, s38
	v_mov_b32_e32 v1, s39
	v_mov_b32_e32 v2, s29
	v_mov_b32_e32 v3, v27
	v_mov_b32_e32 v4, v20
	s_swappc_b64 s[30:31], s[34:35]
	v_mov_b32_e32 v22, v0
	v_mov_b32_e32 v23, v1
	v_mov_b32_e32 v0, s38
	v_mov_b32_e32 v1, s39
	v_mov_b32_e32 v2, s29
	v_mov_b32_e32 v3, v27
	v_mov_b32_e32 v4, v21
	;; [unrolled: 8-line block ×3, first 2 shown]
	s_swappc_b64 s[30:31], s[34:35]
	v_mul_lo_u32 v4, s28, v26
	v_mov_b32_e32 v3, s37
	s_and_b32 s16, s33, 0xff
	s_cmp_lt_i32 s16, 11
	v_ashrrev_i32_e32 v5, 31, v4
	v_add_co_u32_e32 v2, vcc, s36, v4
	v_addc_co_u32_e32 v3, vcc, v3, v5, vcc
	s_cbranch_scc1 .LBB18_588
; %bb.510:
	s_and_b32 s14, 0xffff, s16
	s_mov_b64 s[6:7], -1
	s_mov_b64 s[8:9], 0
	s_cmp_gt_i32 s14, 25
	s_mov_b64 s[10:11], 0
	s_mov_b64 s[4:5], 0
	s_cbranch_scc0 .LBB18_543
; %bb.511:
	s_cmp_gt_i32 s14, 28
	s_cbranch_scc0 .LBB18_526
; %bb.512:
	s_cmp_gt_i32 s14, 43
	s_cbranch_scc0 .LBB18_522
; %bb.513:
	s_cmp_gt_i32 s14, 45
	s_cbranch_scc0 .LBB18_516
; %bb.514:
	s_mov_b64 s[4:5], -1
	s_mov_b64 s[6:7], 0
	s_cmp_eq_u32 s14, 46
	s_cbranch_scc0 .LBB18_516
; %bb.515:
	s_movk_i32 s4, 0x7fff
	v_bfe_u32 v6, v25, 16, 1
	v_add3_u32 v6, v25, v6, s4
	v_bfe_u32 v5, v24, 16, 1
	v_and_b32_e32 v6, 0xffff0000, v6
	v_mov_b32_e32 v7, 0x7fc00000
	v_cmp_o_f32_e32 vcc, v25, v25
	v_add3_u32 v5, v24, v5, s4
	v_cndmask_b32_e32 v6, v7, v6, vcc
	v_cmp_o_f32_e32 vcc, v24, v24
	v_mov_b32_e32 v7, 0x7fc0
	v_cndmask_b32_sdwa v5, v7, v5, vcc dst_sel:DWORD dst_unused:UNUSED_PAD src0_sel:DWORD src1_sel:WORD_1
	v_or_b32_e32 v5, v6, v5
	global_store_dword v[2:3], v5, off
	s_mov_b64 s[4:5], 0
	s_mov_b64 s[10:11], -1
.LBB18_516:
	s_and_b64 vcc, exec, s[6:7]
	s_cbranch_vccz .LBB18_521
; %bb.517:
	s_cmp_eq_u32 s14, 44
	s_mov_b64 s[4:5], -1
	s_cbranch_scc0 .LBB18_521
; %bb.518:
	v_bfe_u32 v5, v24, 23, 8
	s_movk_i32 s4, 0xff
	v_cmp_ne_u32_e32 vcc, s4, v5
	v_mov_b32_e32 v6, 0xff
	s_and_saveexec_b64 s[6:7], vcc
; %bb.519:
	s_mov_b32 s4, 0x3fffff
	v_and_b32_e32 v7, 0x400000, v24
	v_and_or_b32 v5, v24, s4, v5
	v_cmp_ne_u32_e32 vcc, 0, v7
	v_cmp_ne_u32_e64 s[4:5], 0, v5
	s_and_b64 s[4:5], vcc, s[4:5]
	v_lshrrev_b32_e32 v6, 23, v24
	v_cndmask_b32_e64 v5, 0, 1, s[4:5]
	v_add_u32_e32 v6, v6, v5
; %bb.520:
	s_or_b64 exec, exec, s[6:7]
	s_mov_b64 s[4:5], 0
	s_mov_b64 s[10:11], -1
	global_store_byte v[2:3], v6, off
.LBB18_521:
	s_mov_b64 s[6:7], 0
.LBB18_522:
	s_and_b64 vcc, exec, s[6:7]
	s_cbranch_vccz .LBB18_525
; %bb.523:
	s_cmp_eq_u32 s14, 29
	s_mov_b64 s[4:5], -1
	s_cbranch_scc0 .LBB18_525
; %bb.524:
	v_trunc_f32_e32 v5, v24
	v_mul_f32_e32 v6, 0x2f800000, v5
	v_floor_f32_e32 v7, v6
	v_fmac_f32_e32 v5, 0xcf800000, v7
	v_cvt_u32_f32_e32 v6, v7
	v_cvt_u32_f32_e32 v5, v5
	s_mov_b64 s[4:5], 0
	s_mov_b64 s[10:11], -1
	global_store_dwordx2 v[2:3], v[5:6], off
.LBB18_525:
	s_mov_b64 s[6:7], 0
.LBB18_526:
	s_and_b64 vcc, exec, s[6:7]
	s_cbranch_vccz .LBB18_542
; %bb.527:
	s_cmp_lt_i32 s14, 27
	s_mov_b64 s[6:7], -1
	s_cbranch_scc1 .LBB18_533
; %bb.528:
	v_cvt_u32_f32_e32 v5, v24
	s_cmp_gt_i32 s14, 27
	s_cbranch_scc0 .LBB18_530
; %bb.529:
	s_mov_b64 s[6:7], 0
	global_store_dword v[2:3], v5, off
.LBB18_530:
	s_andn2_b64 vcc, exec, s[6:7]
	s_cbranch_vccnz .LBB18_532
; %bb.531:
	global_store_short v[2:3], v5, off
.LBB18_532:
	s_mov_b64 s[6:7], 0
.LBB18_533:
	s_andn2_b64 vcc, exec, s[6:7]
	s_cbranch_vccnz .LBB18_541
; %bb.534:
	v_and_b32_e32 v5, 0x7fffffff, v24
	s_mov_b32 s6, 0x43800000
	v_cmp_gt_u32_e32 vcc, s6, v5
	v_mov_b32_e32 v6, 0x80
	s_and_saveexec_b64 s[6:7], vcc
	s_cbranch_execz .LBB18_540
; %bb.535:
	s_mov_b32 s10, 0x3bffffff
	v_cmp_lt_u32_e32 vcc, s10, v5
	s_mov_b64 s[10:11], 0
                                        ; implicit-def: $vgpr5
	s_and_saveexec_b64 s[12:13], vcc
	s_xor_b64 s[12:13], exec, s[12:13]
	s_cbranch_execz .LBB18_985
; %bb.536:
	v_bfe_u32 v5, v24, 20, 1
	s_mov_b32 s15, 0x487ffff
	v_add3_u32 v5, v24, v5, s15
	s_mov_b64 s[10:11], exec
	v_lshrrev_b32_e32 v5, 20, v5
	s_andn2_saveexec_b64 s[12:13], s[12:13]
	s_cbranch_execnz .LBB18_986
.LBB18_537:
	s_or_b64 exec, exec, s[12:13]
	v_mov_b32_e32 v6, 0
	s_and_saveexec_b64 s[12:13], s[10:11]
.LBB18_538:
	v_lshrrev_b32_e32 v6, 24, v24
	s_movk_i32 s10, 0x80
	v_and_or_b32 v6, v6, s10, v5
.LBB18_539:
	s_or_b64 exec, exec, s[12:13]
.LBB18_540:
	s_or_b64 exec, exec, s[6:7]
	global_store_byte v[2:3], v6, off
.LBB18_541:
	s_mov_b64 s[10:11], -1
.LBB18_542:
	s_mov_b64 s[6:7], 0
.LBB18_543:
	s_and_b64 vcc, exec, s[6:7]
	s_cbranch_vccz .LBB18_583
; %bb.544:
	s_cmp_gt_i32 s14, 22
	s_mov_b64 s[6:7], -1
	s_cbranch_scc0 .LBB18_576
; %bb.545:
	s_cmp_lt_i32 s14, 24
	s_cbranch_scc1 .LBB18_565
; %bb.546:
	s_cmp_gt_i32 s14, 24
	s_cbranch_scc0 .LBB18_554
; %bb.547:
	v_and_b32_e32 v5, 0x7fffffff, v24
	s_mov_b32 s6, 0x47800000
	v_cmp_gt_u32_e32 vcc, s6, v5
	v_mov_b32_e32 v6, 0x80
	s_and_saveexec_b64 s[6:7], vcc
	s_cbranch_execz .LBB18_553
; %bb.548:
	s_mov_b32 s8, 0x37ffffff
	v_cmp_lt_u32_e32 vcc, s8, v5
	s_mov_b64 s[8:9], 0
                                        ; implicit-def: $vgpr5
	s_and_saveexec_b64 s[10:11], vcc
	s_xor_b64 s[10:11], exec, s[10:11]
	s_cbranch_execz .LBB18_988
; %bb.549:
	v_bfe_u32 v5, v24, 21, 1
	s_mov_b32 s12, 0x88fffff
	v_add3_u32 v5, v24, v5, s12
	s_mov_b64 s[8:9], exec
	v_lshrrev_b32_e32 v5, 21, v5
	s_andn2_saveexec_b64 s[10:11], s[10:11]
	s_cbranch_execnz .LBB18_989
.LBB18_550:
	s_or_b64 exec, exec, s[10:11]
	v_mov_b32_e32 v6, 0
	s_and_saveexec_b64 s[10:11], s[8:9]
.LBB18_551:
	v_lshrrev_b32_e32 v6, 24, v24
	s_movk_i32 s8, 0x80
	v_and_or_b32 v6, v6, s8, v5
.LBB18_552:
	s_or_b64 exec, exec, s[10:11]
.LBB18_553:
	s_or_b64 exec, exec, s[6:7]
	s_mov_b64 s[6:7], 0
	global_store_byte v[2:3], v6, off
.LBB18_554:
	s_and_b64 vcc, exec, s[6:7]
	s_cbranch_vccz .LBB18_564
; %bb.555:
	v_and_b32_e32 v6, 0x7fffffff, v24
	s_mov_b32 s6, 0x43f00000
	v_cmp_gt_u32_e32 vcc, s6, v6
                                        ; implicit-def: $vgpr5
	s_and_saveexec_b64 s[6:7], vcc
	s_xor_b64 s[6:7], exec, s[6:7]
	s_cbranch_execz .LBB18_561
; %bb.556:
	s_mov_b32 s8, 0x3c7fffff
	v_cmp_lt_u32_e32 vcc, s8, v6
                                        ; implicit-def: $vgpr5
	s_and_saveexec_b64 s[8:9], vcc
	s_xor_b64 s[8:9], exec, s[8:9]
; %bb.557:
	v_bfe_u32 v5, v24, 20, 1
	s_mov_b32 s10, 0x407ffff
	v_add3_u32 v5, v24, v5, s10
	v_lshrrev_b32_e32 v6, 20, v5
	v_and_b32_e32 v5, 0xff00000, v5
	s_mov_b32 s10, 0x7f00000
	v_mov_b32_e32 v7, 0x7e
	v_cmp_ne_u32_e32 vcc, s10, v5
	v_cndmask_b32_e32 v5, v7, v6, vcc
; %bb.558:
	s_andn2_saveexec_b64 s[8:9], s[8:9]
; %bb.559:
	s_mov_b32 s10, 0x46800000
	v_add_f32_e64 v5, |v24|, s10
; %bb.560:
	s_or_b64 exec, exec, s[8:9]
                                        ; implicit-def: $vgpr6
.LBB18_561:
	s_andn2_saveexec_b64 s[6:7], s[6:7]
; %bb.562:
	s_mov_b32 s8, 0x7f800000
	v_mov_b32_e32 v5, 0x7e
	v_mov_b32_e32 v7, 0x7f
	v_cmp_lt_u32_e32 vcc, s8, v6
	v_cndmask_b32_e32 v5, v5, v7, vcc
; %bb.563:
	s_or_b64 exec, exec, s[6:7]
	v_lshrrev_b32_e32 v6, 24, v24
	s_movk_i32 s6, 0x80
	v_and_or_b32 v5, v6, s6, v5
	global_store_byte v[2:3], v5, off
.LBB18_564:
	s_mov_b64 s[6:7], 0
.LBB18_565:
	s_andn2_b64 vcc, exec, s[6:7]
	s_cbranch_vccnz .LBB18_575
; %bb.566:
	v_and_b32_e32 v6, 0x7fffffff, v24
	s_mov_b32 s6, 0x47800000
	v_cmp_gt_u32_e32 vcc, s6, v6
                                        ; implicit-def: $vgpr5
	s_and_saveexec_b64 s[6:7], vcc
	s_xor_b64 s[6:7], exec, s[6:7]
	s_cbranch_execz .LBB18_572
; %bb.567:
	s_mov_b32 s8, 0x387fffff
	v_cmp_lt_u32_e32 vcc, s8, v6
                                        ; implicit-def: $vgpr5
	s_and_saveexec_b64 s[8:9], vcc
	s_xor_b64 s[8:9], exec, s[8:9]
; %bb.568:
	v_bfe_u32 v5, v24, 21, 1
	s_mov_b32 s10, 0x80fffff
	v_add3_u32 v5, v24, v5, s10
	v_lshrrev_b32_e32 v5, 21, v5
; %bb.569:
	s_andn2_saveexec_b64 s[8:9], s[8:9]
; %bb.570:
	s_mov_b32 s10, 0x43000000
	v_add_f32_e64 v5, |v24|, s10
; %bb.571:
	s_or_b64 exec, exec, s[8:9]
                                        ; implicit-def: $vgpr6
.LBB18_572:
	s_andn2_saveexec_b64 s[6:7], s[6:7]
; %bb.573:
	s_mov_b32 s8, 0x7f800000
	v_mov_b32_e32 v5, 0x7c
	v_mov_b32_e32 v7, 0x7f
	v_cmp_lt_u32_e32 vcc, s8, v6
	v_cndmask_b32_e32 v5, v5, v7, vcc
; %bb.574:
	s_or_b64 exec, exec, s[6:7]
	v_lshrrev_b32_e32 v6, 24, v24
	s_movk_i32 s6, 0x80
	v_and_or_b32 v5, v6, s6, v5
	global_store_byte v[2:3], v5, off
.LBB18_575:
	s_mov_b64 s[6:7], 0
	s_mov_b64 s[10:11], -1
.LBB18_576:
	s_andn2_b64 vcc, exec, s[6:7]
	s_mov_b64 s[8:9], 0
	s_cbranch_vccnz .LBB18_583
; %bb.577:
	s_cmp_gt_i32 s14, 14
	s_mov_b64 s[6:7], -1
	s_cbranch_scc0 .LBB18_581
; %bb.578:
	s_cmp_eq_u32 s14, 15
	s_mov_b64 s[4:5], -1
	s_cbranch_scc0 .LBB18_580
; %bb.579:
	v_bfe_u32 v5, v24, 16, 1
	s_movk_i32 s4, 0x7fff
	v_add3_u32 v5, v24, v5, s4
	v_cmp_o_f32_e32 vcc, v24, v24
	v_mov_b32_e32 v6, 0x7fc0
	v_cndmask_b32_sdwa v5, v6, v5, vcc dst_sel:DWORD dst_unused:UNUSED_PAD src0_sel:DWORD src1_sel:WORD_1
	global_store_short v[2:3], v5, off
	s_mov_b64 s[4:5], 0
	s_mov_b64 s[10:11], -1
.LBB18_580:
	s_mov_b64 s[6:7], 0
.LBB18_581:
	s_and_b64 vcc, exec, s[6:7]
	s_cbranch_vccz .LBB18_583
; %bb.582:
	s_cmp_lg_u32 s14, 11
	s_mov_b64 s[8:9], -1
	s_cselect_b64 s[4:5], -1, 0
.LBB18_583:
	s_and_b64 vcc, exec, s[4:5]
	s_mov_b64 s[6:7], s[42:43]
	s_cbranch_vccnz .LBB18_987
; %bb.584:
	s_andn2_b64 vcc, exec, s[8:9]
	s_cbranch_vccnz .LBB18_586
.LBB18_585:
	v_or_b32_e32 v5, v24, v25
	v_and_b32_e32 v5, 0x7fffffff, v5
	v_cmp_ne_u32_e32 vcc, 0, v5
	v_cndmask_b32_e64 v5, 0, 1, vcc
	global_store_byte v[2:3], v5, off
	s_mov_b64 s[10:11], -1
.LBB18_586:
.LBB18_587:
	s_andn2_b64 vcc, exec, s[10:11]
	s_cbranch_vccz .LBB18_627
	s_branch .LBB18_939
.LBB18_588:
	s_mov_b64 s[10:11], 0
	s_mov_b64 s[6:7], s[42:43]
	s_cbranch_execz .LBB18_587
; %bb.589:
	s_and_b32 s8, 0xffff, s16
	s_cmp_lt_i32 s8, 5
	s_mov_b64 s[4:5], -1
	s_cbranch_scc1 .LBB18_610
; %bb.590:
	s_cmp_lt_i32 s8, 8
	s_cbranch_scc1 .LBB18_600
; %bb.591:
	s_cmp_lt_i32 s8, 9
	s_cbranch_scc1 .LBB18_597
; %bb.592:
	s_cmp_gt_i32 s8, 9
	s_cbranch_scc0 .LBB18_594
; %bb.593:
	v_cvt_f64_f32_e32 v[5:6], v24
	v_cvt_f64_f32_e32 v[7:8], v25
	s_mov_b64 s[4:5], 0
	global_store_dwordx4 v[2:3], v[5:8], off
.LBB18_594:
	s_andn2_b64 vcc, exec, s[4:5]
	s_cbranch_vccnz .LBB18_596
; %bb.595:
	global_store_dwordx2 v[2:3], v[24:25], off
.LBB18_596:
	s_mov_b64 s[4:5], 0
.LBB18_597:
	s_andn2_b64 vcc, exec, s[4:5]
	s_cbranch_vccnz .LBB18_599
; %bb.598:
	v_cvt_f16_f32_e32 v5, v24
	v_cvt_f16_f32_sdwa v6, v25 dst_sel:WORD_1 dst_unused:UNUSED_PAD src0_sel:DWORD
	v_or_b32_e32 v5, v6, v5
	global_store_dword v[2:3], v5, off
.LBB18_599:
	s_mov_b64 s[4:5], 0
.LBB18_600:
	s_andn2_b64 vcc, exec, s[4:5]
	s_cbranch_vccnz .LBB18_609
; %bb.601:
	s_cmp_lt_i32 s8, 6
	s_mov_b64 s[4:5], -1
	s_cbranch_scc1 .LBB18_607
; %bb.602:
	s_cmp_gt_i32 s8, 6
	s_cbranch_scc0 .LBB18_604
; %bb.603:
	v_cvt_f64_f32_e32 v[5:6], v24
	s_mov_b64 s[4:5], 0
	global_store_dwordx2 v[2:3], v[5:6], off
.LBB18_604:
	s_andn2_b64 vcc, exec, s[4:5]
	s_cbranch_vccnz .LBB18_606
; %bb.605:
	global_store_dword v[2:3], v24, off
.LBB18_606:
	s_mov_b64 s[4:5], 0
.LBB18_607:
	s_andn2_b64 vcc, exec, s[4:5]
	s_cbranch_vccnz .LBB18_609
; %bb.608:
	v_cvt_f16_f32_e32 v5, v24
	global_store_short v[2:3], v5, off
.LBB18_609:
	s_mov_b64 s[4:5], 0
.LBB18_610:
	s_andn2_b64 vcc, exec, s[4:5]
	s_cbranch_vccnz .LBB18_626
; %bb.611:
	s_cmp_lt_i32 s8, 2
	s_mov_b64 s[4:5], -1
	s_cbranch_scc1 .LBB18_621
; %bb.612:
	s_cmp_lt_i32 s8, 3
	s_cbranch_scc1 .LBB18_618
; %bb.613:
	s_cmp_gt_i32 s8, 3
	s_cbranch_scc0 .LBB18_615
; %bb.614:
	v_trunc_f32_e32 v5, v24
	s_mov_b32 s4, 0x2f800000
	v_mul_f32_e64 v6, |v5|, s4
	v_floor_f32_e32 v6, v6
	s_mov_b32 s4, 0xcf800000
	v_cvt_u32_f32_e32 v7, v6
	v_fma_f32 v6, v6, s4, |v5|
	v_cvt_u32_f32_e32 v6, v6
	v_ashrrev_i32_e32 v8, 31, v5
	v_xor_b32_e32 v7, v7, v8
	s_mov_b64 s[4:5], 0
	v_xor_b32_e32 v5, v6, v8
	v_sub_co_u32_e32 v5, vcc, v5, v8
	v_subb_co_u32_e32 v6, vcc, v7, v8, vcc
	global_store_dwordx2 v[2:3], v[5:6], off
.LBB18_615:
	s_andn2_b64 vcc, exec, s[4:5]
	s_cbranch_vccnz .LBB18_617
; %bb.616:
	v_cvt_i32_f32_e32 v5, v24
	global_store_dword v[2:3], v5, off
.LBB18_617:
	s_mov_b64 s[4:5], 0
.LBB18_618:
	s_andn2_b64 vcc, exec, s[4:5]
	s_cbranch_vccnz .LBB18_620
; %bb.619:
	v_cvt_i32_f32_e32 v5, v24
	global_store_short v[2:3], v5, off
.LBB18_620:
	s_mov_b64 s[4:5], 0
.LBB18_621:
	s_andn2_b64 vcc, exec, s[4:5]
	s_cbranch_vccnz .LBB18_626
; %bb.622:
	s_cmp_gt_i32 s8, 0
	s_mov_b64 s[4:5], -1
	s_cbranch_scc0 .LBB18_624
; %bb.623:
	v_cvt_i32_f32_e32 v5, v24
	s_mov_b64 s[4:5], 0
	global_store_byte v[2:3], v5, off
.LBB18_624:
	s_andn2_b64 vcc, exec, s[4:5]
	s_cbranch_vccnz .LBB18_626
; %bb.625:
	v_trunc_f32_e32 v5, v24
	s_mov_b32 s4, 0x2f800000
	v_mul_f32_e64 v6, |v5|, s4
	v_floor_f32_e32 v6, v6
	s_mov_b32 s4, 0xcf800000
	v_fma_f32 v6, v6, s4, |v5|
	v_cvt_u32_f32_e32 v6, v6
	v_ashrrev_i32_e32 v5, 31, v5
	v_xor_b32_e32 v6, v6, v5
	v_sub_u32_e32 v5, v6, v5
	global_store_byte v[2:3], v5, off
.LBB18_626:
.LBB18_627:
	s_lshl_b32 s17, s28, 7
	v_add_u32_e32 v4, s17, v4
	v_ashrrev_i32_e32 v3, 31, v4
	v_mov_b32_e32 v5, s37
	v_add_co_u32_e32 v2, vcc, s36, v4
	s_cmp_lt_i32 s16, 11
	v_addc_co_u32_e32 v3, vcc, v5, v3, vcc
	s_cbranch_scc1 .LBB18_706
; %bb.628:
	s_and_b32 s18, 0xffff, s16
	s_mov_b64 s[12:13], -1
	s_mov_b64 s[8:9], 0
	s_cmp_gt_i32 s18, 25
	s_mov_b64 s[10:11], 0
	s_mov_b64 s[4:5], 0
	s_cbranch_scc0 .LBB18_661
; %bb.629:
	s_cmp_gt_i32 s18, 28
	s_cbranch_scc0 .LBB18_644
; %bb.630:
	s_cmp_gt_i32 s18, 43
	;; [unrolled: 3-line block ×3, first 2 shown]
	s_cbranch_scc0 .LBB18_634
; %bb.632:
	s_mov_b64 s[4:5], -1
	s_mov_b64 s[12:13], 0
	s_cmp_eq_u32 s18, 46
	s_cbranch_scc0 .LBB18_634
; %bb.633:
	s_movk_i32 s4, 0x7fff
	v_bfe_u32 v6, v23, 16, 1
	v_add3_u32 v6, v23, v6, s4
	v_bfe_u32 v5, v22, 16, 1
	v_and_b32_e32 v6, 0xffff0000, v6
	v_mov_b32_e32 v7, 0x7fc00000
	v_cmp_o_f32_e32 vcc, v23, v23
	v_add3_u32 v5, v22, v5, s4
	v_cndmask_b32_e32 v6, v7, v6, vcc
	v_cmp_o_f32_e32 vcc, v22, v22
	v_mov_b32_e32 v7, 0x7fc0
	v_cndmask_b32_sdwa v5, v7, v5, vcc dst_sel:DWORD dst_unused:UNUSED_PAD src0_sel:DWORD src1_sel:WORD_1
	v_or_b32_e32 v5, v6, v5
	global_store_dword v[2:3], v5, off
	s_mov_b64 s[4:5], 0
	s_mov_b64 s[10:11], -1
.LBB18_634:
	s_and_b64 vcc, exec, s[12:13]
	s_cbranch_vccz .LBB18_639
; %bb.635:
	s_cmp_eq_u32 s18, 44
	s_mov_b64 s[4:5], -1
	s_cbranch_scc0 .LBB18_639
; %bb.636:
	v_bfe_u32 v5, v22, 23, 8
	s_movk_i32 s4, 0xff
	v_cmp_ne_u32_e32 vcc, s4, v5
	v_mov_b32_e32 v6, 0xff
	s_and_saveexec_b64 s[10:11], vcc
; %bb.637:
	s_mov_b32 s4, 0x3fffff
	v_and_b32_e32 v7, 0x400000, v22
	v_and_or_b32 v5, v22, s4, v5
	v_cmp_ne_u32_e32 vcc, 0, v7
	v_cmp_ne_u32_e64 s[4:5], 0, v5
	s_and_b64 s[4:5], vcc, s[4:5]
	v_lshrrev_b32_e32 v6, 23, v22
	v_cndmask_b32_e64 v5, 0, 1, s[4:5]
	v_add_u32_e32 v6, v6, v5
; %bb.638:
	s_or_b64 exec, exec, s[10:11]
	s_mov_b64 s[4:5], 0
	s_mov_b64 s[10:11], -1
	global_store_byte v[2:3], v6, off
.LBB18_639:
	s_mov_b64 s[12:13], 0
.LBB18_640:
	s_and_b64 vcc, exec, s[12:13]
	s_cbranch_vccz .LBB18_643
; %bb.641:
	s_cmp_eq_u32 s18, 29
	s_mov_b64 s[4:5], -1
	s_cbranch_scc0 .LBB18_643
; %bb.642:
	v_trunc_f32_e32 v5, v22
	v_mul_f32_e32 v6, 0x2f800000, v5
	v_floor_f32_e32 v7, v6
	v_fmac_f32_e32 v5, 0xcf800000, v7
	v_cvt_u32_f32_e32 v6, v7
	v_cvt_u32_f32_e32 v5, v5
	s_mov_b64 s[4:5], 0
	s_mov_b64 s[10:11], -1
	global_store_dwordx2 v[2:3], v[5:6], off
.LBB18_643:
	s_mov_b64 s[12:13], 0
.LBB18_644:
	s_and_b64 vcc, exec, s[12:13]
	s_cbranch_vccz .LBB18_660
; %bb.645:
	s_cmp_lt_i32 s18, 27
	s_mov_b64 s[10:11], -1
	s_cbranch_scc1 .LBB18_651
; %bb.646:
	v_cvt_u32_f32_e32 v5, v22
	s_cmp_gt_i32 s18, 27
	s_cbranch_scc0 .LBB18_648
; %bb.647:
	s_mov_b64 s[10:11], 0
	global_store_dword v[2:3], v5, off
.LBB18_648:
	s_andn2_b64 vcc, exec, s[10:11]
	s_cbranch_vccnz .LBB18_650
; %bb.649:
	global_store_short v[2:3], v5, off
.LBB18_650:
	s_mov_b64 s[10:11], 0
.LBB18_651:
	s_andn2_b64 vcc, exec, s[10:11]
	s_cbranch_vccnz .LBB18_659
; %bb.652:
	v_and_b32_e32 v5, 0x7fffffff, v22
	s_mov_b32 s10, 0x43800000
	v_cmp_gt_u32_e32 vcc, s10, v5
	v_mov_b32_e32 v6, 0x80
	s_and_saveexec_b64 s[10:11], vcc
	s_cbranch_execz .LBB18_658
; %bb.653:
	s_mov_b32 s12, 0x3bffffff
	v_cmp_lt_u32_e32 vcc, s12, v5
	s_mov_b64 s[12:13], 0
                                        ; implicit-def: $vgpr5
	s_and_saveexec_b64 s[14:15], vcc
	s_xor_b64 s[14:15], exec, s[14:15]
	s_cbranch_execz .LBB18_990
; %bb.654:
	v_bfe_u32 v5, v22, 20, 1
	s_mov_b32 s19, 0x487ffff
	v_add3_u32 v5, v22, v5, s19
	s_mov_b64 s[12:13], exec
	v_lshrrev_b32_e32 v5, 20, v5
	s_andn2_saveexec_b64 s[14:15], s[14:15]
	s_cbranch_execnz .LBB18_991
.LBB18_655:
	s_or_b64 exec, exec, s[14:15]
	v_mov_b32_e32 v6, 0
	s_and_saveexec_b64 s[14:15], s[12:13]
.LBB18_656:
	v_lshrrev_b32_e32 v6, 24, v22
	s_movk_i32 s12, 0x80
	v_and_or_b32 v6, v6, s12, v5
.LBB18_657:
	s_or_b64 exec, exec, s[14:15]
.LBB18_658:
	s_or_b64 exec, exec, s[10:11]
	global_store_byte v[2:3], v6, off
.LBB18_659:
	s_mov_b64 s[10:11], -1
.LBB18_660:
	s_mov_b64 s[12:13], 0
.LBB18_661:
	s_and_b64 vcc, exec, s[12:13]
	s_cbranch_vccz .LBB18_701
; %bb.662:
	s_cmp_gt_i32 s18, 22
	s_mov_b64 s[8:9], -1
	s_cbranch_scc0 .LBB18_694
; %bb.663:
	s_cmp_lt_i32 s18, 24
	s_cbranch_scc1 .LBB18_683
; %bb.664:
	s_cmp_gt_i32 s18, 24
	s_cbranch_scc0 .LBB18_672
; %bb.665:
	v_and_b32_e32 v5, 0x7fffffff, v22
	s_mov_b32 s8, 0x47800000
	v_cmp_gt_u32_e32 vcc, s8, v5
	v_mov_b32_e32 v6, 0x80
	s_and_saveexec_b64 s[8:9], vcc
	s_cbranch_execz .LBB18_671
; %bb.666:
	s_mov_b32 s10, 0x37ffffff
	v_cmp_lt_u32_e32 vcc, s10, v5
	s_mov_b64 s[10:11], 0
                                        ; implicit-def: $vgpr5
	s_and_saveexec_b64 s[12:13], vcc
	s_xor_b64 s[12:13], exec, s[12:13]
	s_cbranch_execz .LBB18_993
; %bb.667:
	v_bfe_u32 v5, v22, 21, 1
	s_mov_b32 s14, 0x88fffff
	v_add3_u32 v5, v22, v5, s14
	s_mov_b64 s[10:11], exec
	v_lshrrev_b32_e32 v5, 21, v5
	s_andn2_saveexec_b64 s[12:13], s[12:13]
	s_cbranch_execnz .LBB18_994
.LBB18_668:
	s_or_b64 exec, exec, s[12:13]
	v_mov_b32_e32 v6, 0
	s_and_saveexec_b64 s[12:13], s[10:11]
.LBB18_669:
	v_lshrrev_b32_e32 v6, 24, v22
	s_movk_i32 s10, 0x80
	v_and_or_b32 v6, v6, s10, v5
.LBB18_670:
	s_or_b64 exec, exec, s[12:13]
.LBB18_671:
	s_or_b64 exec, exec, s[8:9]
	s_mov_b64 s[8:9], 0
	global_store_byte v[2:3], v6, off
.LBB18_672:
	s_and_b64 vcc, exec, s[8:9]
	s_cbranch_vccz .LBB18_682
; %bb.673:
	v_and_b32_e32 v6, 0x7fffffff, v22
	s_mov_b32 s8, 0x43f00000
	v_cmp_gt_u32_e32 vcc, s8, v6
                                        ; implicit-def: $vgpr5
	s_and_saveexec_b64 s[8:9], vcc
	s_xor_b64 s[8:9], exec, s[8:9]
	s_cbranch_execz .LBB18_679
; %bb.674:
	s_mov_b32 s10, 0x3c7fffff
	v_cmp_lt_u32_e32 vcc, s10, v6
                                        ; implicit-def: $vgpr5
	s_and_saveexec_b64 s[10:11], vcc
	s_xor_b64 s[10:11], exec, s[10:11]
; %bb.675:
	v_bfe_u32 v5, v22, 20, 1
	s_mov_b32 s12, 0x407ffff
	v_add3_u32 v5, v22, v5, s12
	v_lshrrev_b32_e32 v6, 20, v5
	v_and_b32_e32 v5, 0xff00000, v5
	s_mov_b32 s12, 0x7f00000
	v_mov_b32_e32 v7, 0x7e
	v_cmp_ne_u32_e32 vcc, s12, v5
	v_cndmask_b32_e32 v5, v7, v6, vcc
; %bb.676:
	s_andn2_saveexec_b64 s[10:11], s[10:11]
; %bb.677:
	s_mov_b32 s12, 0x46800000
	v_add_f32_e64 v5, |v22|, s12
; %bb.678:
	s_or_b64 exec, exec, s[10:11]
                                        ; implicit-def: $vgpr6
.LBB18_679:
	s_andn2_saveexec_b64 s[8:9], s[8:9]
; %bb.680:
	s_mov_b32 s10, 0x7f800000
	v_mov_b32_e32 v5, 0x7e
	v_mov_b32_e32 v7, 0x7f
	v_cmp_lt_u32_e32 vcc, s10, v6
	v_cndmask_b32_e32 v5, v5, v7, vcc
; %bb.681:
	s_or_b64 exec, exec, s[8:9]
	v_lshrrev_b32_e32 v6, 24, v22
	s_movk_i32 s8, 0x80
	v_and_or_b32 v5, v6, s8, v5
	global_store_byte v[2:3], v5, off
.LBB18_682:
	s_mov_b64 s[8:9], 0
.LBB18_683:
	s_andn2_b64 vcc, exec, s[8:9]
	s_cbranch_vccnz .LBB18_693
; %bb.684:
	v_and_b32_e32 v6, 0x7fffffff, v22
	s_mov_b32 s8, 0x47800000
	v_cmp_gt_u32_e32 vcc, s8, v6
                                        ; implicit-def: $vgpr5
	s_and_saveexec_b64 s[8:9], vcc
	s_xor_b64 s[8:9], exec, s[8:9]
	s_cbranch_execz .LBB18_690
; %bb.685:
	s_mov_b32 s10, 0x387fffff
	v_cmp_lt_u32_e32 vcc, s10, v6
                                        ; implicit-def: $vgpr5
	s_and_saveexec_b64 s[10:11], vcc
	s_xor_b64 s[10:11], exec, s[10:11]
; %bb.686:
	v_bfe_u32 v5, v22, 21, 1
	s_mov_b32 s12, 0x80fffff
	v_add3_u32 v5, v22, v5, s12
	v_lshrrev_b32_e32 v5, 21, v5
; %bb.687:
	s_andn2_saveexec_b64 s[10:11], s[10:11]
; %bb.688:
	s_mov_b32 s12, 0x43000000
	v_add_f32_e64 v5, |v22|, s12
; %bb.689:
	s_or_b64 exec, exec, s[10:11]
                                        ; implicit-def: $vgpr6
.LBB18_690:
	s_andn2_saveexec_b64 s[8:9], s[8:9]
; %bb.691:
	s_mov_b32 s10, 0x7f800000
	v_mov_b32_e32 v5, 0x7c
	v_mov_b32_e32 v7, 0x7f
	v_cmp_lt_u32_e32 vcc, s10, v6
	v_cndmask_b32_e32 v5, v5, v7, vcc
; %bb.692:
	s_or_b64 exec, exec, s[8:9]
	v_lshrrev_b32_e32 v6, 24, v22
	s_movk_i32 s8, 0x80
	v_and_or_b32 v5, v6, s8, v5
	global_store_byte v[2:3], v5, off
.LBB18_693:
	s_mov_b64 s[8:9], 0
	s_mov_b64 s[10:11], -1
.LBB18_694:
	s_andn2_b64 vcc, exec, s[8:9]
	s_mov_b64 s[8:9], 0
	s_cbranch_vccnz .LBB18_701
; %bb.695:
	s_cmp_gt_i32 s18, 14
	s_mov_b64 s[12:13], -1
	s_cbranch_scc0 .LBB18_699
; %bb.696:
	s_cmp_eq_u32 s18, 15
	s_mov_b64 s[4:5], -1
	s_cbranch_scc0 .LBB18_698
; %bb.697:
	v_bfe_u32 v5, v22, 16, 1
	s_movk_i32 s4, 0x7fff
	v_add3_u32 v5, v22, v5, s4
	v_cmp_o_f32_e32 vcc, v22, v22
	v_mov_b32_e32 v6, 0x7fc0
	v_cndmask_b32_sdwa v5, v6, v5, vcc dst_sel:DWORD dst_unused:UNUSED_PAD src0_sel:DWORD src1_sel:WORD_1
	global_store_short v[2:3], v5, off
	s_mov_b64 s[4:5], 0
	s_mov_b64 s[10:11], -1
.LBB18_698:
	s_mov_b64 s[12:13], 0
.LBB18_699:
	s_and_b64 vcc, exec, s[12:13]
	s_cbranch_vccz .LBB18_701
; %bb.700:
	s_cmp_lg_u32 s18, 11
	s_mov_b64 s[8:9], -1
	s_cselect_b64 s[4:5], -1, 0
.LBB18_701:
	s_and_b64 vcc, exec, s[4:5]
	s_cbranch_vccnz .LBB18_992
; %bb.702:
	s_andn2_b64 vcc, exec, s[8:9]
	s_cbranch_vccnz .LBB18_704
.LBB18_703:
	v_or_b32_e32 v5, v22, v23
	v_and_b32_e32 v5, 0x7fffffff, v5
	v_cmp_ne_u32_e32 vcc, 0, v5
	v_cndmask_b32_e64 v5, 0, 1, vcc
	s_mov_b64 s[10:11], -1
	global_store_byte v[2:3], v5, off
.LBB18_704:
.LBB18_705:
	s_andn2_b64 vcc, exec, s[10:11]
	s_cbranch_vccz .LBB18_745
	s_branch .LBB18_939
.LBB18_706:
	s_mov_b64 s[10:11], 0
	s_cbranch_execz .LBB18_705
; %bb.707:
	s_and_b32 s8, 0xffff, s16
	s_cmp_lt_i32 s8, 5
	s_mov_b64 s[4:5], -1
	s_cbranch_scc1 .LBB18_728
; %bb.708:
	s_cmp_lt_i32 s8, 8
	s_cbranch_scc1 .LBB18_718
; %bb.709:
	s_cmp_lt_i32 s8, 9
	s_cbranch_scc1 .LBB18_715
; %bb.710:
	s_cmp_gt_i32 s8, 9
	s_cbranch_scc0 .LBB18_712
; %bb.711:
	v_cvt_f64_f32_e32 v[5:6], v22
	v_cvt_f64_f32_e32 v[7:8], v23
	s_mov_b64 s[4:5], 0
	global_store_dwordx4 v[2:3], v[5:8], off
.LBB18_712:
	s_andn2_b64 vcc, exec, s[4:5]
	s_cbranch_vccnz .LBB18_714
; %bb.713:
	global_store_dwordx2 v[2:3], v[22:23], off
.LBB18_714:
	s_mov_b64 s[4:5], 0
.LBB18_715:
	s_andn2_b64 vcc, exec, s[4:5]
	s_cbranch_vccnz .LBB18_717
; %bb.716:
	v_cvt_f16_f32_e32 v5, v22
	v_cvt_f16_f32_sdwa v6, v23 dst_sel:WORD_1 dst_unused:UNUSED_PAD src0_sel:DWORD
	v_or_b32_e32 v5, v6, v5
	global_store_dword v[2:3], v5, off
.LBB18_717:
	s_mov_b64 s[4:5], 0
.LBB18_718:
	s_andn2_b64 vcc, exec, s[4:5]
	s_cbranch_vccnz .LBB18_727
; %bb.719:
	s_cmp_lt_i32 s8, 6
	s_mov_b64 s[4:5], -1
	s_cbranch_scc1 .LBB18_725
; %bb.720:
	s_cmp_gt_i32 s8, 6
	s_cbranch_scc0 .LBB18_722
; %bb.721:
	v_cvt_f64_f32_e32 v[5:6], v22
	s_mov_b64 s[4:5], 0
	global_store_dwordx2 v[2:3], v[5:6], off
.LBB18_722:
	s_andn2_b64 vcc, exec, s[4:5]
	s_cbranch_vccnz .LBB18_724
; %bb.723:
	global_store_dword v[2:3], v22, off
.LBB18_724:
	s_mov_b64 s[4:5], 0
.LBB18_725:
	s_andn2_b64 vcc, exec, s[4:5]
	s_cbranch_vccnz .LBB18_727
; %bb.726:
	v_cvt_f16_f32_e32 v5, v22
	global_store_short v[2:3], v5, off
.LBB18_727:
	s_mov_b64 s[4:5], 0
.LBB18_728:
	s_andn2_b64 vcc, exec, s[4:5]
	s_cbranch_vccnz .LBB18_744
; %bb.729:
	s_cmp_lt_i32 s8, 2
	s_mov_b64 s[4:5], -1
	s_cbranch_scc1 .LBB18_739
; %bb.730:
	s_cmp_lt_i32 s8, 3
	s_cbranch_scc1 .LBB18_736
; %bb.731:
	s_cmp_gt_i32 s8, 3
	s_cbranch_scc0 .LBB18_733
; %bb.732:
	v_trunc_f32_e32 v5, v22
	s_mov_b32 s4, 0x2f800000
	v_mul_f32_e64 v6, |v5|, s4
	v_floor_f32_e32 v6, v6
	s_mov_b32 s4, 0xcf800000
	v_cvt_u32_f32_e32 v7, v6
	v_fma_f32 v6, v6, s4, |v5|
	v_cvt_u32_f32_e32 v6, v6
	v_ashrrev_i32_e32 v8, 31, v5
	v_xor_b32_e32 v7, v7, v8
	s_mov_b64 s[4:5], 0
	v_xor_b32_e32 v5, v6, v8
	v_sub_co_u32_e32 v5, vcc, v5, v8
	v_subb_co_u32_e32 v6, vcc, v7, v8, vcc
	global_store_dwordx2 v[2:3], v[5:6], off
.LBB18_733:
	s_andn2_b64 vcc, exec, s[4:5]
	s_cbranch_vccnz .LBB18_735
; %bb.734:
	v_cvt_i32_f32_e32 v5, v22
	global_store_dword v[2:3], v5, off
.LBB18_735:
	s_mov_b64 s[4:5], 0
.LBB18_736:
	s_andn2_b64 vcc, exec, s[4:5]
	s_cbranch_vccnz .LBB18_738
; %bb.737:
	v_cvt_i32_f32_e32 v5, v22
	global_store_short v[2:3], v5, off
.LBB18_738:
	s_mov_b64 s[4:5], 0
.LBB18_739:
	s_andn2_b64 vcc, exec, s[4:5]
	s_cbranch_vccnz .LBB18_744
; %bb.740:
	s_cmp_gt_i32 s8, 0
	s_mov_b64 s[4:5], -1
	s_cbranch_scc0 .LBB18_742
; %bb.741:
	v_cvt_i32_f32_e32 v5, v22
	s_mov_b64 s[4:5], 0
	global_store_byte v[2:3], v5, off
.LBB18_742:
	s_andn2_b64 vcc, exec, s[4:5]
	s_cbranch_vccnz .LBB18_744
; %bb.743:
	v_trunc_f32_e32 v5, v22
	s_mov_b32 s4, 0x2f800000
	v_mul_f32_e64 v6, |v5|, s4
	v_floor_f32_e32 v6, v6
	s_mov_b32 s4, 0xcf800000
	v_fma_f32 v6, v6, s4, |v5|
	v_cvt_u32_f32_e32 v6, v6
	v_ashrrev_i32_e32 v5, 31, v5
	v_xor_b32_e32 v6, v6, v5
	v_sub_u32_e32 v5, v6, v5
	global_store_byte v[2:3], v5, off
.LBB18_744:
.LBB18_745:
	v_add_u32_e32 v4, s17, v4
	v_ashrrev_i32_e32 v3, 31, v4
	v_mov_b32_e32 v5, s37
	v_add_co_u32_e32 v2, vcc, s36, v4
	s_cmp_lt_i32 s16, 11
	v_addc_co_u32_e32 v3, vcc, v5, v3, vcc
	s_cbranch_scc1 .LBB18_900
; %bb.746:
	s_and_b32 s18, 0xffff, s16
	s_mov_b64 s[12:13], -1
	s_mov_b64 s[8:9], 0
	s_cmp_gt_i32 s18, 25
	s_mov_b64 s[10:11], 0
	s_mov_b64 s[4:5], 0
	s_cbranch_scc0 .LBB18_779
; %bb.747:
	s_cmp_gt_i32 s18, 28
	s_cbranch_scc0 .LBB18_762
; %bb.748:
	s_cmp_gt_i32 s18, 43
	;; [unrolled: 3-line block ×3, first 2 shown]
	s_cbranch_scc0 .LBB18_752
; %bb.750:
	s_mov_b64 s[4:5], -1
	s_mov_b64 s[12:13], 0
	s_cmp_eq_u32 s18, 46
	s_cbranch_scc0 .LBB18_752
; %bb.751:
	s_movk_i32 s4, 0x7fff
	v_bfe_u32 v6, v21, 16, 1
	v_add3_u32 v6, v21, v6, s4
	v_bfe_u32 v5, v20, 16, 1
	v_and_b32_e32 v6, 0xffff0000, v6
	v_mov_b32_e32 v7, 0x7fc00000
	v_cmp_o_f32_e32 vcc, v21, v21
	v_add3_u32 v5, v20, v5, s4
	v_cndmask_b32_e32 v6, v7, v6, vcc
	v_cmp_o_f32_e32 vcc, v20, v20
	v_mov_b32_e32 v7, 0x7fc0
	v_cndmask_b32_sdwa v5, v7, v5, vcc dst_sel:DWORD dst_unused:UNUSED_PAD src0_sel:DWORD src1_sel:WORD_1
	v_or_b32_e32 v5, v6, v5
	global_store_dword v[2:3], v5, off
	s_mov_b64 s[4:5], 0
	s_mov_b64 s[10:11], -1
.LBB18_752:
	s_and_b64 vcc, exec, s[12:13]
	s_cbranch_vccz .LBB18_757
; %bb.753:
	s_cmp_eq_u32 s18, 44
	s_mov_b64 s[4:5], -1
	s_cbranch_scc0 .LBB18_757
; %bb.754:
	v_bfe_u32 v5, v20, 23, 8
	s_movk_i32 s4, 0xff
	v_cmp_ne_u32_e32 vcc, s4, v5
	v_mov_b32_e32 v6, 0xff
	s_and_saveexec_b64 s[10:11], vcc
; %bb.755:
	s_mov_b32 s4, 0x3fffff
	v_and_b32_e32 v7, 0x400000, v20
	v_and_or_b32 v5, v20, s4, v5
	v_cmp_ne_u32_e32 vcc, 0, v7
	v_cmp_ne_u32_e64 s[4:5], 0, v5
	s_and_b64 s[4:5], vcc, s[4:5]
	v_lshrrev_b32_e32 v6, 23, v20
	v_cndmask_b32_e64 v5, 0, 1, s[4:5]
	v_add_u32_e32 v6, v6, v5
; %bb.756:
	s_or_b64 exec, exec, s[10:11]
	s_mov_b64 s[4:5], 0
	s_mov_b64 s[10:11], -1
	global_store_byte v[2:3], v6, off
.LBB18_757:
	s_mov_b64 s[12:13], 0
.LBB18_758:
	s_and_b64 vcc, exec, s[12:13]
	s_cbranch_vccz .LBB18_761
; %bb.759:
	s_cmp_eq_u32 s18, 29
	s_mov_b64 s[4:5], -1
	s_cbranch_scc0 .LBB18_761
; %bb.760:
	v_trunc_f32_e32 v5, v20
	v_mul_f32_e32 v6, 0x2f800000, v5
	v_floor_f32_e32 v7, v6
	v_fmac_f32_e32 v5, 0xcf800000, v7
	v_cvt_u32_f32_e32 v6, v7
	v_cvt_u32_f32_e32 v5, v5
	s_mov_b64 s[4:5], 0
	s_mov_b64 s[10:11], -1
	global_store_dwordx2 v[2:3], v[5:6], off
.LBB18_761:
	s_mov_b64 s[12:13], 0
.LBB18_762:
	s_and_b64 vcc, exec, s[12:13]
	s_cbranch_vccz .LBB18_778
; %bb.763:
	s_cmp_lt_i32 s18, 27
	s_mov_b64 s[10:11], -1
	s_cbranch_scc1 .LBB18_769
; %bb.764:
	v_cvt_u32_f32_e32 v5, v20
	s_cmp_gt_i32 s18, 27
	s_cbranch_scc0 .LBB18_766
; %bb.765:
	s_mov_b64 s[10:11], 0
	global_store_dword v[2:3], v5, off
.LBB18_766:
	s_andn2_b64 vcc, exec, s[10:11]
	s_cbranch_vccnz .LBB18_768
; %bb.767:
	global_store_short v[2:3], v5, off
.LBB18_768:
	s_mov_b64 s[10:11], 0
.LBB18_769:
	s_andn2_b64 vcc, exec, s[10:11]
	s_cbranch_vccnz .LBB18_777
; %bb.770:
	v_and_b32_e32 v5, 0x7fffffff, v20
	s_mov_b32 s10, 0x43800000
	v_cmp_gt_u32_e32 vcc, s10, v5
	v_mov_b32_e32 v6, 0x80
	s_and_saveexec_b64 s[10:11], vcc
	s_cbranch_execz .LBB18_776
; %bb.771:
	s_mov_b32 s12, 0x3bffffff
	v_cmp_lt_u32_e32 vcc, s12, v5
	s_mov_b64 s[12:13], 0
                                        ; implicit-def: $vgpr5
	s_and_saveexec_b64 s[14:15], vcc
	s_xor_b64 s[14:15], exec, s[14:15]
	s_cbranch_execz .LBB18_995
; %bb.772:
	v_bfe_u32 v5, v20, 20, 1
	s_mov_b32 s19, 0x487ffff
	v_add3_u32 v5, v20, v5, s19
	s_mov_b64 s[12:13], exec
	v_lshrrev_b32_e32 v5, 20, v5
	s_andn2_saveexec_b64 s[14:15], s[14:15]
	s_cbranch_execnz .LBB18_996
.LBB18_773:
	s_or_b64 exec, exec, s[14:15]
	v_mov_b32_e32 v6, 0
	s_and_saveexec_b64 s[14:15], s[12:13]
.LBB18_774:
	v_lshrrev_b32_e32 v6, 24, v20
	s_movk_i32 s12, 0x80
	v_and_or_b32 v6, v6, s12, v5
.LBB18_775:
	s_or_b64 exec, exec, s[14:15]
.LBB18_776:
	s_or_b64 exec, exec, s[10:11]
	global_store_byte v[2:3], v6, off
.LBB18_777:
	s_mov_b64 s[10:11], -1
.LBB18_778:
	s_mov_b64 s[12:13], 0
.LBB18_779:
	s_and_b64 vcc, exec, s[12:13]
	s_cbranch_vccz .LBB18_819
; %bb.780:
	s_cmp_gt_i32 s18, 22
	s_mov_b64 s[8:9], -1
	s_cbranch_scc0 .LBB18_812
; %bb.781:
	s_cmp_lt_i32 s18, 24
	s_cbranch_scc1 .LBB18_801
; %bb.782:
	s_cmp_gt_i32 s18, 24
	s_cbranch_scc0 .LBB18_790
; %bb.783:
	v_and_b32_e32 v5, 0x7fffffff, v20
	s_mov_b32 s8, 0x47800000
	v_cmp_gt_u32_e32 vcc, s8, v5
	v_mov_b32_e32 v6, 0x80
	s_and_saveexec_b64 s[8:9], vcc
	s_cbranch_execz .LBB18_789
; %bb.784:
	s_mov_b32 s10, 0x37ffffff
	v_cmp_lt_u32_e32 vcc, s10, v5
	s_mov_b64 s[10:11], 0
                                        ; implicit-def: $vgpr5
	s_and_saveexec_b64 s[12:13], vcc
	s_xor_b64 s[12:13], exec, s[12:13]
	s_cbranch_execz .LBB18_1000
; %bb.785:
	v_bfe_u32 v5, v20, 21, 1
	s_mov_b32 s14, 0x88fffff
	v_add3_u32 v5, v20, v5, s14
	s_mov_b64 s[10:11], exec
	v_lshrrev_b32_e32 v5, 21, v5
	s_andn2_saveexec_b64 s[12:13], s[12:13]
	s_cbranch_execnz .LBB18_1001
.LBB18_786:
	s_or_b64 exec, exec, s[12:13]
	v_mov_b32_e32 v6, 0
	s_and_saveexec_b64 s[12:13], s[10:11]
.LBB18_787:
	v_lshrrev_b32_e32 v6, 24, v20
	s_movk_i32 s10, 0x80
	v_and_or_b32 v6, v6, s10, v5
.LBB18_788:
	s_or_b64 exec, exec, s[12:13]
.LBB18_789:
	s_or_b64 exec, exec, s[8:9]
	s_mov_b64 s[8:9], 0
	global_store_byte v[2:3], v6, off
.LBB18_790:
	s_and_b64 vcc, exec, s[8:9]
	s_cbranch_vccz .LBB18_800
; %bb.791:
	v_and_b32_e32 v6, 0x7fffffff, v20
	s_mov_b32 s8, 0x43f00000
	v_cmp_gt_u32_e32 vcc, s8, v6
                                        ; implicit-def: $vgpr5
	s_and_saveexec_b64 s[8:9], vcc
	s_xor_b64 s[8:9], exec, s[8:9]
	s_cbranch_execz .LBB18_797
; %bb.792:
	s_mov_b32 s10, 0x3c7fffff
	v_cmp_lt_u32_e32 vcc, s10, v6
                                        ; implicit-def: $vgpr5
	s_and_saveexec_b64 s[10:11], vcc
	s_xor_b64 s[10:11], exec, s[10:11]
; %bb.793:
	v_bfe_u32 v5, v20, 20, 1
	s_mov_b32 s12, 0x407ffff
	v_add3_u32 v5, v20, v5, s12
	v_lshrrev_b32_e32 v6, 20, v5
	v_and_b32_e32 v5, 0xff00000, v5
	s_mov_b32 s12, 0x7f00000
	v_mov_b32_e32 v7, 0x7e
	v_cmp_ne_u32_e32 vcc, s12, v5
	v_cndmask_b32_e32 v5, v7, v6, vcc
; %bb.794:
	s_andn2_saveexec_b64 s[10:11], s[10:11]
; %bb.795:
	s_mov_b32 s12, 0x46800000
	v_add_f32_e64 v5, |v20|, s12
; %bb.796:
	s_or_b64 exec, exec, s[10:11]
                                        ; implicit-def: $vgpr6
.LBB18_797:
	s_andn2_saveexec_b64 s[8:9], s[8:9]
; %bb.798:
	s_mov_b32 s10, 0x7f800000
	v_mov_b32_e32 v5, 0x7e
	v_mov_b32_e32 v7, 0x7f
	v_cmp_lt_u32_e32 vcc, s10, v6
	v_cndmask_b32_e32 v5, v5, v7, vcc
; %bb.799:
	s_or_b64 exec, exec, s[8:9]
	v_lshrrev_b32_e32 v6, 24, v20
	s_movk_i32 s8, 0x80
	v_and_or_b32 v5, v6, s8, v5
	global_store_byte v[2:3], v5, off
.LBB18_800:
	s_mov_b64 s[8:9], 0
.LBB18_801:
	s_andn2_b64 vcc, exec, s[8:9]
	s_cbranch_vccnz .LBB18_811
; %bb.802:
	v_and_b32_e32 v6, 0x7fffffff, v20
	s_mov_b32 s8, 0x47800000
	v_cmp_gt_u32_e32 vcc, s8, v6
                                        ; implicit-def: $vgpr5
	s_and_saveexec_b64 s[8:9], vcc
	s_xor_b64 s[8:9], exec, s[8:9]
	s_cbranch_execz .LBB18_808
; %bb.803:
	s_mov_b32 s10, 0x387fffff
	v_cmp_lt_u32_e32 vcc, s10, v6
                                        ; implicit-def: $vgpr5
	s_and_saveexec_b64 s[10:11], vcc
	s_xor_b64 s[10:11], exec, s[10:11]
; %bb.804:
	v_bfe_u32 v5, v20, 21, 1
	s_mov_b32 s12, 0x80fffff
	v_add3_u32 v5, v20, v5, s12
	v_lshrrev_b32_e32 v5, 21, v5
; %bb.805:
	s_andn2_saveexec_b64 s[10:11], s[10:11]
; %bb.806:
	s_mov_b32 s12, 0x43000000
	v_add_f32_e64 v5, |v20|, s12
; %bb.807:
	s_or_b64 exec, exec, s[10:11]
                                        ; implicit-def: $vgpr6
.LBB18_808:
	s_andn2_saveexec_b64 s[8:9], s[8:9]
; %bb.809:
	s_mov_b32 s10, 0x7f800000
	v_mov_b32_e32 v5, 0x7c
	v_mov_b32_e32 v7, 0x7f
	v_cmp_lt_u32_e32 vcc, s10, v6
	v_cndmask_b32_e32 v5, v5, v7, vcc
; %bb.810:
	s_or_b64 exec, exec, s[8:9]
	v_lshrrev_b32_e32 v6, 24, v20
	s_movk_i32 s8, 0x80
	v_and_or_b32 v5, v6, s8, v5
	global_store_byte v[2:3], v5, off
.LBB18_811:
	s_mov_b64 s[8:9], 0
	s_mov_b64 s[10:11], -1
.LBB18_812:
	s_andn2_b64 vcc, exec, s[8:9]
	s_mov_b64 s[8:9], 0
	s_cbranch_vccnz .LBB18_819
; %bb.813:
	s_cmp_gt_i32 s18, 14
	s_mov_b64 s[12:13], -1
	s_cbranch_scc0 .LBB18_817
; %bb.814:
	s_cmp_eq_u32 s18, 15
	s_mov_b64 s[4:5], -1
	s_cbranch_scc0 .LBB18_816
; %bb.815:
	v_bfe_u32 v5, v20, 16, 1
	s_movk_i32 s4, 0x7fff
	v_add3_u32 v5, v20, v5, s4
	v_cmp_o_f32_e32 vcc, v20, v20
	v_mov_b32_e32 v6, 0x7fc0
	v_cndmask_b32_sdwa v5, v6, v5, vcc dst_sel:DWORD dst_unused:UNUSED_PAD src0_sel:DWORD src1_sel:WORD_1
	global_store_short v[2:3], v5, off
	s_mov_b64 s[4:5], 0
	s_mov_b64 s[10:11], -1
.LBB18_816:
	s_mov_b64 s[12:13], 0
.LBB18_817:
	s_and_b64 vcc, exec, s[12:13]
	s_cbranch_vccz .LBB18_819
; %bb.818:
	s_cmp_lg_u32 s18, 11
	s_mov_b64 s[8:9], -1
	s_cselect_b64 s[4:5], -1, 0
.LBB18_819:
	s_and_b64 vcc, exec, s[4:5]
	s_cbranch_vccnz .LBB18_997
; %bb.820:
	s_andn2_b64 vcc, exec, s[8:9]
	s_cbranch_vccnz .LBB18_822
.LBB18_821:
	v_or_b32_e32 v5, v20, v21
	v_and_b32_e32 v5, 0x7fffffff, v5
	v_cmp_ne_u32_e32 vcc, 0, v5
	v_cndmask_b32_e64 v5, 0, 1, vcc
	s_mov_b64 s[10:11], -1
	global_store_byte v[2:3], v5, off
.LBB18_822:
.LBB18_823:
	s_andn2_b64 vcc, exec, s[10:11]
	s_cbranch_vccnz .LBB18_939
.LBB18_824:
	v_add_u32_e32 v2, s17, v4
	v_ashrrev_i32_e32 v3, 31, v2
	v_mov_b32_e32 v4, s37
	v_add_co_u32_e32 v2, vcc, s36, v2
	s_cmp_lt_i32 s16, 11
	v_addc_co_u32_e32 v3, vcc, v4, v3, vcc
	s_cbranch_scc1 .LBB18_984
; %bb.825:
	s_and_b32 s17, 0xffff, s16
	s_mov_b64 s[10:11], -1
	s_mov_b64 s[8:9], 0
	s_cmp_gt_i32 s17, 25
	s_mov_b64 s[4:5], 0
	s_cbranch_scc0 .LBB18_858
; %bb.826:
	s_cmp_gt_i32 s17, 28
	s_cbranch_scc0 .LBB18_842
; %bb.827:
	s_cmp_gt_i32 s17, 43
	;; [unrolled: 3-line block ×3, first 2 shown]
	s_cbranch_scc0 .LBB18_832
; %bb.829:
	s_cmp_eq_u32 s17, 46
	s_mov_b64 s[4:5], -1
	s_cbranch_scc0 .LBB18_831
; %bb.830:
	s_movk_i32 s4, 0x7fff
	v_bfe_u32 v5, v1, 16, 1
	v_add3_u32 v5, v1, v5, s4
	v_bfe_u32 v4, v0, 16, 1
	v_and_b32_e32 v5, 0xffff0000, v5
	v_mov_b32_e32 v6, 0x7fc00000
	v_cmp_o_f32_e32 vcc, v1, v1
	v_add3_u32 v4, v0, v4, s4
	v_cndmask_b32_e32 v5, v6, v5, vcc
	v_cmp_o_f32_e32 vcc, v0, v0
	v_mov_b32_e32 v6, 0x7fc0
	v_cndmask_b32_sdwa v4, v6, v4, vcc dst_sel:DWORD dst_unused:UNUSED_PAD src0_sel:DWORD src1_sel:WORD_1
	v_or_b32_e32 v4, v5, v4
	global_store_dword v[2:3], v4, off
	s_mov_b64 s[4:5], 0
.LBB18_831:
	s_mov_b64 s[10:11], 0
.LBB18_832:
	s_and_b64 vcc, exec, s[10:11]
	s_cbranch_vccz .LBB18_837
; %bb.833:
	s_cmp_eq_u32 s17, 44
	s_mov_b64 s[4:5], -1
	s_cbranch_scc0 .LBB18_837
; %bb.834:
	v_bfe_u32 v4, v0, 23, 8
	s_movk_i32 s4, 0xff
	v_cmp_ne_u32_e32 vcc, s4, v4
	v_mov_b32_e32 v5, 0xff
	s_and_saveexec_b64 s[10:11], vcc
; %bb.835:
	s_mov_b32 s4, 0x3fffff
	v_and_b32_e32 v6, 0x400000, v0
	v_and_or_b32 v4, v0, s4, v4
	v_cmp_ne_u32_e32 vcc, 0, v6
	v_cmp_ne_u32_e64 s[4:5], 0, v4
	s_and_b64 s[4:5], vcc, s[4:5]
	v_lshrrev_b32_e32 v5, 23, v0
	v_cndmask_b32_e64 v4, 0, 1, s[4:5]
	v_add_u32_e32 v5, v5, v4
; %bb.836:
	s_or_b64 exec, exec, s[10:11]
	s_mov_b64 s[4:5], 0
	global_store_byte v[2:3], v5, off
.LBB18_837:
	s_mov_b64 s[10:11], 0
.LBB18_838:
	s_and_b64 vcc, exec, s[10:11]
	s_cbranch_vccz .LBB18_841
; %bb.839:
	s_cmp_eq_u32 s17, 29
	s_mov_b64 s[4:5], -1
	s_cbranch_scc0 .LBB18_841
; %bb.840:
	v_trunc_f32_e32 v4, v0
	v_mul_f32_e32 v5, 0x2f800000, v4
	v_floor_f32_e32 v6, v5
	v_fmac_f32_e32 v4, 0xcf800000, v6
	v_cvt_u32_f32_e32 v5, v6
	v_cvt_u32_f32_e32 v4, v4
	s_mov_b64 s[4:5], 0
	global_store_dwordx2 v[2:3], v[4:5], off
.LBB18_841:
	s_mov_b64 s[10:11], 0
.LBB18_842:
	s_and_b64 vcc, exec, s[10:11]
	s_cbranch_vccz .LBB18_857
; %bb.843:
	s_cmp_lt_i32 s17, 27
	s_mov_b64 s[10:11], -1
	s_cbranch_scc1 .LBB18_849
; %bb.844:
	v_cvt_u32_f32_e32 v4, v0
	s_cmp_gt_i32 s17, 27
	s_cbranch_scc0 .LBB18_846
; %bb.845:
	global_store_dword v[2:3], v4, off
	s_mov_b64 s[10:11], 0
.LBB18_846:
	s_andn2_b64 vcc, exec, s[10:11]
	s_cbranch_vccnz .LBB18_848
; %bb.847:
	global_store_short v[2:3], v4, off
.LBB18_848:
	s_mov_b64 s[10:11], 0
.LBB18_849:
	s_andn2_b64 vcc, exec, s[10:11]
	s_cbranch_vccnz .LBB18_857
; %bb.850:
	v_and_b32_e32 v4, 0x7fffffff, v0
	s_mov_b32 s10, 0x43800000
	v_cmp_gt_u32_e32 vcc, s10, v4
	v_mov_b32_e32 v5, 0x80
	s_and_saveexec_b64 s[10:11], vcc
	s_cbranch_execz .LBB18_856
; %bb.851:
	s_mov_b32 s12, 0x3bffffff
	v_cmp_lt_u32_e32 vcc, s12, v4
	s_mov_b64 s[12:13], 0
                                        ; implicit-def: $vgpr4
	s_and_saveexec_b64 s[14:15], vcc
	s_xor_b64 s[14:15], exec, s[14:15]
	s_cbranch_execz .LBB18_1002
; %bb.852:
	v_bfe_u32 v4, v0, 20, 1
	s_mov_b32 s18, 0x487ffff
	v_add3_u32 v4, v0, v4, s18
	s_mov_b64 s[12:13], exec
	v_lshrrev_b32_e32 v4, 20, v4
	s_andn2_saveexec_b64 s[14:15], s[14:15]
	s_cbranch_execnz .LBB18_1003
.LBB18_853:
	s_or_b64 exec, exec, s[14:15]
	v_mov_b32_e32 v5, 0
	s_and_saveexec_b64 s[14:15], s[12:13]
.LBB18_854:
	v_lshrrev_b32_e32 v5, 24, v0
	s_movk_i32 s12, 0x80
	v_and_or_b32 v5, v5, s12, v4
.LBB18_855:
	s_or_b64 exec, exec, s[14:15]
.LBB18_856:
	s_or_b64 exec, exec, s[10:11]
	global_store_byte v[2:3], v5, off
.LBB18_857:
	s_mov_b64 s[10:11], 0
.LBB18_858:
	s_and_b64 vcc, exec, s[10:11]
	s_cbranch_vccz .LBB18_898
; %bb.859:
	s_cmp_gt_i32 s17, 22
	s_mov_b64 s[8:9], -1
	s_cbranch_scc0 .LBB18_891
; %bb.860:
	s_cmp_lt_i32 s17, 24
	s_cbranch_scc1 .LBB18_880
; %bb.861:
	s_cmp_gt_i32 s17, 24
	s_cbranch_scc0 .LBB18_869
; %bb.862:
	v_and_b32_e32 v4, 0x7fffffff, v0
	s_mov_b32 s8, 0x47800000
	v_cmp_gt_u32_e32 vcc, s8, v4
	v_mov_b32_e32 v5, 0x80
	s_and_saveexec_b64 s[8:9], vcc
	s_cbranch_execz .LBB18_868
; %bb.863:
	s_mov_b32 s10, 0x37ffffff
	v_cmp_lt_u32_e32 vcc, s10, v4
	s_mov_b64 s[10:11], 0
                                        ; implicit-def: $vgpr4
	s_and_saveexec_b64 s[12:13], vcc
	s_xor_b64 s[12:13], exec, s[12:13]
	s_cbranch_execz .LBB18_1009
; %bb.864:
	v_bfe_u32 v4, v0, 21, 1
	s_mov_b32 s14, 0x88fffff
	v_add3_u32 v4, v0, v4, s14
	s_mov_b64 s[10:11], exec
	v_lshrrev_b32_e32 v4, 21, v4
	s_andn2_saveexec_b64 s[12:13], s[12:13]
	s_cbranch_execnz .LBB18_1010
.LBB18_865:
	s_or_b64 exec, exec, s[12:13]
	v_mov_b32_e32 v5, 0
	s_and_saveexec_b64 s[12:13], s[10:11]
.LBB18_866:
	v_lshrrev_b32_e32 v5, 24, v0
	s_movk_i32 s10, 0x80
	v_and_or_b32 v5, v5, s10, v4
.LBB18_867:
	s_or_b64 exec, exec, s[12:13]
.LBB18_868:
	s_or_b64 exec, exec, s[8:9]
	s_mov_b64 s[8:9], 0
	global_store_byte v[2:3], v5, off
.LBB18_869:
	s_and_b64 vcc, exec, s[8:9]
	s_cbranch_vccz .LBB18_879
; %bb.870:
	v_and_b32_e32 v5, 0x7fffffff, v0
	s_mov_b32 s8, 0x43f00000
	v_cmp_gt_u32_e32 vcc, s8, v5
                                        ; implicit-def: $vgpr4
	s_and_saveexec_b64 s[8:9], vcc
	s_xor_b64 s[8:9], exec, s[8:9]
	s_cbranch_execz .LBB18_876
; %bb.871:
	s_mov_b32 s10, 0x3c7fffff
	v_cmp_lt_u32_e32 vcc, s10, v5
                                        ; implicit-def: $vgpr4
	s_and_saveexec_b64 s[10:11], vcc
	s_xor_b64 s[10:11], exec, s[10:11]
; %bb.872:
	v_bfe_u32 v4, v0, 20, 1
	s_mov_b32 s12, 0x407ffff
	v_add3_u32 v4, v0, v4, s12
	v_lshrrev_b32_e32 v5, 20, v4
	v_and_b32_e32 v4, 0xff00000, v4
	s_mov_b32 s12, 0x7f00000
	v_mov_b32_e32 v6, 0x7e
	v_cmp_ne_u32_e32 vcc, s12, v4
	v_cndmask_b32_e32 v4, v6, v5, vcc
; %bb.873:
	s_andn2_saveexec_b64 s[10:11], s[10:11]
; %bb.874:
	s_mov_b32 s12, 0x46800000
	v_add_f32_e64 v4, |v0|, s12
; %bb.875:
	s_or_b64 exec, exec, s[10:11]
                                        ; implicit-def: $vgpr5
.LBB18_876:
	s_andn2_saveexec_b64 s[8:9], s[8:9]
; %bb.877:
	s_mov_b32 s10, 0x7f800000
	v_mov_b32_e32 v4, 0x7e
	v_mov_b32_e32 v6, 0x7f
	v_cmp_lt_u32_e32 vcc, s10, v5
	v_cndmask_b32_e32 v4, v4, v6, vcc
; %bb.878:
	s_or_b64 exec, exec, s[8:9]
	v_lshrrev_b32_e32 v5, 24, v0
	s_movk_i32 s8, 0x80
	v_and_or_b32 v4, v5, s8, v4
	global_store_byte v[2:3], v4, off
.LBB18_879:
	s_mov_b64 s[8:9], 0
.LBB18_880:
	s_andn2_b64 vcc, exec, s[8:9]
	s_cbranch_vccnz .LBB18_890
; %bb.881:
	v_and_b32_e32 v5, 0x7fffffff, v0
	s_mov_b32 s8, 0x47800000
	v_cmp_gt_u32_e32 vcc, s8, v5
                                        ; implicit-def: $vgpr4
	s_and_saveexec_b64 s[8:9], vcc
	s_xor_b64 s[8:9], exec, s[8:9]
	s_cbranch_execz .LBB18_887
; %bb.882:
	s_mov_b32 s10, 0x387fffff
	v_cmp_lt_u32_e32 vcc, s10, v5
                                        ; implicit-def: $vgpr4
	s_and_saveexec_b64 s[10:11], vcc
	s_xor_b64 s[10:11], exec, s[10:11]
; %bb.883:
	v_bfe_u32 v4, v0, 21, 1
	s_mov_b32 s12, 0x80fffff
	v_add3_u32 v4, v0, v4, s12
	v_lshrrev_b32_e32 v4, 21, v4
; %bb.884:
	s_andn2_saveexec_b64 s[10:11], s[10:11]
; %bb.885:
	s_mov_b32 s12, 0x43000000
	v_add_f32_e64 v4, |v0|, s12
; %bb.886:
	s_or_b64 exec, exec, s[10:11]
                                        ; implicit-def: $vgpr5
.LBB18_887:
	s_andn2_saveexec_b64 s[8:9], s[8:9]
; %bb.888:
	s_mov_b32 s10, 0x7f800000
	v_mov_b32_e32 v4, 0x7c
	v_mov_b32_e32 v6, 0x7f
	v_cmp_lt_u32_e32 vcc, s10, v5
	v_cndmask_b32_e32 v4, v4, v6, vcc
; %bb.889:
	s_or_b64 exec, exec, s[8:9]
	v_lshrrev_b32_e32 v5, 24, v0
	s_movk_i32 s8, 0x80
	v_and_or_b32 v4, v5, s8, v4
	global_store_byte v[2:3], v4, off
.LBB18_890:
	s_mov_b64 s[8:9], 0
.LBB18_891:
	s_andn2_b64 vcc, exec, s[8:9]
	s_mov_b64 s[8:9], 0
	s_cbranch_vccnz .LBB18_898
; %bb.892:
	s_cmp_gt_i32 s17, 14
	s_mov_b64 s[10:11], -1
	s_cbranch_scc0 .LBB18_896
; %bb.893:
	s_cmp_eq_u32 s17, 15
	s_mov_b64 s[4:5], -1
	s_cbranch_scc0 .LBB18_895
; %bb.894:
	v_bfe_u32 v4, v0, 16, 1
	s_movk_i32 s4, 0x7fff
	v_add3_u32 v4, v0, v4, s4
	v_cmp_o_f32_e32 vcc, v0, v0
	v_mov_b32_e32 v5, 0x7fc0
	v_cndmask_b32_sdwa v4, v5, v4, vcc dst_sel:DWORD dst_unused:UNUSED_PAD src0_sel:DWORD src1_sel:WORD_1
	global_store_short v[2:3], v4, off
	s_mov_b64 s[4:5], 0
.LBB18_895:
	s_mov_b64 s[10:11], 0
.LBB18_896:
	s_and_b64 vcc, exec, s[10:11]
	s_cbranch_vccz .LBB18_898
; %bb.897:
	s_cmp_lg_u32 s17, 11
	s_mov_b64 s[8:9], -1
	s_cselect_b64 s[4:5], -1, 0
.LBB18_898:
	s_and_b64 vcc, exec, s[4:5]
	s_cbranch_vccnz .LBB18_1004
.LBB18_899:
	s_mov_b64 s[4:5], 0
	s_branch .LBB18_940
.LBB18_900:
	s_mov_b64 s[10:11], 0
	s_cbranch_execz .LBB18_823
; %bb.901:
	s_and_b32 s8, 0xffff, s16
	s_cmp_lt_i32 s8, 5
	s_mov_b64 s[4:5], -1
	s_cbranch_scc1 .LBB18_922
; %bb.902:
	s_cmp_lt_i32 s8, 8
	s_cbranch_scc1 .LBB18_912
; %bb.903:
	s_cmp_lt_i32 s8, 9
	s_cbranch_scc1 .LBB18_909
; %bb.904:
	s_cmp_gt_i32 s8, 9
	s_cbranch_scc0 .LBB18_906
; %bb.905:
	v_cvt_f64_f32_e32 v[5:6], v20
	v_cvt_f64_f32_e32 v[7:8], v21
	s_mov_b64 s[4:5], 0
	global_store_dwordx4 v[2:3], v[5:8], off
.LBB18_906:
	s_andn2_b64 vcc, exec, s[4:5]
	s_cbranch_vccnz .LBB18_908
; %bb.907:
	global_store_dwordx2 v[2:3], v[20:21], off
.LBB18_908:
	s_mov_b64 s[4:5], 0
.LBB18_909:
	s_andn2_b64 vcc, exec, s[4:5]
	s_cbranch_vccnz .LBB18_911
; %bb.910:
	v_cvt_f16_f32_e32 v5, v20
	v_cvt_f16_f32_sdwa v6, v21 dst_sel:WORD_1 dst_unused:UNUSED_PAD src0_sel:DWORD
	v_or_b32_e32 v5, v6, v5
	global_store_dword v[2:3], v5, off
.LBB18_911:
	s_mov_b64 s[4:5], 0
.LBB18_912:
	s_andn2_b64 vcc, exec, s[4:5]
	s_cbranch_vccnz .LBB18_921
; %bb.913:
	s_cmp_lt_i32 s8, 6
	s_mov_b64 s[4:5], -1
	s_cbranch_scc1 .LBB18_919
; %bb.914:
	s_cmp_gt_i32 s8, 6
	s_cbranch_scc0 .LBB18_916
; %bb.915:
	v_cvt_f64_f32_e32 v[5:6], v20
	s_mov_b64 s[4:5], 0
	global_store_dwordx2 v[2:3], v[5:6], off
.LBB18_916:
	s_andn2_b64 vcc, exec, s[4:5]
	s_cbranch_vccnz .LBB18_918
; %bb.917:
	global_store_dword v[2:3], v20, off
.LBB18_918:
	s_mov_b64 s[4:5], 0
.LBB18_919:
	s_andn2_b64 vcc, exec, s[4:5]
	s_cbranch_vccnz .LBB18_921
; %bb.920:
	v_cvt_f16_f32_e32 v5, v20
	global_store_short v[2:3], v5, off
.LBB18_921:
	s_mov_b64 s[4:5], 0
.LBB18_922:
	s_andn2_b64 vcc, exec, s[4:5]
	s_cbranch_vccnz .LBB18_938
; %bb.923:
	s_cmp_lt_i32 s8, 2
	s_mov_b64 s[4:5], -1
	s_cbranch_scc1 .LBB18_933
; %bb.924:
	s_cmp_lt_i32 s8, 3
	s_cbranch_scc1 .LBB18_930
; %bb.925:
	s_cmp_gt_i32 s8, 3
	s_cbranch_scc0 .LBB18_927
; %bb.926:
	v_trunc_f32_e32 v5, v20
	s_mov_b32 s4, 0x2f800000
	v_mul_f32_e64 v6, |v5|, s4
	v_floor_f32_e32 v6, v6
	s_mov_b32 s4, 0xcf800000
	v_cvt_u32_f32_e32 v7, v6
	v_fma_f32 v6, v6, s4, |v5|
	v_cvt_u32_f32_e32 v6, v6
	v_ashrrev_i32_e32 v8, 31, v5
	v_xor_b32_e32 v7, v7, v8
	s_mov_b64 s[4:5], 0
	v_xor_b32_e32 v5, v6, v8
	v_sub_co_u32_e32 v5, vcc, v5, v8
	v_subb_co_u32_e32 v6, vcc, v7, v8, vcc
	global_store_dwordx2 v[2:3], v[5:6], off
.LBB18_927:
	s_andn2_b64 vcc, exec, s[4:5]
	s_cbranch_vccnz .LBB18_929
; %bb.928:
	v_cvt_i32_f32_e32 v5, v20
	global_store_dword v[2:3], v5, off
.LBB18_929:
	s_mov_b64 s[4:5], 0
.LBB18_930:
	s_andn2_b64 vcc, exec, s[4:5]
	s_cbranch_vccnz .LBB18_932
; %bb.931:
	v_cvt_i32_f32_e32 v5, v20
	global_store_short v[2:3], v5, off
.LBB18_932:
	s_mov_b64 s[4:5], 0
.LBB18_933:
	s_andn2_b64 vcc, exec, s[4:5]
	s_cbranch_vccnz .LBB18_938
; %bb.934:
	s_cmp_gt_i32 s8, 0
	s_mov_b64 s[4:5], -1
	s_cbranch_scc0 .LBB18_936
; %bb.935:
	v_cvt_i32_f32_e32 v5, v20
	s_mov_b64 s[4:5], 0
	global_store_byte v[2:3], v5, off
.LBB18_936:
	s_andn2_b64 vcc, exec, s[4:5]
	s_cbranch_vccnz .LBB18_938
; %bb.937:
	v_trunc_f32_e32 v5, v20
	s_mov_b32 s4, 0x2f800000
	v_mul_f32_e64 v6, |v5|, s4
	v_floor_f32_e32 v6, v6
	s_mov_b32 s4, 0xcf800000
	v_fma_f32 v6, v6, s4, |v5|
	v_cvt_u32_f32_e32 v6, v6
	v_ashrrev_i32_e32 v5, 31, v5
	v_xor_b32_e32 v6, v6, v5
	v_sub_u32_e32 v5, v6, v5
	global_store_byte v[2:3], v5, off
.LBB18_938:
	s_branch .LBB18_824
.LBB18_939:
	s_mov_b64 s[4:5], 0
	s_mov_b64 s[8:9], 0
                                        ; implicit-def: $sgpr16
                                        ; implicit-def: $vgpr2_vgpr3
.LBB18_940:
	s_and_b64 s[34:35], s[8:9], exec
	s_andn2_b64 s[8:9], s[42:43], exec
	s_and_b64 s[6:7], s[6:7], exec
	s_and_b64 s[4:5], s[4:5], exec
	s_or_b64 s[42:43], s[8:9], s[6:7]
.LBB18_941:
	s_or_b64 exec, exec, s[40:41]
	s_and_saveexec_b64 s[6:7], s[42:43]
	s_cbranch_execz .LBB18_944
; %bb.942:
	; divergent unreachable
	s_or_b64 exec, exec, s[6:7]
	s_and_saveexec_b64 s[6:7], s[34:35]
	s_xor_b64 s[6:7], exec, s[6:7]
	s_cbranch_execnz .LBB18_945
.LBB18_943:
	s_or_b64 exec, exec, s[6:7]
	s_and_saveexec_b64 s[6:7], s[4:5]
	s_cbranch_execnz .LBB18_946
	s_branch .LBB18_983
.LBB18_944:
	s_or_b64 exec, exec, s[6:7]
	s_and_saveexec_b64 s[6:7], s[34:35]
	s_xor_b64 s[6:7], exec, s[6:7]
	s_cbranch_execz .LBB18_943
.LBB18_945:
	v_or_b32_e32 v4, v0, v1
	v_and_b32_e32 v4, 0x7fffffff, v4
	v_cmp_ne_u32_e32 vcc, 0, v4
	v_cndmask_b32_e64 v4, 0, 1, vcc
	global_store_byte v[2:3], v4, off
	s_or_b64 exec, exec, s[6:7]
	s_and_saveexec_b64 s[6:7], s[4:5]
	s_cbranch_execz .LBB18_983
.LBB18_946:
	s_sext_i32_i16 s6, s16
	s_cmp_lt_i32 s6, 5
	s_mov_b64 s[4:5], -1
	s_cbranch_scc1 .LBB18_967
; %bb.947:
	s_cmp_lt_i32 s6, 8
	s_cbranch_scc1 .LBB18_957
; %bb.948:
	s_cmp_lt_i32 s6, 9
	s_cbranch_scc1 .LBB18_954
; %bb.949:
	s_cmp_gt_i32 s6, 9
	s_cbranch_scc0 .LBB18_951
; %bb.950:
	v_cvt_f64_f32_e32 v[4:5], v0
	v_cvt_f64_f32_e32 v[6:7], v1
	s_mov_b64 s[4:5], 0
	global_store_dwordx4 v[2:3], v[4:7], off
.LBB18_951:
	s_andn2_b64 vcc, exec, s[4:5]
	s_cbranch_vccnz .LBB18_953
; %bb.952:
	global_store_dwordx2 v[2:3], v[0:1], off
.LBB18_953:
	s_mov_b64 s[4:5], 0
.LBB18_954:
	s_andn2_b64 vcc, exec, s[4:5]
	s_cbranch_vccnz .LBB18_956
; %bb.955:
	v_cvt_f16_f32_e32 v4, v0
	v_cvt_f16_f32_sdwa v1, v1 dst_sel:WORD_1 dst_unused:UNUSED_PAD src0_sel:DWORD
	v_or_b32_e32 v1, v1, v4
	global_store_dword v[2:3], v1, off
.LBB18_956:
	s_mov_b64 s[4:5], 0
.LBB18_957:
	s_andn2_b64 vcc, exec, s[4:5]
	s_cbranch_vccnz .LBB18_966
; %bb.958:
	s_sext_i32_i16 s6, s16
	s_cmp_lt_i32 s6, 6
	s_mov_b64 s[4:5], -1
	s_cbranch_scc1 .LBB18_964
; %bb.959:
	s_cmp_gt_i32 s6, 6
	s_cbranch_scc0 .LBB18_961
; %bb.960:
	v_cvt_f64_f32_e32 v[4:5], v0
	s_mov_b64 s[4:5], 0
	global_store_dwordx2 v[2:3], v[4:5], off
.LBB18_961:
	s_andn2_b64 vcc, exec, s[4:5]
	s_cbranch_vccnz .LBB18_963
; %bb.962:
	global_store_dword v[2:3], v0, off
.LBB18_963:
	s_mov_b64 s[4:5], 0
.LBB18_964:
	s_andn2_b64 vcc, exec, s[4:5]
	s_cbranch_vccnz .LBB18_966
; %bb.965:
	v_cvt_f16_f32_e32 v1, v0
	global_store_short v[2:3], v1, off
.LBB18_966:
	s_mov_b64 s[4:5], 0
.LBB18_967:
	s_andn2_b64 vcc, exec, s[4:5]
	s_cbranch_vccnz .LBB18_983
; %bb.968:
	s_sext_i32_i16 s6, s16
	s_cmp_lt_i32 s6, 2
	s_mov_b64 s[4:5], -1
	s_cbranch_scc1 .LBB18_978
; %bb.969:
	s_cmp_lt_i32 s6, 3
	s_cbranch_scc1 .LBB18_975
; %bb.970:
	s_cmp_gt_i32 s6, 3
	s_cbranch_scc0 .LBB18_972
; %bb.971:
	v_trunc_f32_e32 v1, v0
	s_mov_b32 s4, 0x2f800000
	v_mul_f32_e64 v4, |v1|, s4
	v_floor_f32_e32 v4, v4
	s_mov_b32 s4, 0xcf800000
	v_cvt_u32_f32_e32 v5, v4
	v_fma_f32 v4, v4, s4, |v1|
	v_cvt_u32_f32_e32 v4, v4
	v_ashrrev_i32_e32 v1, 31, v1
	v_xor_b32_e32 v5, v5, v1
	s_mov_b64 s[4:5], 0
	v_xor_b32_e32 v4, v4, v1
	v_sub_co_u32_e32 v4, vcc, v4, v1
	v_subb_co_u32_e32 v5, vcc, v5, v1, vcc
	global_store_dwordx2 v[2:3], v[4:5], off
.LBB18_972:
	s_andn2_b64 vcc, exec, s[4:5]
	s_cbranch_vccnz .LBB18_974
; %bb.973:
	v_cvt_i32_f32_e32 v1, v0
	global_store_dword v[2:3], v1, off
.LBB18_974:
	s_mov_b64 s[4:5], 0
.LBB18_975:
	s_andn2_b64 vcc, exec, s[4:5]
	s_cbranch_vccnz .LBB18_977
; %bb.976:
	v_cvt_i32_f32_e32 v1, v0
	global_store_short v[2:3], v1, off
.LBB18_977:
	s_mov_b64 s[4:5], 0
.LBB18_978:
	s_andn2_b64 vcc, exec, s[4:5]
	s_cbranch_vccnz .LBB18_983
; %bb.979:
	s_sext_i32_i16 s4, s16
	s_cmp_gt_i32 s4, 0
	s_mov_b64 s[4:5], -1
	s_cbranch_scc0 .LBB18_981
; %bb.980:
	v_cvt_i32_f32_e32 v1, v0
	s_mov_b64 s[4:5], 0
	global_store_byte v[2:3], v1, off
.LBB18_981:
	s_andn2_b64 vcc, exec, s[4:5]
	s_cbranch_vccnz .LBB18_983
; %bb.982:
	v_trunc_f32_e32 v0, v0
	s_mov_b32 s4, 0x2f800000
	v_mul_f32_e64 v1, |v0|, s4
	v_floor_f32_e32 v1, v1
	s_mov_b32 s4, 0xcf800000
	v_fma_f32 v1, v1, s4, |v0|
	v_cvt_u32_f32_e32 v1, v1
	v_ashrrev_i32_e32 v0, 31, v0
	v_xor_b32_e32 v1, v1, v0
	v_sub_u32_e32 v0, v1, v0
	global_store_byte v[2:3], v0, off
	s_endpgm
.LBB18_983:
	s_endpgm
.LBB18_984:
	s_mov_b64 s[8:9], 0
	s_mov_b64 s[4:5], -1
	s_branch .LBB18_940
.LBB18_985:
	s_andn2_saveexec_b64 s[12:13], s[12:13]
	s_cbranch_execz .LBB18_537
.LBB18_986:
	s_mov_b32 s15, 0x46000000
	v_add_f32_e64 v5, |v24|, s15
	v_and_b32_e32 v5, 0xff, v5
	v_cmp_ne_u32_e32 vcc, 0, v5
	s_andn2_b64 s[10:11], s[10:11], exec
	s_and_b64 s[18:19], vcc, exec
	s_or_b64 s[10:11], s[10:11], s[18:19]
	s_or_b64 exec, exec, s[12:13]
	v_mov_b32_e32 v6, 0
	s_and_saveexec_b64 s[12:13], s[10:11]
	s_cbranch_execnz .LBB18_538
	s_branch .LBB18_539
.LBB18_987:
	s_or_b64 s[6:7], s[42:43], exec
	s_trap 2
	s_cbranch_execz .LBB18_585
	s_branch .LBB18_586
.LBB18_988:
	s_andn2_saveexec_b64 s[10:11], s[10:11]
	s_cbranch_execz .LBB18_550
.LBB18_989:
	s_mov_b32 s12, 0x42800000
	v_add_f32_e64 v5, |v24|, s12
	v_and_b32_e32 v5, 0xff, v5
	v_cmp_ne_u32_e32 vcc, 0, v5
	s_andn2_b64 s[8:9], s[8:9], exec
	s_and_b64 s[12:13], vcc, exec
	s_or_b64 s[8:9], s[8:9], s[12:13]
	s_or_b64 exec, exec, s[10:11]
	v_mov_b32_e32 v6, 0
	s_and_saveexec_b64 s[10:11], s[8:9]
	s_cbranch_execnz .LBB18_551
	s_branch .LBB18_552
.LBB18_990:
	s_andn2_saveexec_b64 s[14:15], s[14:15]
	s_cbranch_execz .LBB18_655
.LBB18_991:
	s_mov_b32 s19, 0x46000000
	v_add_f32_e64 v5, |v22|, s19
	v_and_b32_e32 v5, 0xff, v5
	v_cmp_ne_u32_e32 vcc, 0, v5
	s_andn2_b64 s[12:13], s[12:13], exec
	s_and_b64 s[20:21], vcc, exec
	s_or_b64 s[12:13], s[12:13], s[20:21]
	s_or_b64 exec, exec, s[14:15]
	v_mov_b32_e32 v6, 0
	s_and_saveexec_b64 s[14:15], s[12:13]
	s_cbranch_execnz .LBB18_656
	s_branch .LBB18_657
.LBB18_992:
	s_trap 2
	s_or_b64 s[6:7], s[6:7], exec
	s_cbranch_execz .LBB18_703
	s_branch .LBB18_704
.LBB18_993:
	s_andn2_saveexec_b64 s[12:13], s[12:13]
	s_cbranch_execz .LBB18_668
.LBB18_994:
	s_mov_b32 s14, 0x42800000
	v_add_f32_e64 v5, |v22|, s14
	v_and_b32_e32 v5, 0xff, v5
	v_cmp_ne_u32_e32 vcc, 0, v5
	s_andn2_b64 s[10:11], s[10:11], exec
	s_and_b64 s[14:15], vcc, exec
	s_or_b64 s[10:11], s[10:11], s[14:15]
	s_or_b64 exec, exec, s[12:13]
	v_mov_b32_e32 v6, 0
	s_and_saveexec_b64 s[12:13], s[10:11]
	s_cbranch_execnz .LBB18_669
	s_branch .LBB18_670
.LBB18_995:
	s_andn2_saveexec_b64 s[14:15], s[14:15]
	s_cbranch_execz .LBB18_773
.LBB18_996:
	s_mov_b32 s19, 0x46000000
	v_add_f32_e64 v5, |v20|, s19
	v_and_b32_e32 v5, 0xff, v5
	v_cmp_ne_u32_e32 vcc, 0, v5
	s_andn2_b64 s[12:13], s[12:13], exec
	s_and_b64 s[20:21], vcc, exec
	s_or_b64 s[12:13], s[12:13], s[20:21]
	s_or_b64 exec, exec, s[14:15]
	v_mov_b32_e32 v6, 0
	s_and_saveexec_b64 s[14:15], s[12:13]
	s_cbranch_execnz .LBB18_774
	s_branch .LBB18_775
.LBB18_997:
	s_trap 2
	s_or_b64 s[6:7], s[6:7], exec
	s_cbranch_execz .LBB18_821
	s_branch .LBB18_822
.LBB18_998:
	s_andn2_saveexec_b64 s[10:11], s[10:11]
	s_cbranch_execz .LBB18_295
.LBB18_999:
	s_mov_b32 s14, 0x46000000
	v_add_f32_e64 v4, |v0|, s14
	v_and_b32_e32 v4, 0xff, v4
	v_cmp_ne_u32_e32 vcc, 0, v4
	s_andn2_b64 s[8:9], s[8:9], exec
	s_and_b64 s[14:15], vcc, exec
	s_or_b64 s[8:9], s[8:9], s[14:15]
	s_or_b64 exec, exec, s[10:11]
	v_mov_b32_e32 v5, 0
	s_and_saveexec_b64 s[10:11], s[8:9]
	s_cbranch_execnz .LBB18_296
	s_branch .LBB18_297
.LBB18_1000:
	s_andn2_saveexec_b64 s[12:13], s[12:13]
	s_cbranch_execz .LBB18_786
.LBB18_1001:
	s_mov_b32 s14, 0x42800000
	v_add_f32_e64 v5, |v20|, s14
	v_and_b32_e32 v5, 0xff, v5
	v_cmp_ne_u32_e32 vcc, 0, v5
	s_andn2_b64 s[10:11], s[10:11], exec
	s_and_b64 s[14:15], vcc, exec
	s_or_b64 s[10:11], s[10:11], s[14:15]
	s_or_b64 exec, exec, s[12:13]
	v_mov_b32_e32 v6, 0
	s_and_saveexec_b64 s[12:13], s[10:11]
	s_cbranch_execnz .LBB18_787
	s_branch .LBB18_788
.LBB18_1002:
	s_andn2_saveexec_b64 s[14:15], s[14:15]
	s_cbranch_execz .LBB18_853
.LBB18_1003:
	s_mov_b32 s18, 0x46000000
	v_add_f32_e64 v4, |v0|, s18
	v_and_b32_e32 v4, 0xff, v4
	v_cmp_ne_u32_e32 vcc, 0, v4
	s_andn2_b64 s[12:13], s[12:13], exec
	s_and_b64 s[18:19], vcc, exec
	s_or_b64 s[12:13], s[12:13], s[18:19]
	s_or_b64 exec, exec, s[14:15]
	v_mov_b32_e32 v5, 0
	s_and_saveexec_b64 s[14:15], s[12:13]
	s_cbranch_execnz .LBB18_854
	s_branch .LBB18_855
.LBB18_1004:
	s_mov_b64 s[8:9], 0
	s_or_b64 s[6:7], s[6:7], exec
	s_trap 2
	s_branch .LBB18_899
.LBB18_1005:
	s_andn2_saveexec_b64 s[10:11], s[10:11]
	s_cbranch_execz .LBB18_308
.LBB18_1006:
	s_mov_b32 s14, 0x42800000
	v_add_f32_e64 v4, |v0|, s14
	v_and_b32_e32 v4, 0xff, v4
	v_cmp_ne_u32_e32 vcc, 0, v4
	s_andn2_b64 s[8:9], s[8:9], exec
	s_and_b64 s[14:15], vcc, exec
	s_or_b64 s[8:9], s[8:9], s[14:15]
	s_or_b64 exec, exec, s[10:11]
	v_mov_b32_e32 v5, 0
	s_and_saveexec_b64 s[10:11], s[8:9]
	s_cbranch_execnz .LBB18_309
	s_branch .LBB18_310
.LBB18_1007:
	s_andn2_saveexec_b64 s[10:11], s[10:11]
	s_cbranch_execz .LBB18_418
.LBB18_1008:
	s_mov_b32 s12, 0x46000000
	v_add_f32_e64 v4, |v0|, s12
	v_and_b32_e32 v4, 0xff, v4
	v_cmp_ne_u32_e32 vcc, 0, v4
	s_andn2_b64 s[8:9], s[8:9], exec
	s_and_b64 s[12:13], vcc, exec
	s_or_b64 s[8:9], s[8:9], s[12:13]
	s_or_b64 exec, exec, s[10:11]
	v_mov_b32_e32 v5, 0
	s_and_saveexec_b64 s[10:11], s[8:9]
	s_cbranch_execnz .LBB18_419
	s_branch .LBB18_420
.LBB18_1009:
	s_andn2_saveexec_b64 s[12:13], s[12:13]
	s_cbranch_execz .LBB18_865
.LBB18_1010:
	s_mov_b32 s14, 0x42800000
	v_add_f32_e64 v4, |v0|, s14
	v_and_b32_e32 v4, 0xff, v4
	v_cmp_ne_u32_e32 vcc, 0, v4
	s_andn2_b64 s[10:11], s[10:11], exec
	s_and_b64 s[14:15], vcc, exec
	s_or_b64 s[10:11], s[10:11], s[14:15]
	s_or_b64 exec, exec, s[12:13]
	v_mov_b32_e32 v5, 0
	s_and_saveexec_b64 s[12:13], s[10:11]
	s_cbranch_execnz .LBB18_866
	s_branch .LBB18_867
.LBB18_1011:
	s_andn2_saveexec_b64 s[12:13], s[12:13]
	s_cbranch_execz .LBB18_430
.LBB18_1012:
	s_mov_b32 s16, 0x42800000
	v_add_f32_e64 v4, |v0|, s16
	v_and_b32_e32 v4, 0xff, v4
	v_cmp_ne_u32_e32 vcc, 0, v4
	s_andn2_b64 s[10:11], s[10:11], exec
	s_and_b64 s[16:17], vcc, exec
	s_or_b64 s[10:11], s[10:11], s[16:17]
	s_or_b64 exec, exec, s[12:13]
	v_mov_b32_e32 v5, 0
	s_and_saveexec_b64 s[12:13], s[10:11]
	s_cbranch_execnz .LBB18_431
	s_branch .LBB18_432
	.section	.rodata,"a",@progbits
	.p2align	6, 0x0
	.amdhsa_kernel _ZN2at6native32elementwise_kernel_manual_unrollILi128ELi4EZNS0_15gpu_kernel_implIZZZNS0_16asin_kernel_cudaERNS_18TensorIteratorBaseEENKUlvE_clEvENKUlvE0_clEvEUlN3c107complexIfEEE_EEvS4_RKT_EUlibE_EEviT1_
		.amdhsa_group_segment_fixed_size 0
		.amdhsa_private_segment_fixed_size 12
		.amdhsa_kernarg_size 40
		.amdhsa_user_sgpr_count 8
		.amdhsa_user_sgpr_private_segment_buffer 1
		.amdhsa_user_sgpr_dispatch_ptr 0
		.amdhsa_user_sgpr_queue_ptr 0
		.amdhsa_user_sgpr_kernarg_segment_ptr 1
		.amdhsa_user_sgpr_dispatch_id 0
		.amdhsa_user_sgpr_flat_scratch_init 1
		.amdhsa_user_sgpr_private_segment_size 0
		.amdhsa_uses_dynamic_stack 0
		.amdhsa_system_sgpr_private_segment_wavefront_offset 1
		.amdhsa_system_sgpr_workgroup_id_x 1
		.amdhsa_system_sgpr_workgroup_id_y 0
		.amdhsa_system_sgpr_workgroup_id_z 0
		.amdhsa_system_sgpr_workgroup_info 0
		.amdhsa_system_vgpr_workitem_id 0
		.amdhsa_next_free_vgpr 29
		.amdhsa_next_free_sgpr 56
		.amdhsa_reserve_vcc 1
		.amdhsa_reserve_flat_scratch 1
		.amdhsa_float_round_mode_32 0
		.amdhsa_float_round_mode_16_64 0
		.amdhsa_float_denorm_mode_32 3
		.amdhsa_float_denorm_mode_16_64 3
		.amdhsa_dx10_clamp 1
		.amdhsa_ieee_mode 1
		.amdhsa_fp16_overflow 0
		.amdhsa_exception_fp_ieee_invalid_op 0
		.amdhsa_exception_fp_denorm_src 0
		.amdhsa_exception_fp_ieee_div_zero 0
		.amdhsa_exception_fp_ieee_overflow 0
		.amdhsa_exception_fp_ieee_underflow 0
		.amdhsa_exception_fp_ieee_inexact 0
		.amdhsa_exception_int_div_zero 0
	.end_amdhsa_kernel
	.section	.text._ZN2at6native32elementwise_kernel_manual_unrollILi128ELi4EZNS0_15gpu_kernel_implIZZZNS0_16asin_kernel_cudaERNS_18TensorIteratorBaseEENKUlvE_clEvENKUlvE0_clEvEUlN3c107complexIfEEE_EEvS4_RKT_EUlibE_EEviT1_,"axG",@progbits,_ZN2at6native32elementwise_kernel_manual_unrollILi128ELi4EZNS0_15gpu_kernel_implIZZZNS0_16asin_kernel_cudaERNS_18TensorIteratorBaseEENKUlvE_clEvENKUlvE0_clEvEUlN3c107complexIfEEE_EEvS4_RKT_EUlibE_EEviT1_,comdat
.Lfunc_end18:
	.size	_ZN2at6native32elementwise_kernel_manual_unrollILi128ELi4EZNS0_15gpu_kernel_implIZZZNS0_16asin_kernel_cudaERNS_18TensorIteratorBaseEENKUlvE_clEvENKUlvE0_clEvEUlN3c107complexIfEEE_EEvS4_RKT_EUlibE_EEviT1_, .Lfunc_end18-_ZN2at6native32elementwise_kernel_manual_unrollILi128ELi4EZNS0_15gpu_kernel_implIZZZNS0_16asin_kernel_cudaERNS_18TensorIteratorBaseEENKUlvE_clEvENKUlvE0_clEvEUlN3c107complexIfEEE_EEvS4_RKT_EUlibE_EEviT1_
                                        ; -- End function
	.set _ZN2at6native32elementwise_kernel_manual_unrollILi128ELi4EZNS0_15gpu_kernel_implIZZZNS0_16asin_kernel_cudaERNS_18TensorIteratorBaseEENKUlvE_clEvENKUlvE0_clEvEUlN3c107complexIfEEE_EEvS4_RKT_EUlibE_EEviT1_.num_vgpr, max(29, .L_ZN2at6native6invokeIZZZNS0_16asin_kernel_cudaERNS_18TensorIteratorBaseEENKUlvE_clEvENKUlvE0_clEvEUlN3c107complexIfEEE_i15function_traitsIS9_EEENT1_11result_typeERKT_PrKPcPKT0_PKNS6_10ScalarTypeEi.num_vgpr)
	.set _ZN2at6native32elementwise_kernel_manual_unrollILi128ELi4EZNS0_15gpu_kernel_implIZZZNS0_16asin_kernel_cudaERNS_18TensorIteratorBaseEENKUlvE_clEvENKUlvE0_clEvEUlN3c107complexIfEEE_EEvS4_RKT_EUlibE_EEviT1_.num_agpr, max(0, .L_ZN2at6native6invokeIZZZNS0_16asin_kernel_cudaERNS_18TensorIteratorBaseEENKUlvE_clEvENKUlvE0_clEvEUlN3c107complexIfEEE_i15function_traitsIS9_EEENT1_11result_typeERKT_PrKPcPKT0_PKNS6_10ScalarTypeEi.num_agpr)
	.set _ZN2at6native32elementwise_kernel_manual_unrollILi128ELi4EZNS0_15gpu_kernel_implIZZZNS0_16asin_kernel_cudaERNS_18TensorIteratorBaseEENKUlvE_clEvENKUlvE0_clEvEUlN3c107complexIfEEE_EEvS4_RKT_EUlibE_EEviT1_.numbered_sgpr, max(56, .L_ZN2at6native6invokeIZZZNS0_16asin_kernel_cudaERNS_18TensorIteratorBaseEENKUlvE_clEvENKUlvE0_clEvEUlN3c107complexIfEEE_i15function_traitsIS9_EEENT1_11result_typeERKT_PrKPcPKT0_PKNS6_10ScalarTypeEi.numbered_sgpr)
	.set _ZN2at6native32elementwise_kernel_manual_unrollILi128ELi4EZNS0_15gpu_kernel_implIZZZNS0_16asin_kernel_cudaERNS_18TensorIteratorBaseEENKUlvE_clEvENKUlvE0_clEvEUlN3c107complexIfEEE_EEvS4_RKT_EUlibE_EEviT1_.num_named_barrier, max(0, .L_ZN2at6native6invokeIZZZNS0_16asin_kernel_cudaERNS_18TensorIteratorBaseEENKUlvE_clEvENKUlvE0_clEvEUlN3c107complexIfEEE_i15function_traitsIS9_EEENT1_11result_typeERKT_PrKPcPKT0_PKNS6_10ScalarTypeEi.num_named_barrier)
	.set _ZN2at6native32elementwise_kernel_manual_unrollILi128ELi4EZNS0_15gpu_kernel_implIZZZNS0_16asin_kernel_cudaERNS_18TensorIteratorBaseEENKUlvE_clEvENKUlvE0_clEvEUlN3c107complexIfEEE_EEvS4_RKT_EUlibE_EEviT1_.private_seg_size, 0+max(.L_ZN2at6native6invokeIZZZNS0_16asin_kernel_cudaERNS_18TensorIteratorBaseEENKUlvE_clEvENKUlvE0_clEvEUlN3c107complexIfEEE_i15function_traitsIS9_EEENT1_11result_typeERKT_PrKPcPKT0_PKNS6_10ScalarTypeEi.private_seg_size)
	.set _ZN2at6native32elementwise_kernel_manual_unrollILi128ELi4EZNS0_15gpu_kernel_implIZZZNS0_16asin_kernel_cudaERNS_18TensorIteratorBaseEENKUlvE_clEvENKUlvE0_clEvEUlN3c107complexIfEEE_EEvS4_RKT_EUlibE_EEviT1_.uses_vcc, or(1, .L_ZN2at6native6invokeIZZZNS0_16asin_kernel_cudaERNS_18TensorIteratorBaseEENKUlvE_clEvENKUlvE0_clEvEUlN3c107complexIfEEE_i15function_traitsIS9_EEENT1_11result_typeERKT_PrKPcPKT0_PKNS6_10ScalarTypeEi.uses_vcc)
	.set _ZN2at6native32elementwise_kernel_manual_unrollILi128ELi4EZNS0_15gpu_kernel_implIZZZNS0_16asin_kernel_cudaERNS_18TensorIteratorBaseEENKUlvE_clEvENKUlvE0_clEvEUlN3c107complexIfEEE_EEvS4_RKT_EUlibE_EEviT1_.uses_flat_scratch, or(1, .L_ZN2at6native6invokeIZZZNS0_16asin_kernel_cudaERNS_18TensorIteratorBaseEENKUlvE_clEvENKUlvE0_clEvEUlN3c107complexIfEEE_i15function_traitsIS9_EEENT1_11result_typeERKT_PrKPcPKT0_PKNS6_10ScalarTypeEi.uses_flat_scratch)
	.set _ZN2at6native32elementwise_kernel_manual_unrollILi128ELi4EZNS0_15gpu_kernel_implIZZZNS0_16asin_kernel_cudaERNS_18TensorIteratorBaseEENKUlvE_clEvENKUlvE0_clEvEUlN3c107complexIfEEE_EEvS4_RKT_EUlibE_EEviT1_.has_dyn_sized_stack, or(0, .L_ZN2at6native6invokeIZZZNS0_16asin_kernel_cudaERNS_18TensorIteratorBaseEENKUlvE_clEvENKUlvE0_clEvEUlN3c107complexIfEEE_i15function_traitsIS9_EEENT1_11result_typeERKT_PrKPcPKT0_PKNS6_10ScalarTypeEi.has_dyn_sized_stack)
	.set _ZN2at6native32elementwise_kernel_manual_unrollILi128ELi4EZNS0_15gpu_kernel_implIZZZNS0_16asin_kernel_cudaERNS_18TensorIteratorBaseEENKUlvE_clEvENKUlvE0_clEvEUlN3c107complexIfEEE_EEvS4_RKT_EUlibE_EEviT1_.has_recursion, or(0, .L_ZN2at6native6invokeIZZZNS0_16asin_kernel_cudaERNS_18TensorIteratorBaseEENKUlvE_clEvENKUlvE0_clEvEUlN3c107complexIfEEE_i15function_traitsIS9_EEENT1_11result_typeERKT_PrKPcPKT0_PKNS6_10ScalarTypeEi.has_recursion)
	.set _ZN2at6native32elementwise_kernel_manual_unrollILi128ELi4EZNS0_15gpu_kernel_implIZZZNS0_16asin_kernel_cudaERNS_18TensorIteratorBaseEENKUlvE_clEvENKUlvE0_clEvEUlN3c107complexIfEEE_EEvS4_RKT_EUlibE_EEviT1_.has_indirect_call, or(0, .L_ZN2at6native6invokeIZZZNS0_16asin_kernel_cudaERNS_18TensorIteratorBaseEENKUlvE_clEvENKUlvE0_clEvEUlN3c107complexIfEEE_i15function_traitsIS9_EEENT1_11result_typeERKT_PrKPcPKT0_PKNS6_10ScalarTypeEi.has_indirect_call)
	.section	.AMDGPU.csdata,"",@progbits
; Kernel info:
; codeLenInByte = 17428
; TotalNumSgprs: 62
; NumVgprs: 29
; ScratchSize: 12
; MemoryBound: 0
; FloatMode: 240
; IeeeMode: 1
; LDSByteSize: 0 bytes/workgroup (compile time only)
; SGPRBlocks: 7
; VGPRBlocks: 7
; NumSGPRsForWavesPerEU: 62
; NumVGPRsForWavesPerEU: 29
; Occupancy: 8
; WaveLimiterHint : 0
; COMPUTE_PGM_RSRC2:SCRATCH_EN: 1
; COMPUTE_PGM_RSRC2:USER_SGPR: 8
; COMPUTE_PGM_RSRC2:TRAP_HANDLER: 0
; COMPUTE_PGM_RSRC2:TGID_X_EN: 1
; COMPUTE_PGM_RSRC2:TGID_Y_EN: 0
; COMPUTE_PGM_RSRC2:TGID_Z_EN: 0
; COMPUTE_PGM_RSRC2:TIDIG_COMP_CNT: 0
	.text
	.p2align	2                               ; -- Begin function _ZN2at6native6invokeIZZZNS0_16asin_kernel_cudaERNS_18TensorIteratorBaseEENKUlvE_clEvENKUlvE0_clEvEUlN3c107complexIfEEE_j15function_traitsIS9_EEENT1_11result_typeERKT_PrKPcPKT0_PKNS6_10ScalarTypeEi
	.type	_ZN2at6native6invokeIZZZNS0_16asin_kernel_cudaERNS_18TensorIteratorBaseEENKUlvE_clEvENKUlvE0_clEvEUlN3c107complexIfEEE_j15function_traitsIS9_EEENT1_11result_typeERKT_PrKPcPKT0_PKNS6_10ScalarTypeEi,@function
_ZN2at6native6invokeIZZZNS0_16asin_kernel_cudaERNS_18TensorIteratorBaseEENKUlvE_clEvENKUlvE0_clEvEUlN3c107complexIfEEE_j15function_traitsIS9_EEENT1_11result_typeERKT_PrKPcPKT0_PKNS6_10ScalarTypeEi: ; @_ZN2at6native6invokeIZZZNS0_16asin_kernel_cudaERNS_18TensorIteratorBaseEENKUlvE_clEvENKUlvE0_clEvEUlN3c107complexIfEEE_j15function_traitsIS9_EEENT1_11result_typeERKT_PrKPcPKT0_PKNS6_10ScalarTypeEi
; %bb.0:
	s_waitcnt vmcnt(0) expcnt(0) lgkmcnt(0)
	v_add_co_u32_e32 v4, vcc, v0, v2
	v_mov_b32_e32 v0, 10
	v_addc_co_u32_e32 v5, vcc, 0, v1, vcc
	v_cmp_gt_i16_sdwa s[4:5], v3, v0 src0_sel:BYTE_0 src1_sel:DWORD
	s_mov_b64 s[6:7], 0
                                        ; implicit-def: $vgpr1
	s_and_saveexec_b64 s[8:9], s[4:5]
	s_xor_b64 s[4:5], exec, s[8:9]
	s_cbranch_execnz .LBB19_4
; %bb.1:
	s_andn2_saveexec_b64 s[4:5], s[4:5]
	s_cbranch_execnz .LBB19_10
.LBB19_2:
	s_or_b64 exec, exec, s[4:5]
	s_and_saveexec_b64 s[8:9], s[6:7]
	s_cbranch_execnz .LBB19_51
.LBB19_3:
	s_or_b64 exec, exec, s[8:9]
	s_waitcnt vmcnt(0) lgkmcnt(0)
	s_setpc_b64 s[30:31]
.LBB19_4:
	v_mov_b32_e32 v0, 25
	v_cmp_gt_i16_sdwa s[8:9], v3, v0 src0_sel:BYTE_0 src1_sel:DWORD
	s_mov_b64 s[12:13], 0
	s_mov_b64 s[10:11], 0
                                        ; implicit-def: $vgpr1
	s_and_saveexec_b64 s[14:15], s[8:9]
	s_xor_b64 s[8:9], exec, s[14:15]
	s_cbranch_execnz .LBB19_150
; %bb.5:
	s_andn2_saveexec_b64 s[8:9], s[8:9]
	s_cbranch_execnz .LBB19_181
.LBB19_6:
	s_or_b64 exec, exec, s[8:9]
	s_and_saveexec_b64 s[8:9], s[12:13]
	s_cbranch_execnz .LBB19_204
.LBB19_7:
	s_or_b64 exec, exec, s[8:9]
	s_and_saveexec_b64 s[8:9], s[6:7]
	s_xor_b64 s[6:7], exec, s[8:9]
	s_cbranch_execz .LBB19_9
.LBB19_8:
	flat_load_ubyte v0, v[4:5]
	v_mov_b32_e32 v1, 0
	s_or_b64 s[10:11], s[10:11], exec
	s_waitcnt vmcnt(0) lgkmcnt(0)
	v_cmp_ne_u16_e32 vcc, 0, v0
	v_cndmask_b32_e64 v0, 0, 1.0, vcc
.LBB19_9:
	s_or_b64 exec, exec, s[6:7]
	s_and_b64 s[6:7], s[10:11], exec
                                        ; implicit-def: $vgpr3
                                        ; implicit-def: $vgpr4_vgpr5
	s_andn2_saveexec_b64 s[4:5], s[4:5]
	s_cbranch_execz .LBB19_2
.LBB19_10:
	v_mov_b32_e32 v0, 4
	v_cmp_gt_i16_sdwa s[8:9], v3, v0 src0_sel:BYTE_0 src1_sel:DWORD
                                        ; implicit-def: $vgpr1
	s_and_saveexec_b64 s[10:11], s[8:9]
	s_xor_b64 s[8:9], exec, s[10:11]
	s_cbranch_execz .LBB19_32
; %bb.11:
	v_mov_b32_e32 v0, 7
	v_cmp_gt_i16_sdwa s[10:11], v3, v0 src0_sel:BYTE_0 src1_sel:DWORD
                                        ; implicit-def: $vgpr1
	s_and_saveexec_b64 s[12:13], s[10:11]
	s_xor_b64 s[10:11], exec, s[12:13]
	s_cbranch_execz .LBB19_21
; %bb.12:
	;; [unrolled: 7-line block ×4, first 2 shown]
	flat_load_dwordx4 v[0:3], v[4:5]
                                        ; implicit-def: $vgpr4_vgpr5
	s_waitcnt vmcnt(0) lgkmcnt(0)
	v_cvt_f32_f64_e32 v0, v[0:1]
	v_cvt_f32_f64_e32 v1, v[2:3]
.LBB19_15:
	s_andn2_saveexec_b64 s[14:15], s[14:15]
	s_cbranch_execz .LBB19_17
; %bb.16:
	flat_load_dwordx2 v[0:1], v[4:5]
.LBB19_17:
	s_or_b64 exec, exec, s[14:15]
                                        ; implicit-def: $vgpr4_vgpr5
.LBB19_18:
	s_andn2_saveexec_b64 s[12:13], s[12:13]
	s_cbranch_execz .LBB19_20
; %bb.19:
	s_waitcnt vmcnt(0) lgkmcnt(0)
	flat_load_dword v1, v[4:5]
	s_waitcnt vmcnt(0) lgkmcnt(0)
	v_cvt_f32_f16_e32 v0, v1
	v_cvt_f32_f16_sdwa v1, v1 dst_sel:DWORD dst_unused:UNUSED_PAD src0_sel:WORD_1
.LBB19_20:
	s_or_b64 exec, exec, s[12:13]
                                        ; implicit-def: $vgpr4_vgpr5
                                        ; implicit-def: $vgpr3
.LBB19_21:
	s_andn2_saveexec_b64 s[10:11], s[10:11]
	s_cbranch_execz .LBB19_31
; %bb.22:
	s_waitcnt vmcnt(0) lgkmcnt(0)
	v_mov_b32_e32 v0, 5
	v_cmp_gt_i16_sdwa s[12:13], v3, v0 src0_sel:BYTE_0 src1_sel:DWORD
                                        ; implicit-def: $vgpr0
	s_and_saveexec_b64 s[14:15], s[12:13]
	s_xor_b64 s[12:13], exec, s[14:15]
	s_cbranch_execz .LBB19_28
; %bb.23:
	v_mov_b32_e32 v0, 6
	v_cmp_gt_i16_sdwa s[14:15], v3, v0 src0_sel:BYTE_0 src1_sel:DWORD
                                        ; implicit-def: $vgpr0
	s_and_saveexec_b64 s[16:17], s[14:15]
	s_xor_b64 s[14:15], exec, s[16:17]
	s_cbranch_execz .LBB19_25
; %bb.24:
	flat_load_dwordx2 v[0:1], v[4:5]
                                        ; implicit-def: $vgpr4_vgpr5
	s_waitcnt vmcnt(0) lgkmcnt(0)
	v_cvt_f32_f64_e32 v0, v[0:1]
.LBB19_25:
	s_andn2_saveexec_b64 s[14:15], s[14:15]
	s_cbranch_execz .LBB19_27
; %bb.26:
	flat_load_dword v0, v[4:5]
.LBB19_27:
	s_or_b64 exec, exec, s[14:15]
                                        ; implicit-def: $vgpr4_vgpr5
.LBB19_28:
	s_andn2_saveexec_b64 s[12:13], s[12:13]
	s_cbranch_execz .LBB19_30
; %bb.29:
	s_waitcnt vmcnt(0) lgkmcnt(0)
	flat_load_ushort v0, v[4:5]
	s_waitcnt vmcnt(0) lgkmcnt(0)
	v_cvt_f32_f16_e32 v0, v0
.LBB19_30:
	s_or_b64 exec, exec, s[12:13]
	v_mov_b32_e32 v1, 0
.LBB19_31:
	s_or_b64 exec, exec, s[10:11]
                                        ; implicit-def: $vgpr3
                                        ; implicit-def: $vgpr4_vgpr5
.LBB19_32:
	s_andn2_saveexec_b64 s[8:9], s[8:9]
	s_cbranch_execz .LBB19_50
; %bb.33:
	s_waitcnt vmcnt(0) lgkmcnt(0)
	v_mov_b32_e32 v0, 1
	v_cmp_gt_i16_sdwa s[10:11], v3, v0 src0_sel:BYTE_0 src1_sel:DWORD
                                        ; implicit-def: $vgpr0
	s_and_saveexec_b64 s[12:13], s[10:11]
	s_xor_b64 s[10:11], exec, s[12:13]
	s_cbranch_execz .LBB19_43
; %bb.34:
	v_mov_b32_e32 v0, 2
	v_cmp_gt_i16_sdwa s[12:13], v3, v0 src0_sel:BYTE_0 src1_sel:DWORD
                                        ; implicit-def: $vgpr0
	s_and_saveexec_b64 s[14:15], s[12:13]
	s_xor_b64 s[12:13], exec, s[14:15]
	s_cbranch_execz .LBB19_40
; %bb.35:
	;; [unrolled: 7-line block ×3, first 2 shown]
	flat_load_dwordx2 v[0:1], v[4:5]
                                        ; implicit-def: $vgpr4_vgpr5
	s_waitcnt vmcnt(0) lgkmcnt(0)
	v_xor_b32_e32 v3, v0, v1
	v_ffbh_i32_e32 v2, v1
	v_ashrrev_i32_e32 v3, 31, v3
	v_add_u32_e32 v2, -1, v2
	v_add_u32_e32 v3, 32, v3
	v_min_u32_e32 v2, v2, v3
	v_lshlrev_b64 v[0:1], v2, v[0:1]
	v_min_u32_e32 v0, 1, v0
	v_or_b32_e32 v0, v1, v0
	v_cvt_f32_i32_e32 v0, v0
	v_sub_u32_e32 v1, 32, v2
	v_ldexp_f32 v0, v0, v1
.LBB19_37:
	s_andn2_saveexec_b64 s[14:15], s[14:15]
	s_cbranch_execz .LBB19_39
; %bb.38:
	flat_load_dword v0, v[4:5]
	s_waitcnt vmcnt(0) lgkmcnt(0)
	v_cvt_f32_i32_e32 v0, v0
.LBB19_39:
	s_or_b64 exec, exec, s[14:15]
                                        ; implicit-def: $vgpr4_vgpr5
.LBB19_40:
	s_andn2_saveexec_b64 s[12:13], s[12:13]
	s_cbranch_execz .LBB19_42
; %bb.41:
	flat_load_sshort v0, v[4:5]
	s_waitcnt vmcnt(0) lgkmcnt(0)
	v_cvt_f32_i32_e32 v0, v0
.LBB19_42:
	s_or_b64 exec, exec, s[12:13]
                                        ; implicit-def: $vgpr4_vgpr5
                                        ; implicit-def: $vgpr3
.LBB19_43:
	s_andn2_saveexec_b64 s[10:11], s[10:11]
	s_cbranch_execz .LBB19_49
; %bb.44:
	v_mov_b32_e32 v0, 0
	v_cmp_gt_i16_sdwa s[12:13], v3, v0 src0_sel:BYTE_0 src1_sel:DWORD
                                        ; implicit-def: $vgpr0
	s_and_saveexec_b64 s[14:15], s[12:13]
	s_xor_b64 s[12:13], exec, s[14:15]
	s_cbranch_execz .LBB19_46
; %bb.45:
	flat_load_sbyte v0, v[4:5]
                                        ; implicit-def: $vgpr4_vgpr5
	s_waitcnt vmcnt(0) lgkmcnt(0)
	v_cvt_f32_i32_e32 v0, v0
.LBB19_46:
	s_andn2_saveexec_b64 s[12:13], s[12:13]
	s_cbranch_execz .LBB19_48
; %bb.47:
	flat_load_ubyte v0, v[4:5]
	s_waitcnt vmcnt(0) lgkmcnt(0)
	v_cvt_f32_ubyte0_e32 v0, v0
.LBB19_48:
	s_or_b64 exec, exec, s[12:13]
.LBB19_49:
	s_or_b64 exec, exec, s[10:11]
	v_mov_b32_e32 v1, 0
.LBB19_50:
	s_or_b64 exec, exec, s[8:9]
	s_or_b64 s[6:7], s[6:7], exec
	s_or_b64 exec, exec, s[4:5]
	s_and_saveexec_b64 s[8:9], s[6:7]
	s_cbranch_execz .LBB19_3
.LBB19_51:
	s_waitcnt vmcnt(0) lgkmcnt(0)
	v_cmp_o_f32_e32 vcc, v1, v0
	s_and_saveexec_b64 s[4:5], vcc
	s_xor_b64 s[10:11], exec, s[4:5]
	s_cbranch_execz .LBB19_135
; %bb.52:
	v_max_f32_e64 v5, |v1|, |v1|
	v_max_f32_e64 v2, |v0|, |v0|
	v_max_f32_e32 v4, v2, v5
	s_mov_b32 s4, 0x4b000000
	v_cmp_nlt_f32_e32 vcc, s4, v4
	s_and_saveexec_b64 s[4:5], vcc
	s_xor_b64 s[6:7], exec, s[4:5]
	s_cbranch_execz .LBB19_112
; %bb.53:
	v_cmp_neq_f32_e32 vcc, 0, v1
	v_cmp_neq_f32_e64 s[4:5], 0, v0
	s_or_b64 s[4:5], vcc, s[4:5]
	s_and_saveexec_b64 s[12:13], s[4:5]
	s_cbranch_execz .LBB19_111
; %bb.54:
	s_mov_b64 s[4:5], src_private_base
	s_lshr_b32 s4, s32, 6
	v_mov_b32_e32 v2, s4
	v_mov_b32_e32 v4, 0xd800000
	v_mov_b32_e32 v3, s5
	flat_store_dword v[2:3], v4
	s_waitcnt vmcnt(0)
	flat_load_dword v2, v[2:3] glc
	s_waitcnt vmcnt(0)
	s_lshr_b32 s4, s32, 6
	s_add_i32 s4, s4, 4
	s_mov_b32 s14, 0x395db3d7
	s_waitcnt lgkmcnt(0)
	v_add_f32_e32 v4, 1.0, v2
	v_mov_b32_e32 v2, s4
	v_mov_b32_e32 v3, s5
	flat_store_dword v[2:3], v4
	s_waitcnt vmcnt(0)
	flat_load_dword v2, v[2:3] glc
	s_waitcnt vmcnt(0)
	v_cmp_nlt_f32_e64 s[4:5], |v1|, s14
	v_cmp_nlt_f32_e64 s[14:15], |v0|, s14
	s_or_b64 s[4:5], s[14:15], s[4:5]
	s_and_saveexec_b64 s[14:15], s[4:5]
	s_cbranch_execz .LBB19_110
; %bb.55:
	v_add_f32_e64 v4, |v0|, 1.0
	s_waitcnt lgkmcnt(0)
	v_max_f32_e32 v2, v5, v4
	v_add_f32_e64 v3, |v0|, -1.0
	v_cvt_f64_f32_e32 v[6:7], v2
	v_max_f32_e64 v5, v5, |v3|
	v_cvt_f64_f32_e32 v[8:9], v5
	s_mov_b32 s18, 0x7f800000
	v_frexp_exp_i32_f64_e32 v6, v[6:7]
	v_cmp_neq_f32_e32 vcc, s18, v2
	v_frexp_exp_i32_f64_e32 v8, v[8:9]
	v_mov_b32_e32 v9, 0x7f800000
	s_mov_b32 s4, 0x41200000
	v_sub_u32_e32 v7, 0, v6
	v_ldexp_f32 v11, |v1|, v7
	v_sub_u32_e32 v10, 0, v8
	v_ldexp_f32 v7, v4, v7
	v_ldexp_f32 v12, |v1|, v10
	v_ldexp_f32 v10, |v3|, v10
	v_mul_f32_e32 v7, v7, v7
	v_fmac_f32_e32 v7, v11, v11
	v_mul_f32_e32 v10, v10, v10
	v_sqrt_f32_e32 v7, v7
	v_fmac_f32_e32 v10, v12, v12
	v_sqrt_f32_e32 v10, v10
	v_ldexp_f32 v6, v7, v6
	v_cndmask_b32_e32 v7, v9, v6, vcc
	v_ldexp_f32 v2, v10, v8
	v_cmp_neq_f32_e32 vcc, s18, v5
	v_cndmask_b32_e32 v5, v9, v2, vcc
	v_add_f32_e32 v2, v7, v5
	v_mul_f32_e32 v2, 0.5, v2
	v_cmp_ngt_f32_e32 vcc, 1.0, v2
	v_cndmask_b32_e32 v2, 1.0, v2, vcc
	v_cmp_ngt_f32_e32 vcc, s4, v2
                                        ; implicit-def: $vgpr8
	s_and_saveexec_b64 s[4:5], vcc
	s_xor_b64 s[16:17], exec, s[4:5]
	s_cbranch_execz .LBB19_57
; %bb.56:
	v_fma_f32 v6, v2, v2, -1.0
	s_mov_b32 s4, 0xf800000
	v_mul_f32_e32 v8, 0x4f800000, v6
	v_cmp_gt_f32_e32 vcc, s4, v6
	v_cndmask_b32_e32 v6, v6, v8, vcc
	v_sqrt_f32_e32 v8, v6
	v_add_u32_e32 v9, -1, v8
	v_fma_f32 v10, -v9, v8, v6
	v_cmp_ge_f32_e64 s[4:5], 0, v10
	v_add_u32_e32 v10, 1, v8
	v_cndmask_b32_e64 v9, v8, v9, s[4:5]
	v_fma_f32 v8, -v10, v8, v6
	v_cmp_lt_f32_e64 s[4:5], 0, v8
	v_cndmask_b32_e64 v8, v9, v10, s[4:5]
	v_mul_f32_e32 v9, 0x37800000, v8
	v_cndmask_b32_e32 v8, v8, v9, vcc
	v_mov_b32_e32 v9, 0x260
	v_cmp_class_f32_e32 vcc, v6, v9
	v_cndmask_b32_e32 v6, v8, v6, vcc
	v_add_f32_e32 v6, v2, v6
	s_mov_b32 s4, 0x800000
	v_cmp_gt_f32_e32 vcc, s4, v6
	v_cndmask_b32_e64 v8, 0, 32, vcc
	v_ldexp_f32 v6, v6, v8
	v_log_f32_e32 v6, v6
	s_mov_b32 s4, 0x3f317217
	v_mul_f32_e32 v8, 0x3f317217, v6
	v_fma_f32 v8, v6, s4, -v8
	v_fmac_f32_e32 v8, 0x3377d1cf, v6
	v_fmac_f32_e32 v8, 0x3f317217, v6
	v_cmp_lt_f32_e64 s[4:5], |v6|, s18
	v_cndmask_b32_e64 v6, v6, v8, s[4:5]
	v_mov_b32_e32 v8, 0x41b17218
	v_cndmask_b32_e32 v8, 0, v8, vcc
	v_sub_f32_e32 v8, v6, v8
.LBB19_57:
	s_or_saveexec_b64 s[16:17], s[16:17]
	v_and_b32_e32 v6, 0x7fffffff, v1
	s_xor_b64 exec, exec, s[16:17]
	s_cbranch_execz .LBB19_79
; %bb.58:
	s_mov_b32 s18, 0x25000000
	v_cmp_neq_f32_e64 s[4:5], |v0|, 1.0
	v_cmp_nlt_f32_e64 s[18:19], |v1|, s18
	s_or_b64 s[4:5], s[4:5], s[18:19]
                                        ; implicit-def: $vgpr8
	s_and_saveexec_b64 s[18:19], s[4:5]
	s_xor_b64 s[18:19], exec, s[18:19]
	s_cbranch_execz .LBB19_76
; %bb.59:
	s_brev_b32 s4, 44
	v_mul_f32_e64 v8, |v3|, s4
	v_cmp_ge_f32_e64 s[4:5], |v1|, v8
                                        ; implicit-def: $vgpr8
	s_and_saveexec_b64 s[20:21], s[4:5]
	s_xor_b64 s[20:21], exec, s[20:21]
	s_cbranch_execz .LBB19_69
; %bb.60:
	v_cmp_neq_f32_e32 vcc, 0, v4
	v_mov_b32_e32 v8, v6
	s_and_saveexec_b64 s[4:5], vcc
	s_cbranch_execz .LBB19_62
; %bb.61:
	v_mul_f32_e32 v8, v1, v1
	v_add_f32_e32 v9, v4, v7
	v_div_scale_f32 v10, s[22:23], v9, v9, v8
	v_div_scale_f32 v11, vcc, v8, v9, v8
	v_rcp_f32_e32 v12, v10
	v_fma_f32 v13, -v10, v12, 1.0
	v_fmac_f32_e32 v12, v13, v12
	v_mul_f32_e32 v13, v11, v12
	v_fma_f32 v14, -v10, v13, v11
	v_fmac_f32_e32 v13, v14, v12
	v_fma_f32 v10, -v10, v13, v11
	v_div_fmas_f32 v10, v10, v12, v13
	v_div_fixup_f32 v8, v10, v9, v8
.LBB19_62:
	s_or_b64 exec, exec, s[4:5]
	v_sub_f32_e64 v10, 1.0, |v0|
	v_cmp_ngt_f32_e32 vcc, 0, v10
                                        ; implicit-def: $vgpr9
	s_and_saveexec_b64 s[4:5], vcc
	s_xor_b64 s[4:5], exec, s[4:5]
	s_cbranch_execz .LBB19_66
; %bb.63:
	v_cmp_neq_f32_e32 vcc, 0, v10
	v_mov_b32_e32 v9, v6
	s_and_saveexec_b64 s[22:23], vcc
	s_cbranch_execz .LBB19_65
; %bb.64:
	v_mul_f32_e32 v9, v1, v1
	v_add_f32_e32 v10, v10, v5
	v_div_scale_f32 v11, s[24:25], v10, v10, v9
	v_div_scale_f32 v12, vcc, v9, v10, v9
	v_rcp_f32_e32 v13, v11
	v_fma_f32 v14, -v11, v13, 1.0
	v_fmac_f32_e32 v13, v14, v13
	v_mul_f32_e32 v14, v12, v13
	v_fma_f32 v15, -v11, v14, v12
	v_fmac_f32_e32 v14, v15, v13
	v_fma_f32 v11, -v11, v14, v12
	v_div_fmas_f32 v11, v11, v13, v14
	v_div_fixup_f32 v9, v11, v10, v9
.LBB19_65:
	s_or_b64 exec, exec, s[22:23]
                                        ; implicit-def: $vgpr10
.LBB19_66:
	s_andn2_saveexec_b64 s[4:5], s[4:5]
; %bb.67:
	v_sub_f32_e32 v9, v5, v10
; %bb.68:
	s_or_b64 exec, exec, s[4:5]
	v_mul_f32_e32 v9, 0.5, v9
	v_fmac_f32_e32 v9, 0.5, v8
	v_add_f32_e32 v8, 1.0, v2
	v_mul_f32_e32 v8, v8, v9
	s_mov_b32 s4, 0xf800000
	v_mul_f32_e32 v10, 0x4f800000, v8
	v_cmp_gt_f32_e32 vcc, s4, v8
	v_cndmask_b32_e32 v8, v8, v10, vcc
	v_sqrt_f32_e32 v10, v8
	v_add_u32_e32 v11, -1, v10
	v_fma_f32 v12, -v11, v10, v8
	v_cmp_ge_f32_e64 s[4:5], 0, v12
	v_add_u32_e32 v12, 1, v10
	v_cndmask_b32_e64 v11, v10, v11, s[4:5]
	v_fma_f32 v10, -v12, v10, v8
	v_cmp_lt_f32_e64 s[4:5], 0, v10
	v_cndmask_b32_e64 v10, v11, v12, s[4:5]
	v_mul_f32_e32 v11, 0x37800000, v10
	v_cndmask_b32_e32 v10, v10, v11, vcc
	v_mov_b32_e32 v11, 0x260
	v_cmp_class_f32_e32 vcc, v8, v11
	v_cndmask_b32_e32 v8, v10, v8, vcc
	v_add_f32_e32 v8, v9, v8
	v_add_f32_e32 v11, 1.0, v8
	v_cvt_f64_f32_e32 v[9:10], v11
	v_add_f32_e32 v12, -1.0, v11
	v_sub_f32_e32 v13, v12, v11
	v_sub_f32_e32 v12, v8, v12
	v_frexp_exp_i32_f64_e32 v9, v[9:10]
	v_add_f32_e32 v10, 1.0, v13
	v_add_f32_e32 v10, v12, v10
	v_frexp_mant_f32_e32 v12, v11
	s_mov_b32 s4, 0x3f2aaaab
	v_cmp_gt_f32_e32 vcc, s4, v12
	s_mov_b32 s4, 0x3f317218
	v_subbrev_co_u32_e32 v9, vcc, 0, v9, vcc
	v_sub_u32_e32 v12, 0, v9
	v_ldexp_f32 v11, v11, v12
	v_ldexp_f32 v10, v10, v12
	v_add_f32_e32 v12, -1.0, v11
	v_add_f32_e32 v15, 1.0, v11
	v_add_f32_e32 v13, 1.0, v12
	v_add_f32_e32 v16, -1.0, v15
	v_sub_f32_e32 v13, v11, v13
	v_sub_f32_e32 v11, v11, v16
	v_add_f32_e32 v13, v10, v13
	v_add_f32_e32 v10, v10, v11
	;; [unrolled: 1-line block ×3, first 2 shown]
	v_rcp_f32_e32 v16, v11
	v_add_f32_e32 v14, v12, v13
	v_sub_f32_e32 v12, v14, v12
	v_sub_f32_e32 v12, v13, v12
	;; [unrolled: 1-line block ×4, first 2 shown]
	v_mul_f32_e32 v13, v14, v16
	v_mul_f32_e32 v15, v11, v13
	v_fma_f32 v17, v13, v11, -v15
	v_fmac_f32_e32 v17, v13, v10
	v_add_f32_e32 v18, v15, v17
	v_sub_f32_e32 v19, v14, v18
	v_sub_f32_e32 v14, v14, v19
	;; [unrolled: 1-line block ×4, first 2 shown]
	v_add_f32_e32 v12, v12, v14
	v_sub_f32_e32 v14, v15, v17
	v_add_f32_e32 v12, v14, v12
	v_add_f32_e32 v14, v19, v12
	v_mul_f32_e32 v15, v16, v14
	v_mul_f32_e32 v17, v11, v15
	v_fma_f32 v11, v15, v11, -v17
	v_fmac_f32_e32 v11, v15, v10
	v_sub_f32_e32 v10, v19, v14
	v_add_f32_e32 v10, v12, v10
	v_add_f32_e32 v12, v17, v11
	v_sub_f32_e32 v18, v14, v12
	v_sub_f32_e32 v14, v14, v18
	;; [unrolled: 1-line block ×4, first 2 shown]
	v_add_f32_e32 v10, v10, v12
	v_sub_f32_e32 v11, v17, v11
	v_add_f32_e32 v10, v11, v10
	v_add_f32_e32 v11, v13, v15
	;; [unrolled: 1-line block ×3, first 2 shown]
	v_sub_f32_e32 v12, v11, v13
	v_mul_f32_e32 v10, v16, v10
	v_sub_f32_e32 v12, v15, v12
	v_add_f32_e32 v10, v12, v10
	v_cvt_f32_i32_e32 v9, v9
	v_add_f32_e32 v12, v11, v10
	v_mul_f32_e32 v13, v12, v12
	v_mov_b32_e32 v14, 0x3ecc95a3
	v_fmac_f32_e32 v14, 0x3e9b6dac, v13
	v_mov_b32_e32 v15, 0x3f2aaada
	v_fmac_f32_e32 v15, v13, v14
	v_mul_f32_e32 v14, 0x3f317218, v9
	v_fma_f32 v16, v9, s4, -v14
	v_fmac_f32_e32 v16, 0xb102e308, v9
	v_sub_f32_e32 v9, v12, v11
	v_sub_f32_e32 v9, v10, v9
	v_add_f32_e32 v10, v14, v16
	v_sub_f32_e32 v11, v10, v14
	v_ldexp_f32 v14, v12, 1
	v_mul_f32_e32 v12, v12, v13
	v_mul_f32_e32 v12, v12, v15
	v_add_f32_e32 v13, v14, v12
	v_sub_f32_e32 v14, v13, v14
	v_ldexp_f32 v9, v9, 1
	v_sub_f32_e32 v12, v12, v14
	v_add_f32_e32 v9, v9, v12
	v_add_f32_e32 v12, v13, v9
	v_sub_f32_e32 v13, v12, v13
	v_sub_f32_e32 v9, v9, v13
	v_add_f32_e32 v13, v10, v12
	v_sub_f32_e32 v14, v13, v10
	v_sub_f32_e32 v15, v13, v14
	;; [unrolled: 1-line block ×5, first 2 shown]
	v_add_f32_e32 v10, v12, v10
	v_add_f32_e32 v12, v11, v9
	v_sub_f32_e32 v14, v12, v11
	v_sub_f32_e32 v15, v12, v14
	;; [unrolled: 1-line block ×4, first 2 shown]
	v_add_f32_e32 v10, v12, v10
	v_add_f32_e32 v9, v9, v11
	;; [unrolled: 1-line block ×3, first 2 shown]
	v_sub_f32_e32 v12, v11, v13
	v_sub_f32_e32 v10, v10, v12
	v_add_f32_e32 v9, v9, v10
	s_mov_b32 s4, 0x7f800000
	v_add_f32_e32 v9, v11, v9
	v_mov_b32_e32 v10, 0x7f800000
	v_cmp_neq_f32_e32 vcc, s4, v8
	v_cndmask_b32_e32 v9, v10, v9, vcc
	v_mov_b32_e32 v10, 0x7fc00000
	v_cmp_ngt_f32_e32 vcc, -1.0, v8
	v_cndmask_b32_e32 v9, v10, v9, vcc
	v_mov_b32_e32 v10, 0xff800000
	v_cmp_neq_f32_e32 vcc, -1.0, v8
	s_mov_b32 s4, 0x33800000
	v_cndmask_b32_e32 v9, v10, v9, vcc
	v_cmp_lt_f32_e64 vcc, |v8|, s4
	v_cndmask_b32_e32 v8, v9, v8, vcc
.LBB19_69:
	s_andn2_saveexec_b64 s[20:21], s[20:21]
	s_cbranch_execz .LBB19_75
; %bb.70:
	v_cmp_nlt_f32_e64 s[4:5], |v0|, 1.0
                                        ; implicit-def: $vgpr8
	s_and_saveexec_b64 s[22:23], s[4:5]
	s_xor_b64 s[22:23], exec, s[22:23]
	s_cbranch_execz .LBB19_72
; %bb.71:
	v_mul_f32_e32 v8, v3, v4
	s_mov_b32 s4, 0xf800000
	v_mul_f32_e32 v9, 0x4f800000, v8
	v_cmp_gt_f32_e32 vcc, s4, v8
	v_cndmask_b32_e32 v8, v8, v9, vcc
	v_sqrt_f32_e32 v9, v8
	v_add_u32_e32 v10, -1, v9
	v_fma_f32 v11, -v10, v9, v8
	v_cmp_ge_f32_e64 s[4:5], 0, v11
	v_add_u32_e32 v11, 1, v9
	v_cndmask_b32_e64 v10, v9, v10, s[4:5]
	v_fma_f32 v9, -v11, v9, v8
	v_cmp_lt_f32_e64 s[4:5], 0, v9
	v_cndmask_b32_e64 v9, v10, v11, s[4:5]
	v_mul_f32_e32 v10, 0x37800000, v9
	v_cndmask_b32_e32 v9, v9, v10, vcc
	v_mov_b32_e32 v10, 0x260
	v_cmp_class_f32_e32 vcc, v8, v10
	v_cndmask_b32_e32 v8, v9, v8, vcc
	v_add_f32_e32 v8, v3, v8
	v_add_f32_e32 v11, 1.0, v8
	v_cvt_f64_f32_e32 v[9:10], v11
	v_add_f32_e32 v12, -1.0, v11
	v_sub_f32_e32 v13, v12, v11
	v_sub_f32_e32 v12, v8, v12
	v_frexp_exp_i32_f64_e32 v9, v[9:10]
	v_add_f32_e32 v10, 1.0, v13
	v_add_f32_e32 v10, v12, v10
	v_frexp_mant_f32_e32 v12, v11
	s_mov_b32 s4, 0x3f2aaaab
	v_cmp_gt_f32_e32 vcc, s4, v12
	s_mov_b32 s4, 0x3f317218
	v_subbrev_co_u32_e32 v9, vcc, 0, v9, vcc
	v_sub_u32_e32 v12, 0, v9
	v_ldexp_f32 v11, v11, v12
	v_ldexp_f32 v10, v10, v12
	v_add_f32_e32 v12, -1.0, v11
	v_add_f32_e32 v15, 1.0, v11
	v_add_f32_e32 v13, 1.0, v12
	v_add_f32_e32 v16, -1.0, v15
	v_sub_f32_e32 v13, v11, v13
	v_sub_f32_e32 v11, v11, v16
	v_add_f32_e32 v13, v10, v13
	v_add_f32_e32 v10, v10, v11
	;; [unrolled: 1-line block ×3, first 2 shown]
	v_rcp_f32_e32 v16, v11
	v_add_f32_e32 v14, v12, v13
	v_sub_f32_e32 v12, v14, v12
	v_sub_f32_e32 v12, v13, v12
	;; [unrolled: 1-line block ×4, first 2 shown]
	v_mul_f32_e32 v13, v14, v16
	v_mul_f32_e32 v15, v11, v13
	v_fma_f32 v17, v13, v11, -v15
	v_fmac_f32_e32 v17, v13, v10
	v_add_f32_e32 v18, v15, v17
	v_sub_f32_e32 v19, v14, v18
	v_sub_f32_e32 v14, v14, v19
	;; [unrolled: 1-line block ×4, first 2 shown]
	v_add_f32_e32 v12, v12, v14
	v_sub_f32_e32 v14, v15, v17
	v_add_f32_e32 v12, v14, v12
	v_add_f32_e32 v14, v19, v12
	v_mul_f32_e32 v15, v16, v14
	v_mul_f32_e32 v17, v11, v15
	v_fma_f32 v11, v15, v11, -v17
	v_fmac_f32_e32 v11, v15, v10
	v_sub_f32_e32 v10, v19, v14
	v_add_f32_e32 v10, v12, v10
	v_add_f32_e32 v12, v17, v11
	v_sub_f32_e32 v18, v14, v12
	v_sub_f32_e32 v14, v14, v18
	;; [unrolled: 1-line block ×4, first 2 shown]
	v_add_f32_e32 v10, v10, v12
	v_sub_f32_e32 v11, v17, v11
	v_add_f32_e32 v10, v11, v10
	v_add_f32_e32 v11, v13, v15
	;; [unrolled: 1-line block ×3, first 2 shown]
	v_sub_f32_e32 v12, v11, v13
	v_mul_f32_e32 v10, v16, v10
	v_sub_f32_e32 v12, v15, v12
	v_add_f32_e32 v10, v12, v10
	v_cvt_f32_i32_e32 v9, v9
	v_add_f32_e32 v12, v11, v10
	v_mul_f32_e32 v13, v12, v12
	v_mov_b32_e32 v14, 0x3ecc95a3
	v_fmac_f32_e32 v14, 0x3e9b6dac, v13
	v_mov_b32_e32 v15, 0x3f2aaada
	v_fmac_f32_e32 v15, v13, v14
	v_mul_f32_e32 v14, 0x3f317218, v9
	v_fma_f32 v16, v9, s4, -v14
	v_fmac_f32_e32 v16, 0xb102e308, v9
	v_sub_f32_e32 v9, v12, v11
	v_sub_f32_e32 v9, v10, v9
	v_add_f32_e32 v10, v14, v16
	v_sub_f32_e32 v11, v10, v14
	v_ldexp_f32 v14, v12, 1
	v_mul_f32_e32 v12, v12, v13
	v_mul_f32_e32 v12, v12, v15
	v_add_f32_e32 v13, v14, v12
	v_sub_f32_e32 v14, v13, v14
	v_ldexp_f32 v9, v9, 1
	v_sub_f32_e32 v12, v12, v14
	v_add_f32_e32 v9, v9, v12
	v_add_f32_e32 v12, v13, v9
	v_sub_f32_e32 v13, v12, v13
	v_sub_f32_e32 v9, v9, v13
	v_add_f32_e32 v13, v10, v12
	v_sub_f32_e32 v14, v13, v10
	v_sub_f32_e32 v15, v13, v14
	;; [unrolled: 1-line block ×5, first 2 shown]
	v_add_f32_e32 v10, v12, v10
	v_add_f32_e32 v12, v11, v9
	v_sub_f32_e32 v14, v12, v11
	v_sub_f32_e32 v15, v12, v14
	;; [unrolled: 1-line block ×4, first 2 shown]
	v_add_f32_e32 v10, v12, v10
	v_add_f32_e32 v9, v9, v11
	;; [unrolled: 1-line block ×3, first 2 shown]
	v_sub_f32_e32 v12, v11, v13
	v_sub_f32_e32 v10, v10, v12
	v_add_f32_e32 v9, v9, v10
	s_mov_b32 s4, 0x7f800000
	v_add_f32_e32 v9, v11, v9
	v_mov_b32_e32 v10, 0x7f800000
	v_cmp_neq_f32_e32 vcc, s4, v8
	v_cndmask_b32_e32 v9, v10, v9, vcc
	v_mov_b32_e32 v10, 0x7fc00000
	v_cmp_ngt_f32_e32 vcc, -1.0, v8
	v_cndmask_b32_e32 v9, v10, v9, vcc
	v_mov_b32_e32 v10, 0xff800000
	v_cmp_neq_f32_e32 vcc, -1.0, v8
	s_mov_b32 s4, 0x33800000
	v_cndmask_b32_e32 v9, v10, v9, vcc
	v_cmp_lt_f32_e64 vcc, |v8|, s4
	v_cndmask_b32_e32 v8, v9, v8, vcc
.LBB19_72:
	s_andn2_saveexec_b64 s[22:23], s[22:23]
	s_cbranch_execz .LBB19_74
; %bb.73:
	v_sub_f32_e64 v8, 1.0, |v0|
	v_mul_f32_e32 v8, v8, v4
	s_mov_b32 s4, 0xf800000
	v_mul_f32_e32 v9, 0x4f800000, v8
	v_cmp_gt_f32_e32 vcc, s4, v8
	v_cndmask_b32_e32 v8, v8, v9, vcc
	v_sqrt_f32_e32 v9, v8
	v_add_u32_e32 v10, -1, v9
	v_fma_f32 v11, -v10, v9, v8
	v_cmp_ge_f32_e64 s[4:5], 0, v11
	v_add_u32_e32 v11, 1, v9
	v_cndmask_b32_e64 v10, v9, v10, s[4:5]
	v_fma_f32 v9, -v11, v9, v8
	v_cmp_lt_f32_e64 s[4:5], 0, v9
	v_cndmask_b32_e64 v9, v10, v11, s[4:5]
	v_mul_f32_e32 v10, 0x37800000, v9
	v_cndmask_b32_e32 v9, v9, v10, vcc
	v_mov_b32_e32 v10, 0x260
	v_cmp_class_f32_e32 vcc, v8, v10
	v_cndmask_b32_e32 v8, v9, v8, vcc
	v_and_b32_e32 v9, 0x7fffffff, v1
	v_div_scale_f32 v10, s[4:5], v8, v8, v9
	v_div_scale_f32 v9, vcc, v9, v8, v9
	v_rcp_f32_e32 v11, v10
	v_fma_f32 v12, -v10, v11, 1.0
	v_fmac_f32_e32 v11, v12, v11
	v_mul_f32_e32 v12, v9, v11
	v_fma_f32 v13, -v10, v12, v9
	v_fmac_f32_e32 v12, v13, v11
	v_fma_f32 v9, -v10, v12, v9
	v_div_fmas_f32 v9, v9, v11, v12
	v_div_fixup_f32 v8, v9, v8, |v1|
.LBB19_74:
	s_or_b64 exec, exec, s[22:23]
.LBB19_75:
	s_or_b64 exec, exec, s[20:21]
.LBB19_76:
	s_andn2_saveexec_b64 s[18:19], s[18:19]
	s_cbranch_execz .LBB19_78
; %bb.77:
	s_mov_b32 s4, 0xf800000
	s_mov_b32 s5, 0x4f800000
	v_mul_f32_e64 v8, |v1|, s5
	v_cmp_lt_f32_e64 vcc, |v1|, s4
	v_cndmask_b32_e64 v8, |v1|, v8, vcc
	v_sqrt_f32_e32 v9, v8
	v_add_u32_e32 v10, -1, v9
	v_fma_f32 v11, -v10, v9, v8
	v_cmp_ge_f32_e64 s[4:5], 0, v11
	v_add_u32_e32 v11, 1, v9
	v_cndmask_b32_e64 v10, v9, v10, s[4:5]
	v_fma_f32 v9, -v11, v9, v8
	v_cmp_lt_f32_e64 s[4:5], 0, v9
	v_cndmask_b32_e64 v9, v10, v11, s[4:5]
	v_mul_f32_e32 v10, 0x37800000, v9
	v_cndmask_b32_e32 v9, v9, v10, vcc
	v_mov_b32_e32 v10, 0x260
	v_cmp_class_f32_e32 vcc, v8, v10
	v_cndmask_b32_e32 v8, v9, v8, vcc
.LBB19_78:
	s_or_b64 exec, exec, s[18:19]
.LBB19_79:
	s_or_b64 exec, exec, s[16:17]
	s_mov_b32 s4, 0x21000000
	v_cmp_nlt_f32_e64 s[16:17], |v0|, s4
                                        ; implicit-def: $sgpr4_sgpr5
                                        ; implicit-def: $vgpr9
                                        ; implicit-def: $vgpr11
                                        ; implicit-def: $vgpr10
	s_and_saveexec_b64 s[18:19], s[16:17]
	s_xor_b64 s[16:17], exec, s[18:19]
	s_cbranch_execz .LBB19_103
; %bb.80:
	v_and_b32_e32 v10, 0x7fffffff, v0
	v_div_scale_f32 v9, s[4:5], v2, v2, v10
	v_div_scale_f32 v11, vcc, v10, v2, v10
	s_mov_b32 s4, 0x3f244674
	v_rcp_f32_e32 v12, v9
	v_fma_f32 v13, -v9, v12, 1.0
	v_fmac_f32_e32 v12, v13, v12
	v_mul_f32_e32 v13, v11, v12
	v_fma_f32 v14, -v9, v13, v11
	v_fmac_f32_e32 v13, v14, v12
	v_fma_f32 v9, -v9, v13, v11
	v_div_fmas_f32 v9, v9, v12, v13
                                        ; implicit-def: $vgpr11
	v_div_fixup_f32 v9, v9, v2, |v0|
	v_cmp_lt_f32_e32 vcc, s4, v9
	s_mov_b64 s[4:5], 0
	s_and_saveexec_b64 s[18:19], vcc
	s_cbranch_execz .LBB19_102
; %bb.81:
	s_mov_b32 s20, 0x30800000
	v_cmp_neq_f32_e64 s[4:5], |v0|, 1.0
	v_cmp_nlt_f32_e64 s[20:21], |v1|, s20
	s_or_b64 s[4:5], s[4:5], s[20:21]
                                        ; implicit-def: $vgpr11
	s_and_saveexec_b64 s[20:21], s[4:5]
	s_xor_b64 s[20:21], exec, s[20:21]
	s_cbranch_execz .LBB19_99
; %bb.82:
	s_brev_b32 s4, 44
	v_mul_f32_e64 v11, |v3|, s4
	v_cmp_ge_f32_e64 s[4:5], |v1|, v11
                                        ; implicit-def: $vgpr11
	s_and_saveexec_b64 s[22:23], s[4:5]
	s_xor_b64 s[22:23], exec, s[22:23]
	s_cbranch_execz .LBB19_92
; %bb.83:
	v_cmp_neq_f32_e32 vcc, 0, v4
	v_mov_b32_e32 v11, v6
	s_and_saveexec_b64 s[4:5], vcc
	s_cbranch_execz .LBB19_85
; %bb.84:
	v_mul_f32_e32 v11, v1, v1
	v_add_f32_e32 v4, v4, v7
	v_div_scale_f32 v7, s[24:25], v4, v4, v11
	v_div_scale_f32 v12, vcc, v11, v4, v11
	v_rcp_f32_e32 v13, v7
	v_fma_f32 v14, -v7, v13, 1.0
	v_fmac_f32_e32 v13, v14, v13
	v_mul_f32_e32 v14, v12, v13
	v_fma_f32 v15, -v7, v14, v12
	v_fmac_f32_e32 v14, v15, v13
	v_fma_f32 v7, -v7, v14, v12
	v_div_fmas_f32 v7, v7, v13, v14
	v_div_fixup_f32 v11, v7, v4, v11
.LBB19_85:
	s_or_b64 exec, exec, s[4:5]
	v_cmp_ngt_f32_e32 vcc, 0, v3
	s_and_saveexec_b64 s[4:5], vcc
	s_xor_b64 s[4:5], exec, s[4:5]
	s_cbranch_execz .LBB19_89
; %bb.86:
	v_cmp_neq_f32_e32 vcc, 0, v3
	s_and_saveexec_b64 s[24:25], vcc
	s_cbranch_execz .LBB19_88
; %bb.87:
	v_mul_f32_e32 v4, v1, v1
	v_add_f32_e32 v3, v3, v5
	v_div_scale_f32 v5, s[26:27], v3, v3, v4
	v_div_scale_f32 v6, vcc, v4, v3, v4
	v_rcp_f32_e32 v7, v5
	v_fma_f32 v12, -v5, v7, 1.0
	v_fmac_f32_e32 v7, v12, v7
	v_mul_f32_e32 v12, v6, v7
	v_fma_f32 v13, -v5, v12, v6
	v_fmac_f32_e32 v12, v13, v7
	v_fma_f32 v5, -v5, v12, v6
	v_div_fmas_f32 v5, v5, v7, v12
	v_div_fixup_f32 v6, v5, v3, v4
.LBB19_88:
	s_or_b64 exec, exec, s[24:25]
                                        ; implicit-def: $vgpr5
                                        ; implicit-def: $vgpr3
.LBB19_89:
	s_andn2_saveexec_b64 s[4:5], s[4:5]
; %bb.90:
	v_sub_f32_e32 v6, v5, v3
; %bb.91:
	s_or_b64 exec, exec, s[4:5]
	v_mul_f32_e32 v3, 0.5, v6
	v_fmac_f32_e32 v3, 0.5, v11
	v_add_f32_e64 v2, |v0|, v2
	v_mul_f32_e32 v2, v2, v3
	s_mov_b32 s4, 0xf800000
	v_mul_f32_e32 v3, 0x4f800000, v2
	v_cmp_gt_f32_e32 vcc, s4, v2
	v_cndmask_b32_e32 v2, v2, v3, vcc
	v_sqrt_f32_e32 v3, v2
	v_add_u32_e32 v4, -1, v3
	v_fma_f32 v5, -v4, v3, v2
	v_cmp_ge_f32_e64 s[4:5], 0, v5
	v_add_u32_e32 v5, 1, v3
	v_cndmask_b32_e64 v4, v3, v4, s[4:5]
	v_fma_f32 v3, -v5, v3, v2
	v_cmp_lt_f32_e64 s[4:5], 0, v3
	v_cndmask_b32_e64 v3, v4, v5, s[4:5]
	v_mul_f32_e32 v4, 0x37800000, v3
	v_cndmask_b32_e32 v3, v3, v4, vcc
	v_mov_b32_e32 v4, 0x260
	v_cmp_class_f32_e32 vcc, v2, v4
	v_cndmask_b32_e32 v11, v3, v2, vcc
                                        ; implicit-def: $vgpr4
                                        ; implicit-def: $vgpr3
.LBB19_92:
	s_andn2_saveexec_b64 s[22:23], s[22:23]
	s_cbranch_execz .LBB19_98
; %bb.93:
	v_cmp_ngt_f32_e64 s[4:5], |v0|, 1.0
                                        ; implicit-def: $vgpr11
	s_and_saveexec_b64 s[24:25], s[4:5]
	s_xor_b64 s[24:25], exec, s[24:25]
	s_cbranch_execz .LBB19_95
; %bb.94:
	v_sub_f32_e64 v2, 1.0, |v0|
	v_mul_f32_e32 v2, v2, v4
	s_mov_b32 s4, 0xf800000
	v_mul_f32_e32 v3, 0x4f800000, v2
	v_cmp_gt_f32_e32 vcc, s4, v2
	v_cndmask_b32_e32 v2, v2, v3, vcc
	v_sqrt_f32_e32 v3, v2
	v_add_u32_e32 v4, -1, v3
	v_fma_f32 v5, -v4, v3, v2
	v_cmp_ge_f32_e64 s[4:5], 0, v5
	v_add_u32_e32 v5, 1, v3
	v_cndmask_b32_e64 v4, v3, v4, s[4:5]
	v_fma_f32 v3, -v5, v3, v2
	v_cmp_lt_f32_e64 s[4:5], 0, v3
	v_cndmask_b32_e64 v3, v4, v5, s[4:5]
	v_mul_f32_e32 v4, 0x37800000, v3
	v_cndmask_b32_e32 v3, v3, v4, vcc
	v_mov_b32_e32 v4, 0x260
	v_cmp_class_f32_e32 vcc, v2, v4
	v_cndmask_b32_e32 v11, v3, v2, vcc
                                        ; implicit-def: $vgpr4
                                        ; implicit-def: $vgpr3
.LBB19_95:
	s_andn2_saveexec_b64 s[24:25], s[24:25]
	s_cbranch_execz .LBB19_97
; %bb.96:
	v_mul_f32_e32 v2, v4, v3
	s_mov_b32 s4, 0xf800000
	v_mul_f32_e32 v3, 0x4f800000, v2
	v_cmp_gt_f32_e32 vcc, s4, v2
	v_cndmask_b32_e32 v2, v2, v3, vcc
	v_sqrt_f32_e32 v3, v2
	s_mov_b32 s26, 0x57800000
	v_mul_f32_e64 v4, |v1|, s26
	v_mul_f32_e64 v4, |v0|, v4
	v_add_u32_e32 v5, -1, v3
	v_fma_f32 v6, -v5, v3, v2
	v_cmp_ge_f32_e64 s[4:5], 0, v6
	v_add_u32_e32 v6, 1, v3
	v_cndmask_b32_e64 v5, v3, v5, s[4:5]
	v_fma_f32 v3, -v6, v3, v2
	v_cmp_lt_f32_e64 s[4:5], 0, v3
	v_cndmask_b32_e64 v3, v5, v6, s[4:5]
	v_mul_f32_e32 v5, 0x37800000, v3
	v_cndmask_b32_e32 v3, v3, v5, vcc
	v_mov_b32_e32 v5, 0x260
	v_cmp_class_f32_e32 vcc, v2, v5
	v_cndmask_b32_e32 v2, v3, v2, vcc
	v_div_scale_f32 v3, s[4:5], v2, v2, v4
	v_div_scale_f32 v5, vcc, v4, v2, v4
	v_rcp_f32_e32 v6, v3
	v_fma_f32 v7, -v3, v6, 1.0
	v_fmac_f32_e32 v6, v7, v6
	v_mul_f32_e32 v7, v5, v6
	v_fma_f32 v10, -v3, v7, v5
	v_fmac_f32_e32 v7, v10, v6
	v_fma_f32 v3, -v3, v7, v5
	v_div_fmas_f32 v3, v3, v6, v7
	v_mul_f32_e64 v10, |v0|, s26
	v_div_fixup_f32 v11, v3, v2, v4
.LBB19_97:
	s_or_b64 exec, exec, s[24:25]
.LBB19_98:
	s_or_b64 exec, exec, s[22:23]
                                        ; implicit-def: $vgpr2
.LBB19_99:
	s_andn2_saveexec_b64 s[20:21], s[20:21]
	s_cbranch_execz .LBB19_101
; %bb.100:
	s_mov_b32 s22, 0xf800000
	s_mov_b32 s4, 0x4f800000
	v_mul_f32_e64 v3, |v1|, s4
	v_cmp_lt_f32_e64 vcc, |v1|, s22
	v_cndmask_b32_e64 v3, |v1|, v3, vcc
	v_sqrt_f32_e32 v4, v3
	v_add_f32_e32 v2, 1.0, v2
	v_mul_f32_e32 v2, 0.5, v2
	v_mov_b32_e32 v10, 1.0
	v_add_u32_e32 v5, -1, v4
	v_fma_f32 v6, -v5, v4, v3
	v_cmp_ge_f32_e64 s[4:5], 0, v6
	v_add_u32_e32 v6, 1, v4
	v_cndmask_b32_e64 v5, v4, v5, s[4:5]
	v_fma_f32 v4, -v6, v4, v3
	v_cmp_lt_f32_e64 s[4:5], 0, v4
	v_cndmask_b32_e64 v4, v5, v6, s[4:5]
	v_mul_f32_e32 v5, 0x37800000, v4
	v_cndmask_b32_e32 v4, v4, v5, vcc
	v_mul_f32_e32 v6, 0x4f800000, v2
	v_cmp_gt_f32_e32 vcc, s22, v2
	v_cndmask_b32_e32 v2, v2, v6, vcc
	v_sqrt_f32_e32 v6, v2
	v_mov_b32_e32 v5, 0x260
	v_cmp_class_f32_e64 s[4:5], v3, v5
	v_cndmask_b32_e64 v3, v4, v3, s[4:5]
	v_add_u32_e32 v4, -1, v6
	v_fma_f32 v7, -v4, v6, v2
	v_cmp_ge_f32_e64 s[4:5], 0, v7
	v_add_u32_e32 v7, 1, v6
	v_cndmask_b32_e64 v4, v6, v4, s[4:5]
	v_fma_f32 v6, -v7, v6, v2
	v_cmp_lt_f32_e64 s[4:5], 0, v6
	v_cndmask_b32_e64 v4, v4, v7, s[4:5]
	v_mul_f32_e32 v6, 0x37800000, v4
	v_cndmask_b32_e32 v4, v4, v6, vcc
	v_cmp_class_f32_e32 vcc, v2, v5
	v_cndmask_b32_e32 v2, v4, v2, vcc
	v_mul_f32_e32 v11, v3, v2
.LBB19_101:
	s_or_b64 exec, exec, s[20:21]
	s_mov_b64 s[4:5], exec
.LBB19_102:
	s_or_b64 exec, exec, s[18:19]
                                        ; implicit-def: $vgpr2
.LBB19_103:
	s_andn2_saveexec_b64 s[16:17], s[16:17]
; %bb.104:
	s_mov_b32 s18, 0x4b800000
	v_mul_f32_e32 v11, 0x4b800000, v2
	v_mul_f32_e64 v10, |v0|, s18
	s_or_b64 s[4:5], s[4:5], exec
                                        ; implicit-def: $vgpr9
; %bb.105:
	s_or_b64 exec, exec, s[16:17]
	s_xor_b64 s[4:5], s[4:5], -1
                                        ; implicit-def: $vgpr2
	s_and_saveexec_b64 s[16:17], s[4:5]
	s_xor_b64 s[4:5], exec, s[16:17]
	s_cbranch_execz .LBB19_107
; %bb.106:
	v_fma_f32 v2, |v9|, -0.5, 0.5
	v_mul_f32_e32 v3, v9, v9
	v_cmp_ge_f32_e64 vcc, |v9|, 0.5
	v_cndmask_b32_e32 v2, v3, v2, vcc
	v_mov_b32_e32 v3, 0x3c5fc5da
	v_fmac_f32_e32 v3, 0x3d1c21a7, v2
	v_mov_b32_e32 v4, 0x3d034c3c
	v_fmac_f32_e32 v4, v2, v3
	;; [unrolled: 2-line block ×4, first 2 shown]
	v_sqrt_f32_e32 v3, v2
	v_mov_b32_e32 v5, 0x3e2aaaac
	v_fmac_f32_e32 v5, v2, v4
	v_mul_f32_e32 v2, v2, v5
	v_fmac_f32_e32 v3, v3, v2
	v_add_f32_e32 v3, v3, v3
	v_sub_f32_e32 v3, 0x3fc90fdb, v3
	v_fma_f32 v2, |v9|, v2, |v9|
	v_cmp_lt_f32_e64 vcc, |v9|, 0.5
	v_cndmask_b32_e32 v2, v3, v2, vcc
	s_brev_b32 s16, -2
	v_bfi_b32 v2, s16, v2, v9
                                        ; implicit-def: $vgpr10
                                        ; implicit-def: $vgpr11
.LBB19_107:
	s_andn2_saveexec_b64 s[16:17], s[4:5]
	s_cbranch_execz .LBB19_109
; %bb.108:
	v_max_f32_e32 v2, v10, v10
	v_max_f32_e64 v3, |v11|, |v11|
	v_min_f32_e32 v4, v3, v2
	v_max_f32_e32 v2, v3, v2
	v_frexp_mant_f32_e32 v3, v2
	v_rcp_f32_e32 v3, v3
	v_frexp_exp_i32_f32_e32 v2, v2
	v_frexp_exp_i32_f32_e32 v5, v4
	v_frexp_mant_f32_e32 v4, v4
	v_mul_f32_e32 v3, v4, v3
	v_sub_u32_e32 v2, v5, v2
	v_ldexp_f32 v2, v3, v2
	v_mul_f32_e32 v3, v2, v2
	v_mov_b32_e32 v4, 0xbc7a590c
	v_fmac_f32_e32 v4, 0x3b2d2a58, v3
	v_mov_b32_e32 v5, 0x3d29fb3f
	v_fmac_f32_e32 v5, v3, v4
	;; [unrolled: 2-line block ×7, first 2 shown]
	v_mul_f32_e32 v3, v3, v4
	v_fmac_f32_e32 v2, v2, v3
	v_sub_f32_e32 v3, 0x3fc90fdb, v2
	v_cmp_gt_f32_e64 vcc, v10, |v11|
	v_cndmask_b32_e32 v2, v2, v3, vcc
	v_sub_f32_e32 v3, 0x40490fdb, v2
	v_cmp_gt_f32_e32 vcc, 0, v11
	v_cndmask_b32_e32 v2, v2, v3, vcc
	v_mov_b32_e32 v3, 0x40490fdb
	v_cmp_gt_i32_e64 s[4:5], 0, v11
	v_cndmask_b32_e64 v3, 0, v3, s[4:5]
	s_movk_i32 s4, 0x204
	v_mov_b32_e32 v4, 0x3f490fdb
	v_mov_b32_e32 v5, 0x4016cbe4
	v_cmp_class_f32_e64 s[18:19], v11, s4
	s_mov_b32 s4, 0x7f800000
	v_cndmask_b32_e32 v4, v4, v5, vcc
	v_cmp_eq_f32_e32 vcc, s4, v10
	v_cmp_eq_f32_e64 s[4:5], 0, v10
	v_cndmask_b32_e64 v2, |v2|, v3, s[4:5]
	s_and_b64 vcc, vcc, s[18:19]
	v_cndmask_b32_e32 v2, v2, v4, vcc
	v_mov_b32_e32 v3, 0x7fc00000
	v_cmp_o_f32_e32 vcc, v11, v11
	v_cndmask_b32_e32 v2, v3, v2, vcc
.LBB19_109:
	s_or_b64 exec, exec, s[16:17]
	s_brev_b32 s4, -2
	v_bfi_b32 v1, s4, v8, v1
	v_bfi_b32 v0, s4, v2, v0
.LBB19_110:
	s_or_b64 exec, exec, s[14:15]
.LBB19_111:
	s_or_b64 exec, exec, s[12:13]
                                        ; implicit-def: $vgpr2
                                        ; implicit-def: $vgpr5
                                        ; implicit-def: $vgpr4
.LBB19_112:
	s_andn2_saveexec_b64 s[12:13], s[6:7]
	s_cbranch_execz .LBB19_134
; %bb.113:
	v_cmp_lt_i32_e32 vcc, -1, v1
                                        ; implicit-def: $vgpr6
                                        ; implicit-def: $vgpr3
	s_and_saveexec_b64 s[4:5], vcc
	s_xor_b64 s[14:15], exec, s[4:5]
	s_cbranch_execz .LBB19_123
; %bb.114:
	v_cmp_lt_f32_e64 s[4:5], |v1|, |v0|
	v_cndmask_b32_e64 v7, |v1|, |v0|, s[4:5]
	s_mov_b32 s6, 0x7effffff
	v_cmp_nlt_f32_e32 vcc, s6, v7
                                        ; implicit-def: $vgpr3
                                        ; implicit-def: $vgpr6
	s_and_saveexec_b64 s[6:7], vcc
	s_xor_b64 s[16:17], exec, s[6:7]
	s_cbranch_execz .LBB19_120
; %bb.115:
	s_mov_b32 s6, 0x5e000000
	v_cndmask_b32_e64 v8, |v0|, |v1|, s[4:5]
	v_cmp_nlt_f32_e32 vcc, s6, v7
	s_brev_b32 s6, 4
	v_cmp_ngt_f32_e64 s[6:7], s6, v8
	s_and_b64 s[6:7], vcc, s[6:7]
                                        ; implicit-def: $vgpr3
                                        ; implicit-def: $vgpr6
	s_and_saveexec_b64 s[18:19], s[6:7]
	s_xor_b64 s[18:19], exec, s[18:19]
	s_cbranch_execz .LBB19_117
; %bb.116:
	v_mul_f32_e32 v3, v8, v8
	v_fmac_f32_e32 v3, v7, v7
	s_mov_b32 s6, 0x800000
	v_cmp_gt_f32_e32 vcc, s6, v3
	v_cndmask_b32_e64 v6, 0, 32, vcc
	v_ldexp_f32 v3, v3, v6
	v_log_f32_e32 v3, v3
	s_mov_b32 s6, 0x3f317217
	s_waitcnt lgkmcnt(0)
	v_min_f32_e32 v2, v5, v2
	v_frexp_mant_f32_e32 v5, v4
	v_mul_f32_e32 v6, 0x3f317217, v3
	v_fma_f32 v6, v3, s6, -v6
	v_fmac_f32_e32 v6, 0x3377d1cf, v3
	s_mov_b32 s6, 0x7f800000
	v_fmac_f32_e32 v6, 0x3f317217, v3
	v_cmp_lt_f32_e64 s[6:7], |v3|, s6
	v_rcp_f32_e32 v5, v5
	v_cndmask_b32_e64 v3, v3, v6, s[6:7]
	v_mov_b32_e32 v6, 0x41b17218
	v_cndmask_b32_e32 v6, 0, v6, vcc
	v_sub_f32_e32 v3, v3, v6
	v_frexp_exp_i32_f32_e32 v4, v4
	v_frexp_exp_i32_f32_e32 v6, v2
	v_frexp_mant_f32_e32 v2, v2
	v_mul_f32_e32 v2, v2, v5
	v_sub_u32_e32 v4, v6, v4
	v_ldexp_f32 v6, v2, v4
	v_mul_f32_e32 v2, v6, v6
	v_mov_b32_e32 v4, 0xbc7a590c
	v_fmac_f32_e32 v4, 0x3b2d2a58, v2
	v_mov_b32_e32 v5, 0x3d29fb3f
	v_fmac_f32_e32 v5, v2, v4
	;; [unrolled: 2-line block ×7, first 2 shown]
	v_mul_f32_e32 v2, v2, v4
	v_mul_f32_e32 v3, 0.5, v3
	v_fmac_f32_e32 v6, v6, v2
                                        ; implicit-def: $vgpr4
                                        ; implicit-def: $vgpr5
                                        ; implicit-def: $vgpr2
.LBB19_117:
	s_andn2_saveexec_b64 s[6:7], s[18:19]
	s_cbranch_execz .LBB19_119
; %bb.118:
	v_cvt_f64_f32_e32 v[6:7], v4
	s_waitcnt lgkmcnt(0)
	v_min_f32_e32 v2, v5, v2
	s_mov_b32 s18, 0x7f800000
	v_cmp_neq_f32_e32 vcc, s18, v4
	v_frexp_exp_i32_f64_e32 v3, v[6:7]
	v_mov_b32_e32 v6, 0x7f800000
	s_mov_b32 s19, 0x800000
	v_frexp_mant_f32_e32 v9, v4
	v_rcp_f32_e32 v9, v9
	s_mov_b32 s20, 0x3f317217
	v_mov_b32_e32 v7, 0x41b17218
	v_sub_u32_e32 v5, 0, v3
	v_ldexp_f32 v8, |v1|, v5
	v_ldexp_f32 v5, |v0|, v5
	v_mul_f32_e32 v5, v5, v5
	v_fmac_f32_e32 v5, v8, v8
	v_sqrt_f32_e32 v5, v5
	v_frexp_exp_i32_f32_e32 v8, v4
	v_ldexp_f32 v3, v5, v3
	v_cndmask_b32_e32 v3, v6, v3, vcc
	v_cmp_gt_f32_e32 vcc, s19, v3
	v_cndmask_b32_e64 v4, 0, 32, vcc
	v_ldexp_f32 v3, v3, v4
	v_log_f32_e32 v3, v3
	v_frexp_exp_i32_f32_e32 v4, v2
	v_frexp_mant_f32_e32 v2, v2
	v_cndmask_b32_e32 v5, 0, v7, vcc
	v_mul_f32_e32 v6, 0x3f317217, v3
	v_fma_f32 v6, v3, s20, -v6
	v_fmac_f32_e32 v6, 0x3377d1cf, v3
	v_fmac_f32_e32 v6, 0x3f317217, v3
	v_cmp_lt_f32_e64 vcc, |v3|, s18
	v_mul_f32_e32 v2, v2, v9
	v_sub_u32_e32 v4, v4, v8
	v_cndmask_b32_e32 v3, v3, v6, vcc
	v_ldexp_f32 v6, v2, v4
	v_mul_f32_e32 v2, v6, v6
	v_mov_b32_e32 v4, 0xbc7a590c
	v_sub_f32_e32 v3, v3, v5
	v_fmac_f32_e32 v4, 0x3b2d2a58, v2
	v_mov_b32_e32 v5, 0x3d29fb3f
	v_fmac_f32_e32 v5, v2, v4
	v_mov_b32_e32 v4, 0xbd97d4d7
	;; [unrolled: 2-line block ×6, first 2 shown]
	v_fmac_f32_e32 v4, v2, v5
	v_mul_f32_e32 v2, v2, v4
	v_fmac_f32_e32 v6, v6, v2
.LBB19_119:
	s_or_b64 exec, exec, s[6:7]
                                        ; implicit-def: $vgpr5
                                        ; implicit-def: $vgpr2
                                        ; implicit-def: $vgpr4
.LBB19_120:
	s_andn2_saveexec_b64 s[16:17], s[16:17]
	s_cbranch_execz .LBB19_122
; %bb.121:
	s_mov_b32 s18, 0x402df854
	v_div_scale_f32 v3, s[6:7], s18, s18, v1
	v_div_scale_f32 v6, s[6:7], s18, s18, v0
	v_div_scale_f32 v7, vcc, v1, s18, v1
	v_div_scale_f32 v8, s[6:7], v0, s18, v0
	s_waitcnt lgkmcnt(0)
	v_min_f32_e32 v5, v5, v2
	s_mov_b32 s19, 0x3f317217
	v_mov_b32_e32 v17, 0xbe1160e6
	v_mov_b32_e32 v18, 0x3e4cb8bf
	v_rcp_f32_e32 v9, v3
	v_rcp_f32_e32 v10, v6
	v_fma_f32 v11, -v3, v9, 1.0
	v_fmac_f32_e32 v9, v11, v9
	v_fma_f32 v12, -v6, v10, 1.0
	v_fmac_f32_e32 v10, v12, v10
	v_mul_f32_e32 v11, v7, v9
	v_mul_f32_e32 v12, v8, v10
	v_fma_f32 v13, -v3, v11, v7
	v_fma_f32 v14, -v6, v12, v8
	v_fmac_f32_e32 v11, v13, v9
	v_fmac_f32_e32 v12, v14, v10
	v_fma_f32 v3, -v3, v11, v7
	v_fma_f32 v6, -v6, v12, v8
	v_div_fmas_f32 v3, v3, v9, v11
	s_mov_b64 vcc, s[6:7]
	v_div_fmas_f32 v6, v6, v10, v12
	v_frexp_exp_i32_f32_e32 v9, v4
	v_frexp_mant_f32_e32 v4, v4
	v_rcp_f32_e32 v4, v4
	s_mov_b32 s6, 0x7f800000
	v_mov_b32_e32 v7, 0x7f800000
	s_mov_b32 s7, 0x800000
	v_mov_b32_e32 v10, 0xbc7a590c
	v_mov_b32_e32 v11, 0x3d29fb3f
	;; [unrolled: 1-line block ×5, first 2 shown]
	v_div_fixup_f32 v14, v3, s18, v1
	v_div_fixup_f32 v15, v6, s18, v0
	v_max_f32_e64 v16, v14, |v15|
	v_cvt_f64_f32_e32 v[2:3], v16
	v_cmp_neq_f32_e32 vcc, s6, v16
	v_frexp_exp_i32_f64_e32 v2, v[2:3]
	v_frexp_exp_i32_f32_e32 v3, v5
	v_frexp_mant_f32_e32 v5, v5
	v_sub_u32_e32 v3, v3, v9
	v_mul_f32_e32 v4, v5, v4
	v_ldexp_f32 v6, v4, v3
	v_mul_f32_e32 v4, v6, v6
	v_fmac_f32_e32 v10, 0x3b2d2a58, v4
	v_sub_u32_e32 v3, 0, v2
	v_ldexp_f32 v5, v14, v3
	v_ldexp_f32 v3, |v15|, v3
	v_mul_f32_e32 v3, v3, v3
	v_fmac_f32_e32 v3, v5, v5
	v_sqrt_f32_e32 v3, v3
	v_fmac_f32_e32 v11, v4, v10
	v_fmac_f32_e32 v12, v4, v11
	;; [unrolled: 1-line block ×3, first 2 shown]
	v_ldexp_f32 v2, v3, v2
	v_cndmask_b32_e32 v2, v7, v2, vcc
	v_cmp_gt_f32_e32 vcc, s7, v2
	v_cndmask_b32_e64 v3, 0, 32, vcc
	v_ldexp_f32 v2, v2, v3
	v_log_f32_e32 v2, v2
	v_cndmask_b32_e32 v3, 0, v8, vcc
	v_fmac_f32_e32 v17, v4, v13
	v_fmac_f32_e32 v18, v4, v17
	v_mul_f32_e32 v5, 0x3f317217, v2
	v_fma_f32 v5, v2, s19, -v5
	v_fmac_f32_e32 v5, 0x3377d1cf, v2
	v_fmac_f32_e32 v5, 0x3f317217, v2
	v_cmp_lt_f32_e64 vcc, |v2|, s6
	v_cndmask_b32_e32 v2, v2, v5, vcc
	v_sub_f32_e32 v2, v2, v3
	v_add_f32_e32 v3, 1.0, v2
	v_mov_b32_e32 v2, 0xbeaaaa62
	v_fmac_f32_e32 v2, v4, v18
	v_mul_f32_e32 v2, v4, v2
	v_fmac_f32_e32 v6, v6, v2
.LBB19_122:
	s_or_b64 exec, exec, s[16:17]
	s_waitcnt lgkmcnt(0)
	v_sub_f32_e32 v2, 0x3fc90fdb, v6
	s_movk_i32 s6, 0x204
	v_cndmask_b32_e64 v2, v6, v2, s[4:5]
	v_cmp_neq_f32_e32 vcc, 0, v0
	v_cmp_class_f32_e64 s[4:5], v1, s6
	v_cmp_class_f32_e64 s[6:7], v0, s6
	v_cndmask_b32_e32 v2, 0, v2, vcc
	v_mov_b32_e32 v4, 0x3f490fdb
	s_and_b64 vcc, s[6:7], s[4:5]
	v_cndmask_b32_e32 v2, v2, v4, vcc
	s_brev_b32 s4, -2
	v_bfi_b32 v6, s4, v2, v0
                                        ; implicit-def: $vgpr2
.LBB19_123:
	s_andn2_saveexec_b64 s[14:15], s[14:15]
	s_cbranch_execz .LBB19_133
; %bb.124:
	v_cmp_gt_f32_e64 s[4:5], |v0|, -v1
	v_cndmask_b32_e64 v5, -v1, |v0|, s[4:5]
	s_mov_b32 s6, 0x7effffff
	v_cmp_nlt_f32_e32 vcc, s6, v5
                                        ; implicit-def: $vgpr3
                                        ; implicit-def: $vgpr4
	s_and_saveexec_b64 s[6:7], vcc
	s_xor_b64 s[16:17], exec, s[6:7]
	s_cbranch_execz .LBB19_130
; %bb.125:
	v_xor_b32_e32 v3, 0x80000000, v1
	s_mov_b32 s6, 0x5e000000
	v_cndmask_b32_e64 v6, |v0|, v3, s[4:5]
	v_cmp_nlt_f32_e32 vcc, s6, v5
	s_brev_b32 s6, 4
	v_cmp_ngt_f32_e64 s[6:7], s6, v6
	s_and_b64 s[6:7], vcc, s[6:7]
                                        ; implicit-def: $vgpr3
                                        ; implicit-def: $vgpr4
	s_and_saveexec_b64 s[18:19], s[6:7]
	s_xor_b64 s[18:19], exec, s[18:19]
	s_cbranch_execz .LBB19_127
; %bb.126:
	v_mul_f32_e32 v3, v6, v6
	v_fmac_f32_e32 v3, v5, v5
	s_mov_b32 s6, 0x800000
	v_cmp_gt_f32_e32 vcc, s6, v3
	v_cndmask_b32_e64 v4, 0, 32, vcc
	v_ldexp_f32 v3, v3, v4
	v_log_f32_e32 v3, v3
	s_mov_b32 s6, 0x3f317217
	v_mul_f32_e32 v4, 0x3f317217, v3
	v_fma_f32 v4, v3, s6, -v4
	v_fmac_f32_e32 v4, 0x3377d1cf, v3
	s_mov_b32 s6, 0x7f800000
	v_fmac_f32_e32 v4, 0x3f317217, v3
	v_cmp_lt_f32_e64 s[6:7], |v3|, s6
	v_cndmask_b32_e64 v3, v3, v4, s[6:7]
	v_mov_b32_e32 v4, 0x41b17218
	v_cndmask_b32_e32 v4, 0, v4, vcc
	v_sub_f32_e32 v3, v3, v4
	v_max_f32_e64 v4, -v1, -v1
	s_waitcnt lgkmcnt(0)
	v_min_f32_e32 v5, v4, v2
	v_max_f32_e32 v2, v4, v2
	v_frexp_mant_f32_e32 v4, v2
	v_rcp_f32_e32 v4, v4
	v_frexp_exp_i32_f32_e32 v2, v2
	v_frexp_exp_i32_f32_e32 v6, v5
	v_frexp_mant_f32_e32 v5, v5
	v_mul_f32_e32 v4, v5, v4
	v_sub_u32_e32 v2, v6, v2
	v_ldexp_f32 v4, v4, v2
	v_mul_f32_e32 v2, v4, v4
	v_mov_b32_e32 v5, 0xbc7a590c
	v_fmac_f32_e32 v5, 0x3b2d2a58, v2
	v_mov_b32_e32 v6, 0x3d29fb3f
	v_fmac_f32_e32 v6, v2, v5
	;; [unrolled: 2-line block ×7, first 2 shown]
	v_mul_f32_e32 v2, v2, v5
	v_mul_f32_e32 v3, 0.5, v3
	v_fmac_f32_e32 v4, v4, v2
                                        ; implicit-def: $vgpr2
.LBB19_127:
	s_andn2_saveexec_b64 s[6:7], s[18:19]
	s_cbranch_execz .LBB19_129
; %bb.128:
	v_max_f32_e64 v5, -v1, -v1
	s_waitcnt lgkmcnt(0)
	v_max_f32_e32 v6, v5, v2
	v_cvt_f64_f32_e32 v[3:4], v6
	v_min_f32_e32 v2, v5, v2
	s_mov_b32 s18, 0x7f800000
	v_cmp_neq_f32_e32 vcc, s18, v6
	v_frexp_exp_i32_f64_e32 v3, v[3:4]
	v_mov_b32_e32 v4, 0x7f800000
	s_mov_b32 s19, 0x800000
	v_frexp_mant_f32_e32 v9, v6
	s_mov_b32 s20, 0x3f317217
	v_mov_b32_e32 v7, 0x41b17218
	v_frexp_exp_i32_f32_e32 v10, v2
	v_frexp_mant_f32_e32 v2, v2
	v_sub_u32_e32 v5, 0, v3
	v_ldexp_f32 v8, -v1, v5
	v_ldexp_f32 v5, |v0|, v5
	v_mul_f32_e32 v5, v5, v5
	v_fmac_f32_e32 v5, v8, v8
	v_sqrt_f32_e32 v5, v5
	v_frexp_exp_i32_f32_e32 v8, v6
	v_ldexp_f32 v3, v5, v3
	v_cndmask_b32_e32 v3, v4, v3, vcc
	v_cmp_gt_f32_e32 vcc, s19, v3
	v_cndmask_b32_e64 v4, 0, 32, vcc
	v_ldexp_f32 v3, v3, v4
	v_log_f32_e32 v3, v3
	v_rcp_f32_e32 v4, v9
	v_cndmask_b32_e32 v5, 0, v7, vcc
	v_mul_f32_e32 v6, 0x3f317217, v3
	v_fma_f32 v6, v3, s20, -v6
	v_fmac_f32_e32 v6, 0x3377d1cf, v3
	v_fmac_f32_e32 v6, 0x3f317217, v3
	v_cmp_lt_f32_e64 vcc, |v3|, s18
	v_mul_f32_e32 v2, v2, v4
	v_sub_u32_e32 v4, v10, v8
	v_cndmask_b32_e32 v3, v3, v6, vcc
	v_ldexp_f32 v4, v2, v4
	v_sub_f32_e32 v3, v3, v5
	v_mul_f32_e32 v2, v4, v4
	v_mov_b32_e32 v5, 0xbc7a590c
	v_fmac_f32_e32 v5, 0x3b2d2a58, v2
	v_mov_b32_e32 v6, 0x3d29fb3f
	v_fmac_f32_e32 v6, v2, v5
	;; [unrolled: 2-line block ×7, first 2 shown]
	v_mul_f32_e32 v2, v2, v5
	v_fmac_f32_e32 v4, v4, v2
.LBB19_129:
	s_or_b64 exec, exec, s[6:7]
                                        ; implicit-def: $vgpr2
.LBB19_130:
	s_andn2_saveexec_b64 s[16:17], s[16:17]
	s_cbranch_execz .LBB19_132
; %bb.131:
	s_mov_b32 s18, 0xc02df854
	v_div_scale_f32 v3, s[6:7], s18, s18, v1
	v_div_scale_f32 v4, s[6:7], s18, s18, v0
	v_div_scale_f32 v5, vcc, v1, s18, v1
	v_div_scale_f32 v6, s[6:7], v0, s18, v0
	s_mov_b32 s19, 0x3f317217
	v_rcp_f32_e32 v7, v3
	v_rcp_f32_e32 v8, v4
	v_fma_f32 v9, -v3, v7, 1.0
	v_fmac_f32_e32 v7, v9, v7
	v_fma_f32 v10, -v4, v8, 1.0
	v_fmac_f32_e32 v8, v10, v8
	v_mul_f32_e32 v9, v5, v7
	v_mul_f32_e32 v10, v6, v8
	v_fma_f32 v11, -v3, v9, v5
	v_fma_f32 v12, -v4, v10, v6
	v_fmac_f32_e32 v9, v11, v7
	v_fmac_f32_e32 v10, v12, v8
	v_fma_f32 v3, -v3, v9, v5
	v_fma_f32 v4, -v4, v10, v6
	v_div_fmas_f32 v3, v3, v7, v9
	s_mov_b64 vcc, s[6:7]
	v_div_fmas_f32 v4, v4, v8, v10
	v_max_f32_e64 v7, -v1, -v1
	s_waitcnt lgkmcnt(0)
	v_min_f32_e32 v13, v7, v2
	v_max_f32_e32 v2, v7, v2
	v_frexp_exp_i32_f32_e32 v7, v2
	v_frexp_mant_f32_e32 v2, v2
	v_rcp_f32_e32 v2, v2
	s_mov_b32 s6, 0x7f800000
	v_mov_b32_e32 v5, 0x7f800000
	s_mov_b32 s7, 0x800000
	v_mov_b32_e32 v6, 0x41b17218
	v_mov_b32_e32 v8, 0xbc7a590c
	;; [unrolled: 1-line block ×4, first 2 shown]
	v_div_fixup_f32 v14, v3, s18, v1
	v_mov_b32_e32 v11, 0x3dd931b2
	v_div_fixup_f32 v15, v4, s18, v0
	v_max_f32_e64 v16, |v14|, |v15|
	v_cvt_f64_f32_e32 v[3:4], v16
	v_cmp_neq_f32_e32 vcc, s6, v16
	v_mov_b32_e32 v12, 0xbe1160e6
	v_frexp_exp_i32_f64_e32 v3, v[3:4]
	v_frexp_exp_i32_f32_e32 v4, v13
	v_frexp_mant_f32_e32 v13, v13
	v_sub_u32_e32 v4, v4, v7
	v_mul_f32_e32 v2, v13, v2
	v_ldexp_f32 v4, v2, v4
	v_mul_f32_e32 v2, v4, v4
	v_fmac_f32_e32 v8, 0x3b2d2a58, v2
	v_sub_u32_e32 v7, 0, v3
	v_ldexp_f32 v13, |v14|, v7
	v_ldexp_f32 v7, |v15|, v7
	v_mul_f32_e32 v7, v7, v7
	v_fmac_f32_e32 v7, v13, v13
	v_sqrt_f32_e32 v7, v7
	v_fmac_f32_e32 v9, v2, v8
	v_fmac_f32_e32 v10, v2, v9
	;; [unrolled: 1-line block ×3, first 2 shown]
	v_ldexp_f32 v3, v7, v3
	v_cndmask_b32_e32 v3, v5, v3, vcc
	v_cmp_gt_f32_e32 vcc, s7, v3
	v_cndmask_b32_e64 v5, 0, 32, vcc
	v_ldexp_f32 v3, v3, v5
	v_log_f32_e32 v3, v3
	v_cndmask_b32_e32 v5, 0, v6, vcc
	v_fmac_f32_e32 v12, v2, v11
	v_mul_f32_e32 v6, 0x3f317217, v3
	v_fma_f32 v6, v3, s19, -v6
	v_fmac_f32_e32 v6, 0x3377d1cf, v3
	v_fmac_f32_e32 v6, 0x3f317217, v3
	v_cmp_lt_f32_e64 vcc, |v3|, s6
	v_cndmask_b32_e32 v3, v3, v6, vcc
	v_sub_f32_e32 v3, v3, v5
	v_mov_b32_e32 v5, 0x3e4cb8bf
	v_fmac_f32_e32 v5, v2, v12
	v_mov_b32_e32 v6, 0xbeaaaa62
	v_fmac_f32_e32 v6, v2, v5
	v_mul_f32_e32 v2, v2, v6
	v_add_f32_e32 v3, 1.0, v3
	v_fmac_f32_e32 v4, v4, v2
.LBB19_132:
	s_or_b64 exec, exec, s[16:17]
	s_waitcnt lgkmcnt(0)
	v_sub_f32_e32 v2, 0x3fc90fdb, v4
	v_cndmask_b32_e64 v2, v4, v2, s[4:5]
	v_cmp_neq_f32_e32 vcc, 0, v0
	s_mov_b32 s4, 0xff800000
	v_cndmask_b32_e32 v2, 0, v2, vcc
	v_cmp_eq_f32_e32 vcc, s4, v1
	s_movk_i32 s4, 0x204
	v_cmp_class_f32_e64 s[4:5], v0, s4
	v_mov_b32_e32 v4, 0x3f490fdb
	s_and_b64 vcc, vcc, s[4:5]
	v_cndmask_b32_e32 v2, v2, v4, vcc
	v_xor_b32_e32 v4, 0x80000000, v0
	s_brev_b32 s4, -2
	v_bfi_b32 v6, s4, v2, v4
.LBB19_133:
	s_or_b64 exec, exec, s[14:15]
	s_waitcnt lgkmcnt(0)
	v_add_f32_e32 v2, 0x3f317218, v3
	s_brev_b32 s4, -2
	v_bfi_b32 v1, s4, v2, v1
	v_bfi_b32 v0, s4, v6, v0
.LBB19_134:
	s_or_b64 exec, exec, s[12:13]
.LBB19_135:
	s_andn2_saveexec_b64 s[4:5], s[10:11]
	s_cbranch_execz .LBB19_149
; %bb.136:
	s_mov_b32 s10, 0x7f800000
	v_cmp_neq_f32_e64 s[6:7], |v1|, s10
                                        ; implicit-def: $vgpr2
                                        ; implicit-def: $vgpr3
	s_and_saveexec_b64 s[12:13], s[6:7]
	s_xor_b64 s[6:7], exec, s[12:13]
	s_cbranch_execz .LBB19_146
; %bb.137:
	v_cmp_neq_f32_e64 s[10:11], |v0|, s10
                                        ; implicit-def: $vgpr2
                                        ; implicit-def: $vgpr3
	s_and_saveexec_b64 s[12:13], s[10:11]
	s_xor_b64 s[10:11], exec, s[12:13]
	s_cbranch_execz .LBB19_143
; %bb.138:
	v_cmp_neq_f32_e32 vcc, 0, v0
                                        ; implicit-def: $vgpr2
	s_and_saveexec_b64 s[12:13], vcc
	s_xor_b64 s[12:13], exec, s[12:13]
	s_cbranch_execz .LBB19_140
; %bb.139:
	v_add_f32_e32 v1, 0, v1
	s_waitcnt lgkmcnt(0)
	v_add_f32_e32 v2, v0, v1
                                        ; implicit-def: $vgpr1
.LBB19_140:
	s_or_saveexec_b64 s[12:13], s[12:13]
	s_waitcnt lgkmcnt(0)
	v_mov_b32_e32 v3, v2
	s_xor_b64 exec, exec, s[12:13]
; %bb.141:
	v_add_f32_e32 v3, v1, v1
	v_mov_b32_e32 v2, v0
; %bb.142:
	s_or_b64 exec, exec, s[12:13]
                                        ; implicit-def: $vgpr1
.LBB19_143:
	s_andn2_saveexec_b64 s[10:11], s[10:11]
	s_cbranch_execz .LBB19_145
; %bb.144:
	s_waitcnt lgkmcnt(0)
	v_add_f32_e32 v2, v1, v1
	v_mov_b32_e32 v3, v0
.LBB19_145:
	s_or_b64 exec, exec, s[10:11]
                                        ; implicit-def: $vgpr0
.LBB19_146:
	s_andn2_saveexec_b64 s[6:7], s[6:7]
	s_cbranch_execz .LBB19_148
; %bb.147:
	s_waitcnt lgkmcnt(0)
	v_add_f32_e32 v2, v0, v0
	v_mov_b32_e32 v3, v1
.LBB19_148:
	s_or_b64 exec, exec, s[6:7]
	v_mov_b32_e32 v1, v3
	s_waitcnt lgkmcnt(0)
	v_mov_b32_e32 v0, v2
.LBB19_149:
	s_or_b64 exec, exec, s[4:5]
	s_or_b64 exec, exec, s[8:9]
	s_waitcnt lgkmcnt(0)
	s_setpc_b64 s[30:31]
.LBB19_150:
	v_mov_b32_e32 v0, 28
	v_cmp_gt_i16_sdwa s[10:11], v3, v0 src0_sel:BYTE_0 src1_sel:DWORD
	s_mov_b64 s[14:15], 0
                                        ; implicit-def: $vgpr1
	s_and_saveexec_b64 s[16:17], s[10:11]
	s_xor_b64 s[10:11], exec, s[16:17]
	s_cbranch_execz .LBB19_166
; %bb.151:
	v_mov_b32_e32 v0, 43
	v_cmp_gt_i16_sdwa s[12:13], v3, v0 src0_sel:BYTE_0 src1_sel:DWORD
	s_mov_b64 s[16:17], 0
	s_mov_b64 s[18:19], 0
                                        ; implicit-def: $vgpr1
	s_and_saveexec_b64 s[14:15], s[12:13]
	s_xor_b64 s[12:13], exec, s[14:15]
	s_cbranch_execz .LBB19_161
; %bb.152:
	v_mov_b32_e32 v0, 45
	v_cmp_gt_i16_sdwa s[18:19], v3, v0 src0_sel:BYTE_0 src1_sel:DWORD
	s_mov_b64 s[14:15], 0
                                        ; implicit-def: $vgpr1
	s_and_saveexec_b64 s[20:21], s[18:19]
	s_xor_b64 s[18:19], exec, s[20:21]
	s_cbranch_execz .LBB19_156
; %bb.153:
	v_mov_b32_e32 v0, 46
	v_cmp_eq_u16_sdwa s[22:23], v3, v0 src0_sel:BYTE_0 src1_sel:DWORD
	s_mov_b64 s[20:21], -1
                                        ; implicit-def: $vgpr1
	s_and_saveexec_b64 s[16:17], s[22:23]
	s_cbranch_execz .LBB19_155
; %bb.154:
	flat_load_dword v0, v[4:5]
	s_mov_b64 s[14:15], exec
	s_xor_b64 s[20:21], exec, -1
	s_waitcnt vmcnt(0) lgkmcnt(0)
	v_and_b32_e32 v1, 0xffff0000, v0
	v_lshlrev_b32_e32 v0, 16, v0
.LBB19_155:
	s_or_b64 exec, exec, s[16:17]
	s_and_b64 s[16:17], s[14:15], exec
	s_and_b64 s[14:15], s[20:21], exec
                                        ; implicit-def: $vgpr3
.LBB19_156:
	s_andn2_saveexec_b64 s[18:19], s[18:19]
	s_cbranch_execz .LBB19_160
; %bb.157:
	v_mov_b32_e32 v0, 44
	v_cmp_eq_u16_sdwa s[26:27], v3, v0 src0_sel:BYTE_0 src1_sel:DWORD
	s_mov_b64 s[24:25], -1
	s_mov_b64 s[22:23], s[16:17]
                                        ; implicit-def: $vgpr0
	s_and_saveexec_b64 s[20:21], s[26:27]
	s_cbranch_execz .LBB19_159
; %bb.158:
	flat_load_ubyte v0, v[4:5]
	s_movk_i32 s24, 0xff
	v_mov_b32_e32 v1, 0x7f800001
	v_mov_b32_e32 v2, 0x400000
	s_or_b64 s[22:23], s[16:17], exec
	s_waitcnt vmcnt(0) lgkmcnt(0)
	v_lshlrev_b32_e32 v3, 23, v0
	v_cmp_ne_u32_e32 vcc, s24, v0
	v_cndmask_b32_e32 v1, v1, v3, vcc
	v_cmp_ne_u32_e32 vcc, 0, v0
	v_cndmask_b32_e32 v0, v2, v1, vcc
	s_xor_b64 s[24:25], exec, -1
.LBB19_159:
	s_or_b64 exec, exec, s[20:21]
	s_andn2_b64 s[16:17], s[16:17], exec
	s_and_b64 s[20:21], s[22:23], exec
	s_or_b64 s[16:17], s[16:17], s[20:21]
	s_andn2_b64 s[14:15], s[14:15], exec
	s_and_b64 s[20:21], s[24:25], exec
	v_mov_b32_e32 v1, 0
	s_or_b64 s[14:15], s[14:15], s[20:21]
.LBB19_160:
	s_or_b64 exec, exec, s[18:19]
	s_and_b64 s[18:19], s[16:17], exec
	s_and_b64 s[16:17], s[14:15], exec
                                        ; implicit-def: $vgpr3
.LBB19_161:
	s_andn2_saveexec_b64 s[12:13], s[12:13]
	s_cbranch_execz .LBB19_165
; %bb.162:
	v_mov_b32_e32 v0, 29
	v_cmp_eq_u16_sdwa s[24:25], v3, v0 src0_sel:BYTE_0 src1_sel:DWORD
	s_mov_b64 s[20:21], -1
	s_mov_b64 s[22:23], s[18:19]
                                        ; implicit-def: $vgpr0
	s_and_saveexec_b64 s[14:15], s[24:25]
	s_cbranch_execz .LBB19_164
; %bb.163:
	flat_load_dwordx2 v[0:1], v[4:5]
	s_or_b64 s[22:23], s[18:19], exec
	s_xor_b64 s[20:21], exec, -1
	s_waitcnt vmcnt(0) lgkmcnt(0)
	v_ffbh_u32_e32 v2, v1
	v_min_u32_e32 v2, 32, v2
	v_lshlrev_b64 v[0:1], v2, v[0:1]
	v_min_u32_e32 v0, 1, v0
	v_or_b32_e32 v0, v1, v0
	v_cvt_f32_u32_e32 v0, v0
	v_sub_u32_e32 v1, 32, v2
	v_ldexp_f32 v0, v0, v1
.LBB19_164:
	s_or_b64 exec, exec, s[14:15]
	s_andn2_b64 s[14:15], s[18:19], exec
	s_and_b64 s[18:19], s[22:23], exec
	s_or_b64 s[18:19], s[14:15], s[18:19]
	s_andn2_b64 s[14:15], s[16:17], exec
	s_and_b64 s[16:17], s[20:21], exec
	v_mov_b32_e32 v1, 0
	s_or_b64 s[16:17], s[14:15], s[16:17]
.LBB19_165:
	s_or_b64 exec, exec, s[12:13]
	s_and_b64 s[14:15], s[18:19], exec
	s_and_b64 s[12:13], s[16:17], exec
                                        ; implicit-def: $vgpr3
.LBB19_166:
	s_andn2_saveexec_b64 s[10:11], s[10:11]
	s_cbranch_execz .LBB19_180
; %bb.167:
	v_mov_b32_e32 v0, 26
	v_cmp_gt_i16_sdwa s[16:17], v3, v0 src0_sel:BYTE_0 src1_sel:DWORD
                                        ; implicit-def: $vgpr0
	s_and_saveexec_b64 s[18:19], s[16:17]
	s_xor_b64 s[16:17], exec, s[18:19]
	s_cbranch_execz .LBB19_173
; %bb.168:
	v_mov_b32_e32 v0, 27
	v_cmp_gt_i16_sdwa s[18:19], v3, v0 src0_sel:BYTE_0 src1_sel:DWORD
                                        ; implicit-def: $vgpr0
	s_and_saveexec_b64 s[20:21], s[18:19]
	s_xor_b64 s[18:19], exec, s[20:21]
	s_cbranch_execz .LBB19_170
; %bb.169:
	flat_load_dword v0, v[4:5]
	s_waitcnt vmcnt(0) lgkmcnt(0)
	v_cvt_f32_u32_e32 v0, v0
.LBB19_170:
	s_andn2_saveexec_b64 s[18:19], s[18:19]
	s_cbranch_execz .LBB19_172
; %bb.171:
	flat_load_ushort v0, v[4:5]
	s_waitcnt vmcnt(0) lgkmcnt(0)
	v_cvt_f32_u32_e32 v0, v0
.LBB19_172:
	s_or_b64 exec, exec, s[18:19]
.LBB19_173:
	s_andn2_saveexec_b64 s[16:17], s[16:17]
	s_cbranch_execz .LBB19_179
; %bb.174:
	flat_load_ubyte v1, v[4:5]
	s_movk_i32 s18, 0x7f
	s_waitcnt vmcnt(0) lgkmcnt(0)
	v_cmp_lt_i16_e32 vcc, s18, v1
	s_mov_b64 s[18:19], 0
	s_and_saveexec_b64 s[20:21], vcc
	s_xor_b64 s[20:21], exec, s[20:21]
	s_cbranch_execnz .LBB19_205
; %bb.175:
	s_or_saveexec_b64 s[20:21], s[20:21]
	v_mov_b32_e32 v0, 0x7f800001
	s_xor_b64 exec, exec, s[20:21]
	s_cbranch_execnz .LBB19_208
.LBB19_176:
	s_or_b64 exec, exec, s[20:21]
	s_and_saveexec_b64 s[20:21], s[18:19]
	s_cbranch_execz .LBB19_178
.LBB19_177:
	v_lshlrev_b32_e32 v0, 24, v1
	v_and_b32_e32 v1, 0xffff, v1
	v_and_b32_e32 v2, 7, v1
	v_ffbh_u32_e32 v6, v2
	v_min_u32_e32 v6, 32, v6
	v_subrev_u32_e32 v7, 28, v6
	v_bfe_u32 v3, v1, 3, 4
	v_lshlrev_b32_e32 v1, v7, v1
	v_sub_u32_e32 v6, 29, v6
	v_and_b32_e32 v1, 7, v1
	v_cmp_eq_u32_e32 vcc, 0, v3
	v_cndmask_b32_e32 v3, v3, v6, vcc
	v_cndmask_b32_e32 v1, v2, v1, vcc
	v_mov_b32_e32 v2, 0x3b800000
	v_lshlrev_b32_e32 v1, 20, v1
	v_and_b32_e32 v0, 0x80000000, v0
	v_lshl_add_u32 v2, v3, 23, v2
	v_or3_b32 v0, v0, v2, v1
.LBB19_178:
	s_or_b64 exec, exec, s[20:21]
.LBB19_179:
	s_or_b64 exec, exec, s[16:17]
	v_mov_b32_e32 v1, 0
	s_or_b64 s[14:15], s[14:15], exec
.LBB19_180:
	s_or_b64 exec, exec, s[10:11]
	s_and_b64 s[10:11], s[14:15], exec
	s_and_b64 s[12:13], s[12:13], exec
                                        ; implicit-def: $vgpr3
	s_andn2_saveexec_b64 s[8:9], s[8:9]
	s_cbranch_execz .LBB19_6
.LBB19_181:
	v_mov_b32_e32 v0, 22
	v_cmp_gt_i16_sdwa s[6:7], v3, v0 src0_sel:BYTE_0 src1_sel:DWORD
	s_mov_b64 s[14:15], s[10:11]
                                        ; implicit-def: $vgpr0
	s_and_saveexec_b64 s[16:17], s[6:7]
	s_xor_b64 s[6:7], exec, s[16:17]
	s_cbranch_execz .LBB19_195
; %bb.182:
	v_mov_b32_e32 v0, 23
	v_cmp_gt_i16_sdwa s[14:15], v3, v0 src0_sel:BYTE_0 src1_sel:DWORD
                                        ; implicit-def: $vgpr0
	s_and_saveexec_b64 s[16:17], s[14:15]
	s_xor_b64 s[14:15], exec, s[16:17]
	s_cbranch_execz .LBB19_192
; %bb.183:
	v_mov_b32_e32 v0, 24
	v_cmp_gt_i16_sdwa s[16:17], v3, v0 src0_sel:BYTE_0 src1_sel:DWORD
                                        ; implicit-def: $vgpr0
	s_and_saveexec_b64 s[18:19], s[16:17]
	s_xor_b64 s[16:17], exec, s[18:19]
	s_cbranch_execz .LBB19_189
; %bb.184:
	flat_load_ubyte v1, v[4:5]
	s_movk_i32 s18, 0x7f
	s_waitcnt vmcnt(0) lgkmcnt(0)
	v_cmp_lt_i16_e32 vcc, s18, v1
	s_mov_b64 s[18:19], 0
	s_and_saveexec_b64 s[20:21], vcc
	s_xor_b64 s[20:21], exec, s[20:21]
	s_cbranch_execnz .LBB19_209
; %bb.185:
	s_or_saveexec_b64 s[20:21], s[20:21]
	v_mov_b32_e32 v0, 0x7f800001
	s_xor_b64 exec, exec, s[20:21]
	s_cbranch_execnz .LBB19_212
.LBB19_186:
	s_or_b64 exec, exec, s[20:21]
	s_and_saveexec_b64 s[20:21], s[18:19]
	s_cbranch_execz .LBB19_188
.LBB19_187:
	v_lshlrev_b32_e32 v0, 24, v1
	v_and_b32_e32 v1, 0xffff, v1
	v_and_b32_e32 v2, 3, v1
	v_ffbh_u32_e32 v6, v2
	v_min_u32_e32 v6, 32, v6
	v_subrev_u32_e32 v7, 29, v6
	v_bfe_u32 v3, v1, 2, 5
	v_lshlrev_b32_e32 v1, v7, v1
	v_sub_u32_e32 v6, 30, v6
	v_and_b32_e32 v1, 3, v1
	v_cmp_eq_u32_e32 vcc, 0, v3
	v_cndmask_b32_e32 v3, v3, v6, vcc
	v_cndmask_b32_e32 v1, v2, v1, vcc
	v_mov_b32_e32 v2, 0x37800000
	v_lshlrev_b32_e32 v1, 21, v1
	v_and_b32_e32 v0, 0x80000000, v0
	v_lshl_add_u32 v2, v3, 23, v2
	v_or3_b32 v0, v0, v2, v1
.LBB19_188:
	s_or_b64 exec, exec, s[20:21]
.LBB19_189:
	s_andn2_saveexec_b64 s[16:17], s[16:17]
	s_cbranch_execz .LBB19_191
; %bb.190:
	flat_load_ubyte v0, v[4:5]
	s_mov_b32 s18, 0x7f800000
	s_waitcnt vmcnt(0) lgkmcnt(0)
	v_lshlrev_b32_e32 v0, 24, v0
	v_and_b32_e32 v1, 0x7f000000, v0
	v_ffbh_u32_e32 v2, v1
	v_min_u32_e32 v2, 32, v2
	v_sub_u32_e64 v2, v2, 4 clamp
	v_lshlrev_b32_e32 v6, v2, v1
	v_lshlrev_b32_e32 v2, 23, v2
	v_lshrrev_b32_e32 v6, 4, v6
	v_add_u32_e32 v3, 0x1000000, v1
	v_sub_u32_e32 v2, v6, v2
	v_ashrrev_i32_e32 v3, 8, v3
	v_add_u32_e32 v2, 0x3c000000, v2
	v_and_or_b32 v2, v3, s18, v2
	v_cmp_ne_u32_e32 vcc, 0, v1
	v_cndmask_b32_e32 v1, 0, v2, vcc
	s_brev_b32 s18, 1
	v_and_or_b32 v0, v0, s18, v1
.LBB19_191:
	s_or_b64 exec, exec, s[16:17]
.LBB19_192:
	s_andn2_saveexec_b64 s[14:15], s[14:15]
	s_cbranch_execz .LBB19_194
; %bb.193:
	flat_load_ubyte v0, v[4:5]
	s_movk_i32 s16, 0x7f00
	s_brev_b32 s17, 16
	s_waitcnt vmcnt(0) lgkmcnt(0)
	v_lshlrev_b16_e32 v1, 8, v0
	v_lshlrev_b32_e32 v0, 25, v0
	v_lshrrev_b32_e32 v2, 4, v0
	v_and_or_b32 v3, v1, s16, 0.5
	v_or_b32_e32 v2, 0x70000000, v2
	v_add_f32_e32 v3, -0.5, v3
	v_mul_f32_e32 v2, 0x7800000, v2
	v_cmp_gt_u32_e32 vcc, s17, v0
	v_bfe_i32 v1, v1, 0, 16
	v_cndmask_b32_e32 v0, v2, v3, vcc
	s_brev_b32 s16, 1
	v_and_or_b32 v0, v1, s16, v0
.LBB19_194:
	s_or_b64 exec, exec, s[14:15]
	s_or_b64 s[14:15], s[10:11], exec
                                        ; implicit-def: $vgpr3
.LBB19_195:
	s_or_saveexec_b64 s[6:7], s[6:7]
	s_mov_b64 s[18:19], 0
	s_mov_b64 s[16:17], s[12:13]
	s_xor_b64 exec, exec, s[6:7]
	s_cbranch_execz .LBB19_203
; %bb.196:
	v_mov_b32_e32 v0, 14
	v_cmp_gt_i16_sdwa s[20:21], v3, v0 src0_sel:BYTE_0 src1_sel:DWORD
	s_mov_b64 s[16:17], s[12:13]
	s_mov_b64 s[18:19], s[14:15]
                                        ; implicit-def: $vgpr0
	s_and_saveexec_b64 s[22:23], s[20:21]
	s_xor_b64 s[20:21], exec, s[22:23]
	s_cbranch_execz .LBB19_200
; %bb.197:
	v_mov_b32_e32 v0, 15
	v_cmp_eq_u16_sdwa s[24:25], v3, v0 src0_sel:BYTE_0 src1_sel:DWORD
	s_mov_b64 s[16:17], -1
	s_mov_b64 s[18:19], s[14:15]
                                        ; implicit-def: $vgpr0
	s_and_saveexec_b64 s[22:23], s[24:25]
	s_cbranch_execz .LBB19_199
; %bb.198:
	flat_load_ushort v0, v[4:5]
	s_or_b64 s[18:19], s[14:15], exec
	s_xor_b64 s[16:17], exec, -1
	s_waitcnt vmcnt(0) lgkmcnt(0)
	v_lshlrev_b32_e32 v0, 16, v0
.LBB19_199:
	s_or_b64 exec, exec, s[22:23]
	s_andn2_b64 s[22:23], s[14:15], exec
	s_and_b64 s[18:19], s[18:19], exec
	s_or_b64 s[18:19], s[22:23], s[18:19]
	s_andn2_b64 s[22:23], s[12:13], exec
	s_and_b64 s[16:17], s[16:17], exec
	s_or_b64 s[16:17], s[22:23], s[16:17]
                                        ; implicit-def: $vgpr3
.LBB19_200:
	s_or_saveexec_b64 s[20:21], s[20:21]
	s_mov_b64 s[22:23], 0
	s_xor_b64 exec, exec, s[20:21]
; %bb.201:
	v_mov_b32_e32 v1, 11
	v_cmp_ne_u16_sdwa s[24:25], v3, v1 src0_sel:BYTE_0 src1_sel:DWORD
	s_andn2_b64 s[16:17], s[16:17], exec
	s_and_b64 s[24:25], s[24:25], exec
	s_mov_b64 s[22:23], exec
	s_or_b64 s[16:17], s[16:17], s[24:25]
; %bb.202:
	s_or_b64 exec, exec, s[20:21]
	s_andn2_b64 s[14:15], s[14:15], exec
	s_and_b64 s[18:19], s[18:19], exec
	s_andn2_b64 s[20:21], s[12:13], exec
	s_and_b64 s[16:17], s[16:17], exec
	s_or_b64 s[14:15], s[14:15], s[18:19]
	s_and_b64 s[18:19], s[22:23], exec
	s_or_b64 s[16:17], s[20:21], s[16:17]
.LBB19_203:
	s_or_b64 exec, exec, s[6:7]
	s_andn2_b64 s[6:7], s[10:11], exec
	s_and_b64 s[10:11], s[14:15], exec
	s_andn2_b64 s[12:13], s[12:13], exec
	s_and_b64 s[14:15], s[16:17], exec
	v_mov_b32_e32 v1, 0
	s_or_b64 s[10:11], s[6:7], s[10:11]
	s_and_b64 s[6:7], s[18:19], exec
	s_or_b64 s[12:13], s[12:13], s[14:15]
	s_or_b64 exec, exec, s[8:9]
	s_and_saveexec_b64 s[8:9], s[12:13]
	s_cbranch_execz .LBB19_7
.LBB19_204:
	s_trap 2
	; divergent unreachable
	s_andn2_b64 s[6:7], s[6:7], exec
	s_or_b64 exec, exec, s[8:9]
	s_and_saveexec_b64 s[8:9], s[6:7]
	s_xor_b64 s[6:7], exec, s[8:9]
	s_cbranch_execnz .LBB19_8
	s_branch .LBB19_9
.LBB19_205:
	s_movk_i32 s18, 0x80
	v_cmp_eq_u16_e32 vcc, s18, v1
	s_mov_b64 s[18:19], -1
	s_and_saveexec_b64 s[22:23], vcc
; %bb.206:
	s_xor_b64 s[18:19], exec, -1
; %bb.207:
	s_or_b64 exec, exec, s[22:23]
	s_and_b64 s[18:19], s[18:19], exec
	s_or_saveexec_b64 s[20:21], s[20:21]
	v_mov_b32_e32 v0, 0x7f800001
	s_xor_b64 exec, exec, s[20:21]
	s_cbranch_execz .LBB19_176
.LBB19_208:
	v_cmp_ne_u16_e32 vcc, 0, v1
	s_andn2_b64 s[18:19], s[18:19], exec
	s_and_b64 s[22:23], vcc, exec
	v_mov_b32_e32 v0, 0
	s_or_b64 s[18:19], s[18:19], s[22:23]
	s_or_b64 exec, exec, s[20:21]
	s_and_saveexec_b64 s[20:21], s[18:19]
	s_cbranch_execnz .LBB19_177
	s_branch .LBB19_178
.LBB19_209:
	s_movk_i32 s18, 0x80
	v_cmp_eq_u16_e32 vcc, s18, v1
	s_mov_b64 s[18:19], -1
	s_and_saveexec_b64 s[22:23], vcc
; %bb.210:
	s_xor_b64 s[18:19], exec, -1
; %bb.211:
	s_or_b64 exec, exec, s[22:23]
	s_and_b64 s[18:19], s[18:19], exec
	s_or_saveexec_b64 s[20:21], s[20:21]
	v_mov_b32_e32 v0, 0x7f800001
	s_xor_b64 exec, exec, s[20:21]
	s_cbranch_execz .LBB19_186
.LBB19_212:
	v_cmp_ne_u16_e32 vcc, 0, v1
	s_andn2_b64 s[18:19], s[18:19], exec
	s_and_b64 s[22:23], vcc, exec
	v_mov_b32_e32 v0, 0
	s_or_b64 s[18:19], s[18:19], s[22:23]
	s_or_b64 exec, exec, s[20:21]
	s_and_saveexec_b64 s[20:21], s[18:19]
	s_cbranch_execnz .LBB19_187
	s_branch .LBB19_188
.Lfunc_end19:
	.size	_ZN2at6native6invokeIZZZNS0_16asin_kernel_cudaERNS_18TensorIteratorBaseEENKUlvE_clEvENKUlvE0_clEvEUlN3c107complexIfEEE_j15function_traitsIS9_EEENT1_11result_typeERKT_PrKPcPKT0_PKNS6_10ScalarTypeEi, .Lfunc_end19-_ZN2at6native6invokeIZZZNS0_16asin_kernel_cudaERNS_18TensorIteratorBaseEENKUlvE_clEvENKUlvE0_clEvEUlN3c107complexIfEEE_j15function_traitsIS9_EEENT1_11result_typeERKT_PrKPcPKT0_PKNS6_10ScalarTypeEi
                                        ; -- End function
	.set .L_ZN2at6native6invokeIZZZNS0_16asin_kernel_cudaERNS_18TensorIteratorBaseEENKUlvE_clEvENKUlvE0_clEvEUlN3c107complexIfEEE_j15function_traitsIS9_EEENT1_11result_typeERKT_PrKPcPKT0_PKNS6_10ScalarTypeEi.num_vgpr, 20
	.set .L_ZN2at6native6invokeIZZZNS0_16asin_kernel_cudaERNS_18TensorIteratorBaseEENKUlvE_clEvENKUlvE0_clEvEUlN3c107complexIfEEE_j15function_traitsIS9_EEENT1_11result_typeERKT_PrKPcPKT0_PKNS6_10ScalarTypeEi.num_agpr, 0
	.set .L_ZN2at6native6invokeIZZZNS0_16asin_kernel_cudaERNS_18TensorIteratorBaseEENKUlvE_clEvENKUlvE0_clEvEUlN3c107complexIfEEE_j15function_traitsIS9_EEENT1_11result_typeERKT_PrKPcPKT0_PKNS6_10ScalarTypeEi.numbered_sgpr, 33
	.set .L_ZN2at6native6invokeIZZZNS0_16asin_kernel_cudaERNS_18TensorIteratorBaseEENKUlvE_clEvENKUlvE0_clEvEUlN3c107complexIfEEE_j15function_traitsIS9_EEENT1_11result_typeERKT_PrKPcPKT0_PKNS6_10ScalarTypeEi.num_named_barrier, 0
	.set .L_ZN2at6native6invokeIZZZNS0_16asin_kernel_cudaERNS_18TensorIteratorBaseEENKUlvE_clEvENKUlvE0_clEvEUlN3c107complexIfEEE_j15function_traitsIS9_EEENT1_11result_typeERKT_PrKPcPKT0_PKNS6_10ScalarTypeEi.private_seg_size, 12
	.set .L_ZN2at6native6invokeIZZZNS0_16asin_kernel_cudaERNS_18TensorIteratorBaseEENKUlvE_clEvENKUlvE0_clEvEUlN3c107complexIfEEE_j15function_traitsIS9_EEENT1_11result_typeERKT_PrKPcPKT0_PKNS6_10ScalarTypeEi.uses_vcc, 1
	.set .L_ZN2at6native6invokeIZZZNS0_16asin_kernel_cudaERNS_18TensorIteratorBaseEENKUlvE_clEvENKUlvE0_clEvEUlN3c107complexIfEEE_j15function_traitsIS9_EEENT1_11result_typeERKT_PrKPcPKT0_PKNS6_10ScalarTypeEi.uses_flat_scratch, 0
	.set .L_ZN2at6native6invokeIZZZNS0_16asin_kernel_cudaERNS_18TensorIteratorBaseEENKUlvE_clEvENKUlvE0_clEvEUlN3c107complexIfEEE_j15function_traitsIS9_EEENT1_11result_typeERKT_PrKPcPKT0_PKNS6_10ScalarTypeEi.has_dyn_sized_stack, 0
	.set .L_ZN2at6native6invokeIZZZNS0_16asin_kernel_cudaERNS_18TensorIteratorBaseEENKUlvE_clEvENKUlvE0_clEvEUlN3c107complexIfEEE_j15function_traitsIS9_EEENT1_11result_typeERKT_PrKPcPKT0_PKNS6_10ScalarTypeEi.has_recursion, 0
	.set .L_ZN2at6native6invokeIZZZNS0_16asin_kernel_cudaERNS_18TensorIteratorBaseEENKUlvE_clEvENKUlvE0_clEvEUlN3c107complexIfEEE_j15function_traitsIS9_EEENT1_11result_typeERKT_PrKPcPKT0_PKNS6_10ScalarTypeEi.has_indirect_call, 0
	.section	.AMDGPU.csdata,"",@progbits
; Function info:
; codeLenInByte = 9804
; TotalNumSgprs: 37
; NumVgprs: 20
; ScratchSize: 12
; MemoryBound: 1
	.section	.text._ZN2at6native32elementwise_kernel_manual_unrollILi128ELi4EZNS0_15gpu_kernel_implIZZZNS0_16asin_kernel_cudaERNS_18TensorIteratorBaseEENKUlvE_clEvENKUlvE0_clEvEUlN3c107complexIfEEE_EEvS4_RKT_EUlibE0_EEviT1_,"axG",@progbits,_ZN2at6native32elementwise_kernel_manual_unrollILi128ELi4EZNS0_15gpu_kernel_implIZZZNS0_16asin_kernel_cudaERNS_18TensorIteratorBaseEENKUlvE_clEvENKUlvE0_clEvEUlN3c107complexIfEEE_EEvS4_RKT_EUlibE0_EEviT1_,comdat
	.globl	_ZN2at6native32elementwise_kernel_manual_unrollILi128ELi4EZNS0_15gpu_kernel_implIZZZNS0_16asin_kernel_cudaERNS_18TensorIteratorBaseEENKUlvE_clEvENKUlvE0_clEvEUlN3c107complexIfEEE_EEvS4_RKT_EUlibE0_EEviT1_ ; -- Begin function _ZN2at6native32elementwise_kernel_manual_unrollILi128ELi4EZNS0_15gpu_kernel_implIZZZNS0_16asin_kernel_cudaERNS_18TensorIteratorBaseEENKUlvE_clEvENKUlvE0_clEvEUlN3c107complexIfEEE_EEvS4_RKT_EUlibE0_EEviT1_
	.p2align	8
	.type	_ZN2at6native32elementwise_kernel_manual_unrollILi128ELi4EZNS0_15gpu_kernel_implIZZZNS0_16asin_kernel_cudaERNS_18TensorIteratorBaseEENKUlvE_clEvENKUlvE0_clEvEUlN3c107complexIfEEE_EEvS4_RKT_EUlibE0_EEviT1_,@function
_ZN2at6native32elementwise_kernel_manual_unrollILi128ELi4EZNS0_15gpu_kernel_implIZZZNS0_16asin_kernel_cudaERNS_18TensorIteratorBaseEENKUlvE_clEvENKUlvE0_clEvEUlN3c107complexIfEEE_EEvS4_RKT_EUlibE0_EEviT1_: ; @_ZN2at6native32elementwise_kernel_manual_unrollILi128ELi4EZNS0_15gpu_kernel_implIZZZNS0_16asin_kernel_cudaERNS_18TensorIteratorBaseEENKUlvE_clEvENKUlvE0_clEvEUlN3c107complexIfEEE_EEvS4_RKT_EUlibE0_EEviT1_
; %bb.0:
	s_add_u32 flat_scratch_lo, s6, s9
	s_load_dword s74, s[4:5], 0x0
	s_load_dword s33, s[4:5], 0x8
	s_addc_u32 flat_scratch_hi, s7, 0
	s_add_u32 s0, s0, s9
	s_addc_u32 s1, s1, 0
	s_mov_b64 s[28:29], s[4:5]
	s_add_u32 s34, s28, 8
	s_addc_u32 s35, s29, 0
	v_lshl_or_b32 v23, s8, 9, v0
	s_waitcnt lgkmcnt(0)
	s_add_i32 s76, s33, -1
	v_or_b32_e32 v1, 0x180, v23
	s_cmp_gt_u32 s76, 1
	v_cmp_le_i32_e32 vcc, s74, v1
	s_cselect_b64 s[50:51], -1, 0
	s_mov_b64 s[48:49], 0
	s_mov_b64 s[40:41], 0
	s_mov_b32 s32, 0
	s_and_saveexec_b64 s[4:5], vcc
	s_xor_b64 s[52:53], exec, s[4:5]
	s_cbranch_execz .LBB20_566
; %bb.1:
	v_mov_b32_e32 v0, 0
	global_load_ushort v0, v0, s[34:35] offset:345
	s_load_dwordx4 s[44:47], s[34:35], 0x4
	s_load_dwordx2 s[54:55], s[34:35], 0x14
	s_load_dwordx4 s[40:43], s[34:35], 0xc4
	s_load_dwordx4 s[36:39], s[34:35], 0x148
	s_cmp_lg_u32 s33, 0
	s_cselect_b64 s[60:61], -1, 0
	s_add_u32 s58, s34, 0xc4
	s_addc_u32 s59, s35, 0
	s_min_u32 s78, s76, 15
	v_mov_b32_e32 v1, 8
	s_cmp_gt_u32 s33, 1
	v_cmp_gt_i32_e32 vcc, s74, v23
	s_mov_b64 s[4:5], -1
	s_mov_b64 s[68:69], 0
	s_cselect_b64 s[56:57], -1, 0
	s_mov_b64 s[62:63], 0
	s_waitcnt vmcnt(0)
	v_readfirstlane_b32 s77, v0
	v_lshrrev_b32_sdwa v20, v1, v0 dst_sel:DWORD dst_unused:UNUSED_PAD src0_sel:DWORD src1_sel:WORD_0
	s_and_saveexec_b64 s[64:65], vcc
	s_cbranch_execz .LBB20_138
; %bb.2:
	s_andn2_b64 vcc, exec, s[50:51]
	s_cbranch_vccnz .LBB20_7
; %bb.3:
	s_andn2_b64 vcc, exec, s[60:61]
	s_cbranch_vccnz .LBB20_8
; %bb.4:
	s_add_i32 s31, s78, 1
	s_cmp_eq_u32 s76, 2
	s_cbranch_scc1 .LBB20_9
; %bb.5:
	s_and_b32 s30, s31, 28
	v_mov_b32_e32 v2, 0
	s_mov_b32 s62, 0
	s_mov_b64 s[24:25], s[34:35]
	s_mov_b64 s[26:27], s[58:59]
	v_mov_b32_e32 v21, 0
	v_mov_b32_e32 v0, v23
.LBB20_6:                               ; =>This Inner Loop Header: Depth=1
	s_load_dwordx8 s[12:19], s[24:25], 0x4
	s_load_dwordx4 s[20:23], s[24:25], 0x24
	s_load_dwordx8 s[4:11], s[26:27], 0x0
	s_add_u32 s24, s24, 48
	s_addc_u32 s25, s25, 0
	s_waitcnt lgkmcnt(0)
	v_mul_hi_u32 v1, s13, v0
	s_add_i32 s62, s62, 4
	s_add_u32 s26, s26, 32
	s_addc_u32 s27, s27, 0
	v_add_u32_e32 v1, v0, v1
	v_lshrrev_b32_e32 v1, s14, v1
	v_mul_lo_u32 v3, v1, s12
	v_mul_hi_u32 v4, s16, v1
	s_cmp_lg_u32 s30, s62
	v_sub_u32_e32 v0, v0, v3
	v_add_u32_e32 v3, v1, v4
	v_mul_lo_u32 v4, v0, s4
	v_mul_lo_u32 v5, v0, s5
	v_lshrrev_b32_e32 v0, s17, v3
	v_mul_lo_u32 v3, v0, s15
	v_mul_hi_u32 v6, s19, v0
	v_sub_u32_e32 v1, v1, v3
	v_add_u32_e32 v3, v0, v6
	v_lshrrev_b32_e32 v3, s20, v3
	v_mul_hi_u32 v7, s22, v3
	v_mul_lo_u32 v8, v3, s18
	v_mul_lo_u32 v6, v1, s6
	;; [unrolled: 1-line block ×3, first 2 shown]
	v_sub_u32_e32 v8, v0, v8
	v_add_u32_e32 v0, v3, v7
	v_lshrrev_b32_e32 v0, s23, v0
	v_mul_lo_u32 v7, v0, s21
	v_mul_lo_u32 v9, v8, s8
	;; [unrolled: 1-line block ×3, first 2 shown]
	v_add3_u32 v4, v4, v21, v6
	v_sub_u32_e32 v3, v3, v7
	v_mul_lo_u32 v7, v3, s10
	v_mul_lo_u32 v3, v3, s11
	v_add3_u32 v1, v5, v2, v1
	v_add3_u32 v21, v9, v4, v7
	;; [unrolled: 1-line block ×3, first 2 shown]
	s_cbranch_scc1 .LBB20_6
	s_branch .LBB20_10
.LBB20_7:
                                        ; implicit-def: $vgpr21
                                        ; implicit-def: $vgpr2
	s_andn2_b64 vcc, exec, s[4:5]
	s_cbranch_vccz .LBB20_14
	s_branch .LBB20_16
.LBB20_8:
	v_mov_b32_e32 v21, 0
	v_mov_b32_e32 v2, 0
	s_branch .LBB20_13
.LBB20_9:
	s_mov_b32 s30, 0
	v_mov_b32_e32 v21, 0
	v_mov_b32_e32 v2, 0
	;; [unrolled: 1-line block ×3, first 2 shown]
.LBB20_10:
	s_and_b32 s8, s31, 3
	s_cmp_eq_u32 s8, 0
	s_cbranch_scc1 .LBB20_13
; %bb.11:
	s_lshl_b32 s4, s30, 3
	s_add_u32 s4, s34, s4
	s_addc_u32 s5, s35, 0
	s_add_u32 s4, s4, 0xc4
	s_addc_u32 s5, s5, 0
	s_mul_i32 s6, s30, 12
	s_add_u32 s6, s34, s6
	s_addc_u32 s7, s35, 0
.LBB20_12:                              ; =>This Inner Loop Header: Depth=1
	s_load_dwordx2 s[10:11], s[6:7], 0x4
	s_load_dword s9, s[6:7], 0xc
	s_load_dwordx2 s[12:13], s[4:5], 0x0
	s_add_u32 s6, s6, 12
	s_addc_u32 s7, s7, 0
	s_waitcnt lgkmcnt(0)
	v_mul_hi_u32 v1, s11, v0
	s_add_u32 s4, s4, 8
	s_addc_u32 s5, s5, 0
	s_add_i32 s8, s8, -1
	v_add_u32_e32 v1, v0, v1
	v_lshrrev_b32_e32 v1, s9, v1
	v_mul_lo_u32 v3, v1, s10
	s_cmp_lg_u32 s8, 0
	v_sub_u32_e32 v0, v0, v3
	v_mad_u64_u32 v[21:22], s[10:11], v0, s12, v[21:22]
	v_mad_u64_u32 v[2:3], s[10:11], v0, s13, v[2:3]
	v_mov_b32_e32 v0, v1
	s_cbranch_scc1 .LBB20_12
.LBB20_13:
	s_cbranch_execnz .LBB20_16
.LBB20_14:
	s_waitcnt lgkmcnt(0)
	v_mul_hi_u32 v0, s45, v23
	s_andn2_b64 vcc, exec, s[56:57]
	v_add_u32_e32 v0, v23, v0
	v_lshrrev_b32_e32 v0, s46, v0
	v_mul_lo_u32 v1, v0, s44
	v_sub_u32_e32 v1, v23, v1
	v_mul_lo_u32 v21, v1, s40
	v_mul_lo_u32 v2, v1, s41
	s_cbranch_vccnz .LBB20_16
; %bb.15:
	v_mul_hi_u32 v1, s54, v0
	v_add_u32_e32 v1, v0, v1
	v_lshrrev_b32_e32 v1, s55, v1
	v_mul_lo_u32 v1, v1, s47
	v_sub_u32_e32 v0, v0, v1
	v_mad_u64_u32 v[21:22], s[4:5], v0, s42, v[21:22]
	v_mad_u64_u32 v[2:3], s[4:5], v0, s43, v[2:3]
.LBB20_16:
	s_getpc_b64 s[4:5]
	s_add_u32 s4, s4, _ZN2at6native6invokeIZZZNS0_16asin_kernel_cudaERNS_18TensorIteratorBaseEENKUlvE_clEvENKUlvE0_clEvEUlN3c107complexIfEEE_j15function_traitsIS9_EEENT1_11result_typeERKT_PrKPcPKT0_PKNS6_10ScalarTypeEi@rel32@lo+4
	s_addc_u32 s5, s5, _ZN2at6native6invokeIZZZNS0_16asin_kernel_cudaERNS_18TensorIteratorBaseEENKUlvE_clEvENKUlvE0_clEvEUlN3c107complexIfEEE_j15function_traitsIS9_EEENT1_11result_typeERKT_PrKPcPKT0_PKNS6_10ScalarTypeEi@rel32@hi+12
	s_waitcnt lgkmcnt(0)
	v_mov_b32_e32 v0, s38
	v_mov_b32_e32 v1, s39
	;; [unrolled: 1-line block ×3, first 2 shown]
	s_swappc_b64 s[30:31], s[4:5]
	v_mov_b32_e32 v3, s37
	s_and_b32 s12, s77, 0xff
	v_add_co_u32_e32 v2, vcc, s36, v21
	s_cmp_lt_i32 s12, 11
	v_addc_co_u32_e32 v3, vcc, 0, v3, vcc
	s_cbranch_scc1 .LBB20_23
; %bb.17:
	s_and_b32 s13, 0xffff, s12
	s_cmp_gt_i32 s13, 25
	s_cbranch_scc0 .LBB20_26
; %bb.18:
	s_cmp_gt_i32 s13, 28
	s_cbranch_scc0 .LBB20_27
; %bb.19:
	;; [unrolled: 3-line block ×4, first 2 shown]
	s_mov_b64 s[8:9], 0
	s_mov_b64 s[4:5], -1
	s_cmp_eq_u32 s13, 46
	s_mov_b64 s[6:7], 0
	s_cbranch_scc0 .LBB20_30
; %bb.22:
	s_movk_i32 s4, 0x7fff
	v_bfe_u32 v5, v1, 16, 1
	v_add3_u32 v5, v1, v5, s4
	v_bfe_u32 v4, v0, 16, 1
	v_and_b32_e32 v5, 0xffff0000, v5
	v_mov_b32_e32 v6, 0x7fc00000
	v_cmp_o_f32_e32 vcc, v1, v1
	v_add3_u32 v4, v0, v4, s4
	v_cndmask_b32_e32 v5, v6, v5, vcc
	v_cmp_o_f32_e32 vcc, v0, v0
	v_mov_b32_e32 v6, 0x7fc0
	v_cndmask_b32_sdwa v4, v6, v4, vcc dst_sel:DWORD dst_unused:UNUSED_PAD src0_sel:DWORD src1_sel:WORD_1
	v_or_b32_e32 v4, v5, v4
	global_store_dword v[2:3], v4, off
	s_mov_b64 s[6:7], -1
	s_mov_b64 s[4:5], 0
	s_branch .LBB20_30
.LBB20_23:
	s_mov_b64 s[4:5], 0
	s_mov_b64 s[6:7], 0
	s_cbranch_execnz .LBB20_98
.LBB20_24:
	s_andn2_b64 vcc, exec, s[6:7]
	s_cbranch_vccnz .LBB20_136
.LBB20_25:
	v_add_u32_e32 v23, 0x80, v23
	s_mov_b64 s[6:7], -1
	s_branch .LBB20_137
.LBB20_26:
	s_mov_b64 s[4:5], 0
	s_mov_b64 s[6:7], 0
	s_cbranch_execnz .LBB20_57
	s_branch .LBB20_97
.LBB20_27:
	s_mov_b64 s[8:9], -1
	s_mov_b64 s[4:5], 0
	s_mov_b64 s[6:7], 0
	s_branch .LBB20_40
.LBB20_28:
	s_mov_b64 s[8:9], -1
	s_mov_b64 s[4:5], 0
	s_mov_b64 s[6:7], 0
	s_branch .LBB20_36
.LBB20_29:
	s_mov_b64 s[8:9], -1
	s_mov_b64 s[4:5], 0
	s_mov_b64 s[6:7], 0
.LBB20_30:
	s_and_b64 vcc, exec, s[8:9]
	s_cbranch_vccz .LBB20_35
; %bb.31:
	s_cmp_eq_u32 s13, 44
	s_mov_b64 s[4:5], -1
	s_cbranch_scc0 .LBB20_35
; %bb.32:
	v_bfe_u32 v4, v0, 23, 8
	s_movk_i32 s4, 0xff
	v_cmp_ne_u32_e32 vcc, s4, v4
	v_mov_b32_e32 v5, 0xff
	s_and_saveexec_b64 s[6:7], vcc
; %bb.33:
	s_mov_b32 s4, 0x3fffff
	v_and_b32_e32 v6, 0x400000, v0
	v_and_or_b32 v4, v0, s4, v4
	v_cmp_ne_u32_e32 vcc, 0, v6
	v_cmp_ne_u32_e64 s[4:5], 0, v4
	s_and_b64 s[4:5], vcc, s[4:5]
	v_lshrrev_b32_e32 v5, 23, v0
	v_cndmask_b32_e64 v4, 0, 1, s[4:5]
	v_add_u32_e32 v5, v5, v4
; %bb.34:
	s_or_b64 exec, exec, s[6:7]
	s_mov_b64 s[6:7], -1
	s_mov_b64 s[4:5], 0
	global_store_byte v[2:3], v5, off
.LBB20_35:
	s_mov_b64 s[8:9], 0
.LBB20_36:
	s_and_b64 vcc, exec, s[8:9]
	s_cbranch_vccz .LBB20_39
; %bb.37:
	s_cmp_eq_u32 s13, 29
	s_mov_b64 s[4:5], -1
	s_cbranch_scc0 .LBB20_39
; %bb.38:
	v_trunc_f32_e32 v4, v0
	v_mul_f32_e32 v5, 0x2f800000, v4
	v_floor_f32_e32 v6, v5
	v_fmac_f32_e32 v4, 0xcf800000, v6
	v_cvt_u32_f32_e32 v5, v6
	v_cvt_u32_f32_e32 v4, v4
	s_mov_b64 s[6:7], -1
	s_mov_b64 s[4:5], 0
	s_mov_b64 s[8:9], 0
	global_store_dwordx2 v[2:3], v[4:5], off
	s_branch .LBB20_40
.LBB20_39:
	s_mov_b64 s[8:9], 0
.LBB20_40:
	s_and_b64 vcc, exec, s[8:9]
	s_cbranch_vccz .LBB20_56
; %bb.41:
	s_cmp_lt_i32 s13, 27
	s_mov_b64 s[6:7], -1
	s_cbranch_scc1 .LBB20_47
; %bb.42:
	s_cmp_gt_i32 s13, 27
	s_cbranch_scc0 .LBB20_44
; %bb.43:
	v_cvt_u32_f32_e32 v4, v0
	s_mov_b64 s[6:7], 0
	global_store_dword v[2:3], v4, off
.LBB20_44:
	s_andn2_b64 vcc, exec, s[6:7]
	s_cbranch_vccnz .LBB20_46
; %bb.45:
	v_cvt_u32_f32_e32 v4, v0
	global_store_short v[2:3], v4, off
.LBB20_46:
	s_mov_b64 s[6:7], 0
.LBB20_47:
	s_andn2_b64 vcc, exec, s[6:7]
	s_cbranch_vccnz .LBB20_55
; %bb.48:
	v_and_b32_e32 v4, 0x7fffffff, v0
	s_mov_b32 s6, 0x43800000
	v_cmp_gt_u32_e32 vcc, s6, v4
	v_mov_b32_e32 v5, 0x80
	s_and_saveexec_b64 s[6:7], vcc
	s_cbranch_execz .LBB20_54
; %bb.49:
	s_mov_b32 s8, 0x3bffffff
	v_cmp_lt_u32_e32 vcc, s8, v4
	s_mov_b64 s[8:9], 0
                                        ; implicit-def: $vgpr4
	s_and_saveexec_b64 s[10:11], vcc
	s_xor_b64 s[10:11], exec, s[10:11]
	s_cbranch_execz .LBB20_169
; %bb.50:
	v_bfe_u32 v4, v0, 20, 1
	s_mov_b32 s14, 0x487ffff
	v_add3_u32 v4, v0, v4, s14
	s_mov_b64 s[8:9], exec
	v_lshrrev_b32_e32 v4, 20, v4
	s_andn2_saveexec_b64 s[10:11], s[10:11]
	s_cbranch_execnz .LBB20_170
.LBB20_51:
	s_or_b64 exec, exec, s[10:11]
	v_mov_b32_e32 v5, 0
	s_and_saveexec_b64 s[10:11], s[8:9]
.LBB20_52:
	v_lshrrev_b32_e32 v5, 24, v0
	s_movk_i32 s8, 0x80
	v_and_or_b32 v5, v5, s8, v4
.LBB20_53:
	s_or_b64 exec, exec, s[10:11]
.LBB20_54:
	s_or_b64 exec, exec, s[6:7]
	global_store_byte v[2:3], v5, off
.LBB20_55:
	s_mov_b64 s[6:7], -1
.LBB20_56:
	s_branch .LBB20_97
.LBB20_57:
	s_cmp_gt_i32 s13, 22
	s_mov_b64 s[8:9], -1
	s_cbranch_scc0 .LBB20_89
; %bb.58:
	s_cmp_lt_i32 s13, 24
	s_mov_b64 s[6:7], -1
	s_cbranch_scc1 .LBB20_78
; %bb.59:
	s_cmp_gt_i32 s13, 24
	s_cbranch_scc0 .LBB20_67
; %bb.60:
	v_and_b32_e32 v4, 0x7fffffff, v0
	s_mov_b32 s6, 0x47800000
	v_cmp_gt_u32_e32 vcc, s6, v4
	v_mov_b32_e32 v5, 0x80
	s_and_saveexec_b64 s[6:7], vcc
	s_cbranch_execz .LBB20_66
; %bb.61:
	s_mov_b32 s8, 0x37ffffff
	v_cmp_lt_u32_e32 vcc, s8, v4
	s_mov_b64 s[8:9], 0
                                        ; implicit-def: $vgpr4
	s_and_saveexec_b64 s[10:11], vcc
	s_xor_b64 s[10:11], exec, s[10:11]
	s_cbranch_execz .LBB20_172
; %bb.62:
	v_bfe_u32 v4, v0, 21, 1
	s_mov_b32 s14, 0x88fffff
	v_add3_u32 v4, v0, v4, s14
	s_mov_b64 s[8:9], exec
	v_lshrrev_b32_e32 v4, 21, v4
	s_andn2_saveexec_b64 s[10:11], s[10:11]
	s_cbranch_execnz .LBB20_173
.LBB20_63:
	s_or_b64 exec, exec, s[10:11]
	v_mov_b32_e32 v5, 0
	s_and_saveexec_b64 s[10:11], s[8:9]
.LBB20_64:
	v_lshrrev_b32_e32 v5, 24, v0
	s_movk_i32 s8, 0x80
	v_and_or_b32 v5, v5, s8, v4
.LBB20_65:
	s_or_b64 exec, exec, s[10:11]
.LBB20_66:
	s_or_b64 exec, exec, s[6:7]
	s_mov_b64 s[6:7], 0
	global_store_byte v[2:3], v5, off
.LBB20_67:
	s_and_b64 vcc, exec, s[6:7]
	s_cbranch_vccz .LBB20_77
; %bb.68:
	v_and_b32_e32 v5, 0x7fffffff, v0
	s_mov_b32 s6, 0x43f00000
	v_cmp_gt_u32_e32 vcc, s6, v5
                                        ; implicit-def: $vgpr4
	s_and_saveexec_b64 s[6:7], vcc
	s_xor_b64 s[6:7], exec, s[6:7]
	s_cbranch_execz .LBB20_74
; %bb.69:
	s_mov_b32 s8, 0x3c7fffff
	v_cmp_lt_u32_e32 vcc, s8, v5
                                        ; implicit-def: $vgpr4
	s_and_saveexec_b64 s[8:9], vcc
	s_xor_b64 s[8:9], exec, s[8:9]
; %bb.70:
	v_bfe_u32 v4, v0, 20, 1
	s_mov_b32 s10, 0x407ffff
	v_add3_u32 v4, v0, v4, s10
	v_lshrrev_b32_e32 v5, 20, v4
	v_and_b32_e32 v4, 0xff00000, v4
	s_mov_b32 s10, 0x7f00000
	v_mov_b32_e32 v6, 0x7e
	v_cmp_ne_u32_e32 vcc, s10, v4
	v_cndmask_b32_e32 v4, v6, v5, vcc
; %bb.71:
	s_andn2_saveexec_b64 s[8:9], s[8:9]
; %bb.72:
	s_mov_b32 s10, 0x46800000
	v_add_f32_e64 v4, |v0|, s10
; %bb.73:
	s_or_b64 exec, exec, s[8:9]
                                        ; implicit-def: $vgpr5
.LBB20_74:
	s_andn2_saveexec_b64 s[6:7], s[6:7]
; %bb.75:
	s_mov_b32 s8, 0x7f800000
	v_mov_b32_e32 v4, 0x7e
	v_mov_b32_e32 v6, 0x7f
	v_cmp_lt_u32_e32 vcc, s8, v5
	v_cndmask_b32_e32 v4, v4, v6, vcc
; %bb.76:
	s_or_b64 exec, exec, s[6:7]
	v_lshrrev_b32_e32 v5, 24, v0
	s_movk_i32 s6, 0x80
	v_and_or_b32 v4, v5, s6, v4
	global_store_byte v[2:3], v4, off
.LBB20_77:
	s_mov_b64 s[6:7], 0
.LBB20_78:
	s_andn2_b64 vcc, exec, s[6:7]
	s_cbranch_vccnz .LBB20_88
; %bb.79:
	v_and_b32_e32 v5, 0x7fffffff, v0
	s_mov_b32 s6, 0x47800000
	v_cmp_gt_u32_e32 vcc, s6, v5
                                        ; implicit-def: $vgpr4
	s_and_saveexec_b64 s[6:7], vcc
	s_xor_b64 s[6:7], exec, s[6:7]
	s_cbranch_execz .LBB20_85
; %bb.80:
	s_mov_b32 s8, 0x387fffff
	v_cmp_lt_u32_e32 vcc, s8, v5
                                        ; implicit-def: $vgpr4
	s_and_saveexec_b64 s[8:9], vcc
	s_xor_b64 s[8:9], exec, s[8:9]
; %bb.81:
	v_bfe_u32 v4, v0, 21, 1
	s_mov_b32 s10, 0x80fffff
	v_add3_u32 v4, v0, v4, s10
	v_lshrrev_b32_e32 v4, 21, v4
; %bb.82:
	s_andn2_saveexec_b64 s[8:9], s[8:9]
; %bb.83:
	s_mov_b32 s10, 0x43000000
	v_add_f32_e64 v4, |v0|, s10
; %bb.84:
	s_or_b64 exec, exec, s[8:9]
                                        ; implicit-def: $vgpr5
.LBB20_85:
	s_andn2_saveexec_b64 s[6:7], s[6:7]
; %bb.86:
	s_mov_b32 s8, 0x7f800000
	v_mov_b32_e32 v4, 0x7c
	v_mov_b32_e32 v6, 0x7f
	v_cmp_lt_u32_e32 vcc, s8, v5
	v_cndmask_b32_e32 v4, v4, v6, vcc
; %bb.87:
	s_or_b64 exec, exec, s[6:7]
	v_lshrrev_b32_e32 v5, 24, v0
	s_movk_i32 s6, 0x80
	v_and_or_b32 v4, v5, s6, v4
	global_store_byte v[2:3], v4, off
.LBB20_88:
	s_mov_b64 s[8:9], 0
	s_mov_b64 s[6:7], -1
.LBB20_89:
	s_andn2_b64 vcc, exec, s[8:9]
	s_cbranch_vccnz .LBB20_97
; %bb.90:
	s_cmp_gt_i32 s13, 14
	s_mov_b64 s[8:9], -1
	s_cbranch_scc0 .LBB20_94
; %bb.91:
	s_cmp_eq_u32 s13, 15
	s_mov_b64 s[4:5], -1
	s_cbranch_scc0 .LBB20_93
; %bb.92:
	v_bfe_u32 v4, v0, 16, 1
	s_movk_i32 s4, 0x7fff
	v_add3_u32 v4, v0, v4, s4
	v_cmp_o_f32_e32 vcc, v0, v0
	v_mov_b32_e32 v5, 0x7fc0
	v_cndmask_b32_sdwa v4, v5, v4, vcc dst_sel:DWORD dst_unused:UNUSED_PAD src0_sel:DWORD src1_sel:WORD_1
	global_store_short v[2:3], v4, off
	s_mov_b64 s[6:7], -1
	s_mov_b64 s[4:5], 0
.LBB20_93:
	s_mov_b64 s[8:9], 0
.LBB20_94:
	s_and_b64 vcc, exec, s[8:9]
	s_cbranch_vccz .LBB20_97
; %bb.95:
	s_cmp_eq_u32 s13, 11
	s_mov_b64 s[4:5], -1
	s_cbranch_scc0 .LBB20_97
; %bb.96:
	v_or_b32_e32 v4, v0, v1
	v_and_b32_e32 v4, 0x7fffffff, v4
	v_cmp_ne_u32_e32 vcc, 0, v4
	v_cndmask_b32_e64 v4, 0, 1, vcc
	s_mov_b64 s[6:7], -1
	s_mov_b64 s[4:5], 0
	global_store_byte v[2:3], v4, off
.LBB20_97:
	s_branch .LBB20_24
.LBB20_98:
	s_and_b32 s8, 0xffff, s12
	s_cmp_lt_i32 s8, 5
	s_mov_b64 s[6:7], -1
	s_cbranch_scc1 .LBB20_119
; %bb.99:
	s_cmp_lt_i32 s8, 8
	s_cbranch_scc1 .LBB20_109
; %bb.100:
	s_cmp_lt_i32 s8, 9
	s_cbranch_scc1 .LBB20_106
; %bb.101:
	s_cmp_gt_i32 s8, 9
	s_cbranch_scc0 .LBB20_103
; %bb.102:
	v_cvt_f64_f32_e32 v[4:5], v0
	v_cvt_f64_f32_e32 v[6:7], v1
	s_mov_b64 s[6:7], 0
	global_store_dwordx4 v[2:3], v[4:7], off
.LBB20_103:
	s_andn2_b64 vcc, exec, s[6:7]
	s_cbranch_vccnz .LBB20_105
; %bb.104:
	global_store_dwordx2 v[2:3], v[0:1], off
.LBB20_105:
	s_mov_b64 s[6:7], 0
.LBB20_106:
	s_andn2_b64 vcc, exec, s[6:7]
	s_cbranch_vccnz .LBB20_108
; %bb.107:
	v_cvt_f16_f32_e32 v4, v0
	v_cvt_f16_f32_sdwa v1, v1 dst_sel:WORD_1 dst_unused:UNUSED_PAD src0_sel:DWORD
	v_or_b32_e32 v1, v1, v4
	global_store_dword v[2:3], v1, off
.LBB20_108:
	s_mov_b64 s[6:7], 0
.LBB20_109:
	s_andn2_b64 vcc, exec, s[6:7]
	s_cbranch_vccnz .LBB20_118
; %bb.110:
	s_cmp_lt_i32 s8, 6
	s_mov_b64 s[6:7], -1
	s_cbranch_scc1 .LBB20_116
; %bb.111:
	s_cmp_gt_i32 s8, 6
	s_cbranch_scc0 .LBB20_113
; %bb.112:
	v_cvt_f64_f32_e32 v[4:5], v0
	s_mov_b64 s[6:7], 0
	global_store_dwordx2 v[2:3], v[4:5], off
.LBB20_113:
	s_andn2_b64 vcc, exec, s[6:7]
	s_cbranch_vccnz .LBB20_115
; %bb.114:
	global_store_dword v[2:3], v0, off
.LBB20_115:
	s_mov_b64 s[6:7], 0
.LBB20_116:
	s_andn2_b64 vcc, exec, s[6:7]
	s_cbranch_vccnz .LBB20_118
; %bb.117:
	v_cvt_f16_f32_e32 v1, v0
	global_store_short v[2:3], v1, off
.LBB20_118:
	s_mov_b64 s[6:7], 0
.LBB20_119:
	s_andn2_b64 vcc, exec, s[6:7]
	s_cbranch_vccnz .LBB20_135
; %bb.120:
	s_cmp_lt_i32 s8, 2
	s_mov_b64 s[6:7], -1
	s_cbranch_scc1 .LBB20_130
; %bb.121:
	s_cmp_lt_i32 s8, 3
	s_cbranch_scc1 .LBB20_127
; %bb.122:
	s_cmp_gt_i32 s8, 3
	s_cbranch_scc0 .LBB20_124
; %bb.123:
	v_trunc_f32_e32 v1, v0
	s_mov_b32 s6, 0x2f800000
	v_mul_f32_e64 v4, |v1|, s6
	v_floor_f32_e32 v4, v4
	s_mov_b32 s6, 0xcf800000
	v_cvt_u32_f32_e32 v5, v4
	v_fma_f32 v4, v4, s6, |v1|
	v_cvt_u32_f32_e32 v4, v4
	v_ashrrev_i32_e32 v1, 31, v1
	v_xor_b32_e32 v5, v5, v1
	s_mov_b64 s[6:7], 0
	v_xor_b32_e32 v4, v4, v1
	v_sub_co_u32_e32 v4, vcc, v4, v1
	v_subb_co_u32_e32 v5, vcc, v5, v1, vcc
	global_store_dwordx2 v[2:3], v[4:5], off
.LBB20_124:
	s_andn2_b64 vcc, exec, s[6:7]
	s_cbranch_vccnz .LBB20_126
; %bb.125:
	v_cvt_i32_f32_e32 v1, v0
	global_store_dword v[2:3], v1, off
.LBB20_126:
	s_mov_b64 s[6:7], 0
.LBB20_127:
	s_andn2_b64 vcc, exec, s[6:7]
	s_cbranch_vccnz .LBB20_129
; %bb.128:
	v_cvt_i32_f32_e32 v1, v0
	global_store_short v[2:3], v1, off
.LBB20_129:
	s_mov_b64 s[6:7], 0
.LBB20_130:
	s_andn2_b64 vcc, exec, s[6:7]
	s_cbranch_vccnz .LBB20_135
; %bb.131:
	s_cmp_gt_i32 s8, 0
	s_mov_b64 s[6:7], -1
	s_cbranch_scc0 .LBB20_133
; %bb.132:
	v_cvt_i32_f32_e32 v1, v0
	s_mov_b64 s[6:7], 0
	global_store_byte v[2:3], v1, off
.LBB20_133:
	s_andn2_b64 vcc, exec, s[6:7]
	s_cbranch_vccnz .LBB20_135
; %bb.134:
	v_trunc_f32_e32 v0, v0
	s_mov_b32 s6, 0x2f800000
	v_mul_f32_e64 v1, |v0|, s6
	v_floor_f32_e32 v1, v1
	s_mov_b32 s6, 0xcf800000
	v_fma_f32 v1, v1, s6, |v0|
	v_cvt_u32_f32_e32 v1, v1
	v_ashrrev_i32_e32 v0, 31, v0
	v_xor_b32_e32 v1, v1, v0
	v_sub_u32_e32 v0, v1, v0
	global_store_byte v[2:3], v0, off
.LBB20_135:
	s_branch .LBB20_25
.LBB20_136:
	s_mov_b64 s[6:7], 0
                                        ; implicit-def: $vgpr23
.LBB20_137:
	s_and_b64 s[62:63], s[4:5], exec
	s_orn2_b64 s[4:5], s[6:7], exec
.LBB20_138:
	s_or_b64 exec, exec, s[64:65]
	s_mov_b64 s[6:7], 0
                                        ; implicit-def: $sgpr14
                                        ; implicit-def: $vgpr2_vgpr3
                                        ; implicit-def: $vgpr0
	s_and_saveexec_b64 s[64:65], s[4:5]
	s_cbranch_execz .LBB20_145
; %bb.139:
	v_cmp_gt_i32_e32 vcc, s74, v23
	s_mov_b64 s[8:9], -1
	s_mov_b64 s[66:67], s[62:63]
	s_and_saveexec_b64 s[68:69], vcc
	s_cbranch_execz .LBB20_284
; %bb.140:
	s_andn2_b64 vcc, exec, s[50:51]
	s_cbranch_vccnz .LBB20_148
; %bb.141:
	s_andn2_b64 vcc, exec, s[60:61]
	s_cbranch_vccnz .LBB20_149
; %bb.142:
	s_add_i32 s31, s78, 1
	s_cmp_eq_u32 s76, 2
	s_cbranch_scc1 .LBB20_150
; %bb.143:
	s_and_b32 s30, s31, 28
	v_mov_b32_e32 v2, 0
	s_mov_b32 s66, 0
	s_mov_b64 s[24:25], s[34:35]
	s_mov_b64 s[26:27], s[58:59]
	v_mov_b32_e32 v21, 0
	v_mov_b32_e32 v0, v23
.LBB20_144:                             ; =>This Inner Loop Header: Depth=1
	s_load_dwordx8 s[12:19], s[24:25], 0x4
	s_load_dwordx4 s[20:23], s[24:25], 0x24
	s_load_dwordx8 s[4:11], s[26:27], 0x0
	s_add_u32 s24, s24, 48
	s_addc_u32 s25, s25, 0
	s_waitcnt lgkmcnt(0)
	v_mul_hi_u32 v1, s13, v0
	s_add_i32 s66, s66, 4
	s_add_u32 s26, s26, 32
	s_addc_u32 s27, s27, 0
	v_add_u32_e32 v1, v0, v1
	v_lshrrev_b32_e32 v1, s14, v1
	v_mul_lo_u32 v3, v1, s12
	v_mul_hi_u32 v4, s16, v1
	s_cmp_eq_u32 s30, s66
	v_sub_u32_e32 v0, v0, v3
	v_add_u32_e32 v3, v1, v4
	v_mul_lo_u32 v4, v0, s4
	v_mul_lo_u32 v5, v0, s5
	v_lshrrev_b32_e32 v0, s17, v3
	v_mul_lo_u32 v3, v0, s15
	v_mul_hi_u32 v6, s19, v0
	v_sub_u32_e32 v1, v1, v3
	v_add_u32_e32 v3, v0, v6
	v_lshrrev_b32_e32 v3, s20, v3
	v_mul_hi_u32 v7, s22, v3
	v_mul_lo_u32 v8, v3, s18
	v_mul_lo_u32 v6, v1, s6
	;; [unrolled: 1-line block ×3, first 2 shown]
	v_sub_u32_e32 v8, v0, v8
	v_add_u32_e32 v0, v3, v7
	v_lshrrev_b32_e32 v0, s23, v0
	v_mul_lo_u32 v7, v0, s21
	v_mul_lo_u32 v9, v8, s8
	;; [unrolled: 1-line block ×3, first 2 shown]
	v_add3_u32 v4, v4, v21, v6
	v_sub_u32_e32 v3, v3, v7
	v_mul_lo_u32 v7, v3, s10
	v_mul_lo_u32 v3, v3, s11
	v_add3_u32 v1, v5, v2, v1
	v_add3_u32 v21, v9, v4, v7
	;; [unrolled: 1-line block ×3, first 2 shown]
	s_cbranch_scc0 .LBB20_144
	s_branch .LBB20_151
.LBB20_145:
	s_or_b64 exec, exec, s[64:65]
	s_mov_b64 s[4:5], 0
	s_and_saveexec_b64 s[8:9], s[62:63]
	s_cbranch_execnz .LBB20_526
.LBB20_146:
	s_or_b64 exec, exec, s[8:9]
	s_and_saveexec_b64 s[8:9], s[68:69]
	s_xor_b64 s[8:9], exec, s[8:9]
	s_cbranch_execz .LBB20_527
.LBB20_147:
	v_or_b32_e32 v4, v0, v1
	v_and_b32_e32 v4, 0x7fffffff, v4
	v_cmp_ne_u32_e32 vcc, 0, v4
	v_cndmask_b32_e64 v4, 0, 1, vcc
	global_store_byte v[2:3], v4, off
	s_or_b64 exec, exec, s[8:9]
	s_and_saveexec_b64 s[8:9], s[6:7]
	s_xor_b64 s[6:7], exec, s[8:9]
	s_cbranch_execz .LBB20_565
	s_branch .LBB20_528
.LBB20_148:
                                        ; implicit-def: $vgpr21
                                        ; implicit-def: $vgpr2
	s_branch .LBB20_155
.LBB20_149:
	v_mov_b32_e32 v21, 0
	v_mov_b32_e32 v2, 0
	s_branch .LBB20_154
.LBB20_150:
	s_mov_b32 s30, 0
	v_mov_b32_e32 v21, 0
	v_mov_b32_e32 v2, 0
	;; [unrolled: 1-line block ×3, first 2 shown]
.LBB20_151:
	s_and_b32 s8, s31, 3
	s_cmp_eq_u32 s8, 0
	s_cbranch_scc1 .LBB20_154
; %bb.152:
	s_lshl_b32 s4, s30, 3
	s_add_u32 s4, s34, s4
	s_addc_u32 s5, s35, 0
	s_add_u32 s4, s4, 0xc4
	s_addc_u32 s5, s5, 0
	s_mul_i32 s6, s30, 12
	s_add_u32 s6, s34, s6
	s_addc_u32 s7, s35, 0
.LBB20_153:                             ; =>This Inner Loop Header: Depth=1
	s_load_dwordx2 s[10:11], s[6:7], 0x4
	s_load_dword s9, s[6:7], 0xc
	s_load_dwordx2 s[12:13], s[4:5], 0x0
	s_add_u32 s6, s6, 12
	s_addc_u32 s7, s7, 0
	s_waitcnt lgkmcnt(0)
	v_mul_hi_u32 v1, s11, v0
	s_add_u32 s4, s4, 8
	s_addc_u32 s5, s5, 0
	s_add_i32 s8, s8, -1
	v_add_u32_e32 v1, v0, v1
	v_lshrrev_b32_e32 v1, s9, v1
	v_mul_lo_u32 v3, v1, s10
	s_cmp_lg_u32 s8, 0
	v_sub_u32_e32 v0, v0, v3
	v_mad_u64_u32 v[21:22], s[10:11], v0, s12, v[21:22]
	v_mad_u64_u32 v[2:3], s[10:11], v0, s13, v[2:3]
	v_mov_b32_e32 v0, v1
	s_cbranch_scc1 .LBB20_153
.LBB20_154:
	s_cbranch_execnz .LBB20_157
.LBB20_155:
	s_waitcnt lgkmcnt(0)
	v_mul_hi_u32 v0, s45, v23
	s_andn2_b64 vcc, exec, s[56:57]
	v_add_u32_e32 v0, v23, v0
	v_lshrrev_b32_e32 v0, s46, v0
	v_mul_lo_u32 v1, v0, s44
	v_sub_u32_e32 v1, v23, v1
	v_mul_lo_u32 v21, v1, s40
	v_mul_lo_u32 v2, v1, s41
	s_cbranch_vccnz .LBB20_157
; %bb.156:
	v_mul_hi_u32 v1, s54, v0
	v_add_u32_e32 v1, v0, v1
	v_lshrrev_b32_e32 v1, s55, v1
	v_mul_lo_u32 v1, v1, s47
	v_sub_u32_e32 v0, v0, v1
	v_mad_u64_u32 v[21:22], s[4:5], v0, s42, v[21:22]
	v_mad_u64_u32 v[2:3], s[4:5], v0, s43, v[2:3]
.LBB20_157:
	s_getpc_b64 s[4:5]
	s_add_u32 s4, s4, _ZN2at6native6invokeIZZZNS0_16asin_kernel_cudaERNS_18TensorIteratorBaseEENKUlvE_clEvENKUlvE0_clEvEUlN3c107complexIfEEE_j15function_traitsIS9_EEENT1_11result_typeERKT_PrKPcPKT0_PKNS6_10ScalarTypeEi@rel32@lo+4
	s_addc_u32 s5, s5, _ZN2at6native6invokeIZZZNS0_16asin_kernel_cudaERNS_18TensorIteratorBaseEENKUlvE_clEvENKUlvE0_clEvEUlN3c107complexIfEEE_j15function_traitsIS9_EEENT1_11result_typeERKT_PrKPcPKT0_PKNS6_10ScalarTypeEi@rel32@hi+12
	s_waitcnt lgkmcnt(0)
	v_mov_b32_e32 v0, s38
	v_mov_b32_e32 v1, s39
	;; [unrolled: 1-line block ×3, first 2 shown]
	s_swappc_b64 s[30:31], s[4:5]
	v_mov_b32_e32 v3, s37
	s_and_b32 s12, s77, 0xff
	v_add_co_u32_e32 v2, vcc, s36, v21
	s_cmp_lt_i32 s12, 11
	v_addc_co_u32_e32 v3, vcc, 0, v3, vcc
	s_cbranch_scc1 .LBB20_164
; %bb.158:
	s_and_b32 s13, 0xffff, s12
	s_cmp_gt_i32 s13, 25
	s_cbranch_scc0 .LBB20_167
; %bb.159:
	s_cmp_gt_i32 s13, 28
	s_cbranch_scc0 .LBB20_168
; %bb.160:
	;; [unrolled: 3-line block ×4, first 2 shown]
	s_mov_b64 s[8:9], 0
	s_mov_b64 s[4:5], -1
	s_cmp_eq_u32 s13, 46
	s_mov_b64 s[6:7], 0
	s_cbranch_scc0 .LBB20_175
; %bb.163:
	s_movk_i32 s4, 0x7fff
	v_bfe_u32 v5, v1, 16, 1
	v_add3_u32 v5, v1, v5, s4
	v_bfe_u32 v4, v0, 16, 1
	v_and_b32_e32 v5, 0xffff0000, v5
	v_mov_b32_e32 v6, 0x7fc00000
	v_cmp_o_f32_e32 vcc, v1, v1
	v_add3_u32 v4, v0, v4, s4
	v_cndmask_b32_e32 v5, v6, v5, vcc
	v_cmp_o_f32_e32 vcc, v0, v0
	v_mov_b32_e32 v6, 0x7fc0
	v_cndmask_b32_sdwa v4, v6, v4, vcc dst_sel:DWORD dst_unused:UNUSED_PAD src0_sel:DWORD src1_sel:WORD_1
	v_or_b32_e32 v4, v5, v4
	global_store_dword v[2:3], v4, off
	s_mov_b64 s[6:7], -1
	s_mov_b64 s[4:5], 0
	s_branch .LBB20_175
.LBB20_164:
	s_mov_b64 s[6:7], 0
	s_mov_b64 s[4:5], s[62:63]
	s_cbranch_execnz .LBB20_244
.LBB20_165:
	s_andn2_b64 vcc, exec, s[6:7]
	s_cbranch_vccnz .LBB20_282
.LBB20_166:
	v_add_u32_e32 v23, 0x80, v23
	s_mov_b64 s[6:7], -1
	s_branch .LBB20_283
.LBB20_167:
	s_mov_b64 s[8:9], -1
	s_mov_b64 s[6:7], 0
	s_mov_b64 s[4:5], s[62:63]
	s_branch .LBB20_202
.LBB20_168:
	s_mov_b64 s[8:9], -1
	s_mov_b64 s[6:7], 0
	s_mov_b64 s[4:5], s[62:63]
	s_branch .LBB20_185
.LBB20_169:
	s_andn2_saveexec_b64 s[10:11], s[10:11]
	s_cbranch_execz .LBB20_51
.LBB20_170:
	s_mov_b32 s14, 0x46000000
	v_add_f32_e64 v4, |v0|, s14
	v_and_b32_e32 v4, 0xff, v4
	v_cmp_ne_u32_e32 vcc, 0, v4
	s_andn2_b64 s[8:9], s[8:9], exec
	s_and_b64 s[14:15], vcc, exec
	s_or_b64 s[8:9], s[8:9], s[14:15]
	s_or_b64 exec, exec, s[10:11]
	v_mov_b32_e32 v5, 0
	s_and_saveexec_b64 s[10:11], s[8:9]
	s_cbranch_execnz .LBB20_52
	s_branch .LBB20_53
.LBB20_171:
	s_mov_b64 s[8:9], -1
	s_mov_b64 s[6:7], 0
	s_mov_b64 s[4:5], s[62:63]
	s_branch .LBB20_181
.LBB20_172:
	s_andn2_saveexec_b64 s[10:11], s[10:11]
	s_cbranch_execz .LBB20_63
.LBB20_173:
	s_mov_b32 s14, 0x42800000
	v_add_f32_e64 v4, |v0|, s14
	v_and_b32_e32 v4, 0xff, v4
	v_cmp_ne_u32_e32 vcc, 0, v4
	s_andn2_b64 s[8:9], s[8:9], exec
	s_and_b64 s[14:15], vcc, exec
	s_or_b64 s[8:9], s[8:9], s[14:15]
	s_or_b64 exec, exec, s[10:11]
	v_mov_b32_e32 v5, 0
	s_and_saveexec_b64 s[10:11], s[8:9]
	s_cbranch_execnz .LBB20_64
	s_branch .LBB20_65
.LBB20_174:
	s_mov_b64 s[8:9], -1
	s_mov_b64 s[6:7], 0
	s_mov_b64 s[4:5], s[62:63]
.LBB20_175:
	s_and_b64 vcc, exec, s[8:9]
	s_cbranch_vccz .LBB20_180
; %bb.176:
	s_cmp_eq_u32 s13, 44
	s_mov_b64 s[4:5], -1
	s_cbranch_scc0 .LBB20_180
; %bb.177:
	v_bfe_u32 v4, v0, 23, 8
	s_movk_i32 s4, 0xff
	v_cmp_ne_u32_e32 vcc, s4, v4
	v_mov_b32_e32 v5, 0xff
	s_and_saveexec_b64 s[6:7], vcc
; %bb.178:
	s_mov_b32 s4, 0x3fffff
	v_and_b32_e32 v6, 0x400000, v0
	v_and_or_b32 v4, v0, s4, v4
	v_cmp_ne_u32_e32 vcc, 0, v6
	v_cmp_ne_u32_e64 s[4:5], 0, v4
	s_and_b64 s[4:5], vcc, s[4:5]
	v_lshrrev_b32_e32 v5, 23, v0
	v_cndmask_b32_e64 v4, 0, 1, s[4:5]
	v_add_u32_e32 v5, v5, v4
; %bb.179:
	s_or_b64 exec, exec, s[6:7]
	s_mov_b64 s[6:7], -1
	s_mov_b64 s[4:5], 0
	global_store_byte v[2:3], v5, off
.LBB20_180:
	s_mov_b64 s[8:9], 0
.LBB20_181:
	s_and_b64 vcc, exec, s[8:9]
	s_cbranch_vccz .LBB20_184
; %bb.182:
	s_cmp_eq_u32 s13, 29
	s_mov_b64 s[4:5], -1
	s_cbranch_scc0 .LBB20_184
; %bb.183:
	v_trunc_f32_e32 v4, v0
	v_mul_f32_e32 v5, 0x2f800000, v4
	v_floor_f32_e32 v6, v5
	v_fmac_f32_e32 v4, 0xcf800000, v6
	v_cvt_u32_f32_e32 v5, v6
	v_cvt_u32_f32_e32 v4, v4
	s_mov_b64 s[6:7], -1
	s_mov_b64 s[4:5], 0
	s_mov_b64 s[8:9], 0
	global_store_dwordx2 v[2:3], v[4:5], off
	s_branch .LBB20_185
.LBB20_184:
	s_mov_b64 s[8:9], 0
.LBB20_185:
	s_and_b64 vcc, exec, s[8:9]
	s_cbranch_vccz .LBB20_201
; %bb.186:
	s_cmp_lt_i32 s13, 27
	s_mov_b64 s[6:7], -1
	s_cbranch_scc1 .LBB20_192
; %bb.187:
	v_cvt_u32_f32_e32 v4, v0
	s_cmp_gt_i32 s13, 27
	s_cbranch_scc0 .LBB20_189
; %bb.188:
	s_mov_b64 s[6:7], 0
	global_store_dword v[2:3], v4, off
.LBB20_189:
	s_andn2_b64 vcc, exec, s[6:7]
	s_cbranch_vccnz .LBB20_191
; %bb.190:
	global_store_short v[2:3], v4, off
.LBB20_191:
	s_mov_b64 s[6:7], 0
.LBB20_192:
	s_andn2_b64 vcc, exec, s[6:7]
	s_cbranch_vccnz .LBB20_200
; %bb.193:
	v_and_b32_e32 v4, 0x7fffffff, v0
	s_mov_b32 s6, 0x43800000
	v_cmp_gt_u32_e32 vcc, s6, v4
	v_mov_b32_e32 v5, 0x80
	s_and_saveexec_b64 s[6:7], vcc
	s_cbranch_execz .LBB20_199
; %bb.194:
	s_mov_b32 s8, 0x3bffffff
	v_cmp_lt_u32_e32 vcc, s8, v4
	s_mov_b64 s[8:9], 0
                                        ; implicit-def: $vgpr4
	s_and_saveexec_b64 s[10:11], vcc
	s_xor_b64 s[10:11], exec, s[10:11]
	s_cbranch_execz .LBB20_311
; %bb.195:
	v_bfe_u32 v4, v0, 20, 1
	s_mov_b32 s14, 0x487ffff
	v_add3_u32 v4, v0, v4, s14
	s_mov_b64 s[8:9], exec
	v_lshrrev_b32_e32 v4, 20, v4
	s_andn2_saveexec_b64 s[10:11], s[10:11]
	s_cbranch_execnz .LBB20_312
.LBB20_196:
	s_or_b64 exec, exec, s[10:11]
	v_mov_b32_e32 v5, 0
	s_and_saveexec_b64 s[10:11], s[8:9]
.LBB20_197:
	v_lshrrev_b32_e32 v5, 24, v0
	s_movk_i32 s8, 0x80
	v_and_or_b32 v5, v5, s8, v4
.LBB20_198:
	s_or_b64 exec, exec, s[10:11]
.LBB20_199:
	s_or_b64 exec, exec, s[6:7]
	global_store_byte v[2:3], v5, off
.LBB20_200:
	s_mov_b64 s[6:7], -1
.LBB20_201:
	s_mov_b64 s[8:9], 0
.LBB20_202:
	s_and_b64 vcc, exec, s[8:9]
	s_cbranch_vccz .LBB20_243
; %bb.203:
	s_cmp_gt_i32 s13, 22
	s_mov_b64 s[8:9], -1
	s_cbranch_scc0 .LBB20_235
; %bb.204:
	s_cmp_lt_i32 s13, 24
	s_mov_b64 s[6:7], -1
	s_cbranch_scc1 .LBB20_224
; %bb.205:
	s_cmp_gt_i32 s13, 24
	s_cbranch_scc0 .LBB20_213
; %bb.206:
	v_and_b32_e32 v4, 0x7fffffff, v0
	s_mov_b32 s6, 0x47800000
	v_cmp_gt_u32_e32 vcc, s6, v4
	v_mov_b32_e32 v5, 0x80
	s_and_saveexec_b64 s[6:7], vcc
	s_cbranch_execz .LBB20_212
; %bb.207:
	s_mov_b32 s8, 0x37ffffff
	v_cmp_lt_u32_e32 vcc, s8, v4
	s_mov_b64 s[8:9], 0
                                        ; implicit-def: $vgpr4
	s_and_saveexec_b64 s[10:11], vcc
	s_xor_b64 s[10:11], exec, s[10:11]
	s_cbranch_execz .LBB20_314
; %bb.208:
	v_bfe_u32 v4, v0, 21, 1
	s_mov_b32 s14, 0x88fffff
	v_add3_u32 v4, v0, v4, s14
	s_mov_b64 s[8:9], exec
	v_lshrrev_b32_e32 v4, 21, v4
	s_andn2_saveexec_b64 s[10:11], s[10:11]
	s_cbranch_execnz .LBB20_315
.LBB20_209:
	s_or_b64 exec, exec, s[10:11]
	v_mov_b32_e32 v5, 0
	s_and_saveexec_b64 s[10:11], s[8:9]
.LBB20_210:
	v_lshrrev_b32_e32 v5, 24, v0
	s_movk_i32 s8, 0x80
	v_and_or_b32 v5, v5, s8, v4
.LBB20_211:
	s_or_b64 exec, exec, s[10:11]
.LBB20_212:
	s_or_b64 exec, exec, s[6:7]
	s_mov_b64 s[6:7], 0
	global_store_byte v[2:3], v5, off
.LBB20_213:
	s_and_b64 vcc, exec, s[6:7]
	s_cbranch_vccz .LBB20_223
; %bb.214:
	v_and_b32_e32 v5, 0x7fffffff, v0
	s_mov_b32 s6, 0x43f00000
	v_cmp_gt_u32_e32 vcc, s6, v5
                                        ; implicit-def: $vgpr4
	s_and_saveexec_b64 s[6:7], vcc
	s_xor_b64 s[6:7], exec, s[6:7]
	s_cbranch_execz .LBB20_220
; %bb.215:
	s_mov_b32 s8, 0x3c7fffff
	v_cmp_lt_u32_e32 vcc, s8, v5
                                        ; implicit-def: $vgpr4
	s_and_saveexec_b64 s[8:9], vcc
	s_xor_b64 s[8:9], exec, s[8:9]
; %bb.216:
	v_bfe_u32 v4, v0, 20, 1
	s_mov_b32 s10, 0x407ffff
	v_add3_u32 v4, v0, v4, s10
	v_lshrrev_b32_e32 v5, 20, v4
	v_and_b32_e32 v4, 0xff00000, v4
	s_mov_b32 s10, 0x7f00000
	v_mov_b32_e32 v6, 0x7e
	v_cmp_ne_u32_e32 vcc, s10, v4
	v_cndmask_b32_e32 v4, v6, v5, vcc
; %bb.217:
	s_andn2_saveexec_b64 s[8:9], s[8:9]
; %bb.218:
	s_mov_b32 s10, 0x46800000
	v_add_f32_e64 v4, |v0|, s10
; %bb.219:
	s_or_b64 exec, exec, s[8:9]
                                        ; implicit-def: $vgpr5
.LBB20_220:
	s_andn2_saveexec_b64 s[6:7], s[6:7]
; %bb.221:
	s_mov_b32 s8, 0x7f800000
	v_mov_b32_e32 v4, 0x7e
	v_mov_b32_e32 v6, 0x7f
	v_cmp_lt_u32_e32 vcc, s8, v5
	v_cndmask_b32_e32 v4, v4, v6, vcc
; %bb.222:
	s_or_b64 exec, exec, s[6:7]
	v_lshrrev_b32_e32 v5, 24, v0
	s_movk_i32 s6, 0x80
	v_and_or_b32 v4, v5, s6, v4
	global_store_byte v[2:3], v4, off
.LBB20_223:
	s_mov_b64 s[6:7], 0
.LBB20_224:
	s_andn2_b64 vcc, exec, s[6:7]
	s_cbranch_vccnz .LBB20_234
; %bb.225:
	v_and_b32_e32 v5, 0x7fffffff, v0
	s_mov_b32 s6, 0x47800000
	v_cmp_gt_u32_e32 vcc, s6, v5
                                        ; implicit-def: $vgpr4
	s_and_saveexec_b64 s[6:7], vcc
	s_xor_b64 s[6:7], exec, s[6:7]
	s_cbranch_execz .LBB20_231
; %bb.226:
	s_mov_b32 s8, 0x387fffff
	v_cmp_lt_u32_e32 vcc, s8, v5
                                        ; implicit-def: $vgpr4
	s_and_saveexec_b64 s[8:9], vcc
	s_xor_b64 s[8:9], exec, s[8:9]
; %bb.227:
	v_bfe_u32 v4, v0, 21, 1
	s_mov_b32 s10, 0x80fffff
	v_add3_u32 v4, v0, v4, s10
	v_lshrrev_b32_e32 v4, 21, v4
; %bb.228:
	s_andn2_saveexec_b64 s[8:9], s[8:9]
; %bb.229:
	s_mov_b32 s10, 0x43000000
	v_add_f32_e64 v4, |v0|, s10
; %bb.230:
	s_or_b64 exec, exec, s[8:9]
                                        ; implicit-def: $vgpr5
.LBB20_231:
	s_andn2_saveexec_b64 s[6:7], s[6:7]
; %bb.232:
	s_mov_b32 s8, 0x7f800000
	v_mov_b32_e32 v4, 0x7c
	v_mov_b32_e32 v6, 0x7f
	v_cmp_lt_u32_e32 vcc, s8, v5
	v_cndmask_b32_e32 v4, v4, v6, vcc
; %bb.233:
	s_or_b64 exec, exec, s[6:7]
	v_lshrrev_b32_e32 v5, 24, v0
	s_movk_i32 s6, 0x80
	v_and_or_b32 v4, v5, s6, v4
	global_store_byte v[2:3], v4, off
.LBB20_234:
	s_mov_b64 s[8:9], 0
	s_mov_b64 s[6:7], -1
.LBB20_235:
	s_andn2_b64 vcc, exec, s[8:9]
	s_cbranch_vccnz .LBB20_243
; %bb.236:
	s_cmp_gt_i32 s13, 14
	s_mov_b64 s[8:9], -1
	s_cbranch_scc0 .LBB20_240
; %bb.237:
	s_cmp_eq_u32 s13, 15
	s_mov_b64 s[4:5], -1
	s_cbranch_scc0 .LBB20_239
; %bb.238:
	v_bfe_u32 v4, v0, 16, 1
	s_movk_i32 s4, 0x7fff
	v_add3_u32 v4, v0, v4, s4
	v_cmp_o_f32_e32 vcc, v0, v0
	v_mov_b32_e32 v5, 0x7fc0
	v_cndmask_b32_sdwa v4, v5, v4, vcc dst_sel:DWORD dst_unused:UNUSED_PAD src0_sel:DWORD src1_sel:WORD_1
	global_store_short v[2:3], v4, off
	s_mov_b64 s[6:7], -1
	s_mov_b64 s[4:5], 0
.LBB20_239:
	s_mov_b64 s[8:9], 0
.LBB20_240:
	s_and_b64 vcc, exec, s[8:9]
	s_cbranch_vccz .LBB20_243
; %bb.241:
	s_cmp_eq_u32 s13, 11
	s_mov_b64 s[4:5], -1
	s_cbranch_scc0 .LBB20_243
; %bb.242:
	v_or_b32_e32 v4, v0, v1
	v_and_b32_e32 v4, 0x7fffffff, v4
	v_cmp_ne_u32_e32 vcc, 0, v4
	v_cndmask_b32_e64 v4, 0, 1, vcc
	s_mov_b64 s[6:7], -1
	s_mov_b64 s[4:5], 0
	global_store_byte v[2:3], v4, off
.LBB20_243:
	s_branch .LBB20_165
.LBB20_244:
	s_and_b32 s8, 0xffff, s12
	s_cmp_lt_i32 s8, 5
	s_mov_b64 s[6:7], -1
	s_cbranch_scc1 .LBB20_265
; %bb.245:
	s_cmp_lt_i32 s8, 8
	s_cbranch_scc1 .LBB20_255
; %bb.246:
	s_cmp_lt_i32 s8, 9
	s_cbranch_scc1 .LBB20_252
; %bb.247:
	s_cmp_gt_i32 s8, 9
	s_cbranch_scc0 .LBB20_249
; %bb.248:
	v_cvt_f64_f32_e32 v[4:5], v0
	v_cvt_f64_f32_e32 v[6:7], v1
	s_mov_b64 s[6:7], 0
	global_store_dwordx4 v[2:3], v[4:7], off
.LBB20_249:
	s_andn2_b64 vcc, exec, s[6:7]
	s_cbranch_vccnz .LBB20_251
; %bb.250:
	global_store_dwordx2 v[2:3], v[0:1], off
.LBB20_251:
	s_mov_b64 s[6:7], 0
.LBB20_252:
	s_andn2_b64 vcc, exec, s[6:7]
	s_cbranch_vccnz .LBB20_254
; %bb.253:
	v_cvt_f16_f32_e32 v4, v0
	v_cvt_f16_f32_sdwa v1, v1 dst_sel:WORD_1 dst_unused:UNUSED_PAD src0_sel:DWORD
	v_or_b32_e32 v1, v1, v4
	global_store_dword v[2:3], v1, off
.LBB20_254:
	s_mov_b64 s[6:7], 0
.LBB20_255:
	s_andn2_b64 vcc, exec, s[6:7]
	s_cbranch_vccnz .LBB20_264
; %bb.256:
	s_cmp_lt_i32 s8, 6
	s_mov_b64 s[6:7], -1
	s_cbranch_scc1 .LBB20_262
; %bb.257:
	s_cmp_gt_i32 s8, 6
	s_cbranch_scc0 .LBB20_259
; %bb.258:
	v_cvt_f64_f32_e32 v[4:5], v0
	s_mov_b64 s[6:7], 0
	global_store_dwordx2 v[2:3], v[4:5], off
.LBB20_259:
	s_andn2_b64 vcc, exec, s[6:7]
	s_cbranch_vccnz .LBB20_261
; %bb.260:
	global_store_dword v[2:3], v0, off
.LBB20_261:
	s_mov_b64 s[6:7], 0
.LBB20_262:
	s_andn2_b64 vcc, exec, s[6:7]
	s_cbranch_vccnz .LBB20_264
; %bb.263:
	v_cvt_f16_f32_e32 v1, v0
	global_store_short v[2:3], v1, off
.LBB20_264:
	s_mov_b64 s[6:7], 0
.LBB20_265:
	s_andn2_b64 vcc, exec, s[6:7]
	s_cbranch_vccnz .LBB20_281
; %bb.266:
	s_cmp_lt_i32 s8, 2
	s_mov_b64 s[6:7], -1
	s_cbranch_scc1 .LBB20_276
; %bb.267:
	s_cmp_lt_i32 s8, 3
	s_cbranch_scc1 .LBB20_273
; %bb.268:
	s_cmp_gt_i32 s8, 3
	s_cbranch_scc0 .LBB20_270
; %bb.269:
	v_trunc_f32_e32 v1, v0
	s_mov_b32 s6, 0x2f800000
	v_mul_f32_e64 v4, |v1|, s6
	v_floor_f32_e32 v4, v4
	s_mov_b32 s6, 0xcf800000
	v_cvt_u32_f32_e32 v5, v4
	v_fma_f32 v4, v4, s6, |v1|
	v_cvt_u32_f32_e32 v4, v4
	v_ashrrev_i32_e32 v1, 31, v1
	v_xor_b32_e32 v5, v5, v1
	s_mov_b64 s[6:7], 0
	v_xor_b32_e32 v4, v4, v1
	v_sub_co_u32_e32 v4, vcc, v4, v1
	v_subb_co_u32_e32 v5, vcc, v5, v1, vcc
	global_store_dwordx2 v[2:3], v[4:5], off
.LBB20_270:
	s_andn2_b64 vcc, exec, s[6:7]
	s_cbranch_vccnz .LBB20_272
; %bb.271:
	v_cvt_i32_f32_e32 v1, v0
	global_store_dword v[2:3], v1, off
.LBB20_272:
	s_mov_b64 s[6:7], 0
.LBB20_273:
	s_andn2_b64 vcc, exec, s[6:7]
	s_cbranch_vccnz .LBB20_275
; %bb.274:
	v_cvt_i32_f32_e32 v1, v0
	global_store_short v[2:3], v1, off
.LBB20_275:
	s_mov_b64 s[6:7], 0
.LBB20_276:
	s_andn2_b64 vcc, exec, s[6:7]
	s_cbranch_vccnz .LBB20_281
; %bb.277:
	s_cmp_gt_i32 s8, 0
	s_mov_b64 s[6:7], -1
	s_cbranch_scc0 .LBB20_279
; %bb.278:
	v_cvt_i32_f32_e32 v1, v0
	s_mov_b64 s[6:7], 0
	global_store_byte v[2:3], v1, off
.LBB20_279:
	s_andn2_b64 vcc, exec, s[6:7]
	s_cbranch_vccnz .LBB20_281
; %bb.280:
	v_trunc_f32_e32 v0, v0
	s_mov_b32 s6, 0x2f800000
	v_mul_f32_e64 v1, |v0|, s6
	v_floor_f32_e32 v1, v1
	s_mov_b32 s6, 0xcf800000
	v_fma_f32 v1, v1, s6, |v0|
	v_cvt_u32_f32_e32 v1, v1
	v_ashrrev_i32_e32 v0, 31, v0
	v_xor_b32_e32 v1, v1, v0
	v_sub_u32_e32 v0, v1, v0
	global_store_byte v[2:3], v0, off
.LBB20_281:
	s_branch .LBB20_166
.LBB20_282:
	s_mov_b64 s[6:7], 0
                                        ; implicit-def: $vgpr23
.LBB20_283:
	s_andn2_b64 s[8:9], s[62:63], exec
	s_and_b64 s[4:5], s[4:5], exec
	s_or_b64 s[66:67], s[8:9], s[4:5]
	s_orn2_b64 s[8:9], s[6:7], exec
.LBB20_284:
	s_or_b64 exec, exec, s[68:69]
	s_mov_b64 s[4:5], 0
	s_mov_b64 s[6:7], 0
                                        ; implicit-def: $sgpr14
                                        ; implicit-def: $vgpr2_vgpr3
                                        ; implicit-def: $vgpr0
	s_and_saveexec_b64 s[68:69], s[8:9]
	s_cbranch_execz .LBB20_525
; %bb.285:
	v_cmp_gt_i32_e32 vcc, s74, v23
	s_mov_b64 s[6:7], -1
	s_mov_b64 s[72:73], s[66:67]
	s_and_saveexec_b64 s[70:71], vcc
	s_cbranch_execz .LBB20_429
; %bb.286:
	s_andn2_b64 vcc, exec, s[50:51]
	s_cbranch_vccnz .LBB20_291
; %bb.287:
	s_andn2_b64 vcc, exec, s[60:61]
	s_cbranch_vccnz .LBB20_292
; %bb.288:
	s_add_i32 s31, s78, 1
	s_cmp_eq_u32 s76, 2
	s_cbranch_scc1 .LBB20_293
; %bb.289:
	s_and_b32 s30, s31, 28
	v_mov_b32_e32 v2, 0
	s_mov_b32 s72, 0
	s_mov_b64 s[24:25], s[34:35]
	s_mov_b64 s[26:27], s[58:59]
	v_mov_b32_e32 v21, 0
	v_mov_b32_e32 v0, v23
.LBB20_290:                             ; =>This Inner Loop Header: Depth=1
	s_load_dwordx8 s[12:19], s[24:25], 0x4
	s_load_dwordx4 s[20:23], s[24:25], 0x24
	s_load_dwordx8 s[4:11], s[26:27], 0x0
	s_add_u32 s24, s24, 48
	s_addc_u32 s25, s25, 0
	s_waitcnt lgkmcnt(0)
	v_mul_hi_u32 v1, s13, v0
	s_add_i32 s72, s72, 4
	s_add_u32 s26, s26, 32
	s_addc_u32 s27, s27, 0
	v_add_u32_e32 v1, v0, v1
	v_lshrrev_b32_e32 v1, s14, v1
	v_mul_lo_u32 v3, v1, s12
	v_mul_hi_u32 v4, s16, v1
	s_cmp_eq_u32 s30, s72
	v_sub_u32_e32 v0, v0, v3
	v_add_u32_e32 v3, v1, v4
	v_mul_lo_u32 v4, v0, s4
	v_mul_lo_u32 v5, v0, s5
	v_lshrrev_b32_e32 v0, s17, v3
	v_mul_lo_u32 v3, v0, s15
	v_mul_hi_u32 v6, s19, v0
	v_sub_u32_e32 v1, v1, v3
	v_add_u32_e32 v3, v0, v6
	v_lshrrev_b32_e32 v3, s20, v3
	v_mul_hi_u32 v7, s22, v3
	v_mul_lo_u32 v8, v3, s18
	v_mul_lo_u32 v6, v1, s6
	;; [unrolled: 1-line block ×3, first 2 shown]
	v_sub_u32_e32 v8, v0, v8
	v_add_u32_e32 v0, v3, v7
	v_lshrrev_b32_e32 v0, s23, v0
	v_mul_lo_u32 v7, v0, s21
	v_mul_lo_u32 v9, v8, s8
	;; [unrolled: 1-line block ×3, first 2 shown]
	v_add3_u32 v4, v4, v21, v6
	v_sub_u32_e32 v3, v3, v7
	v_mul_lo_u32 v7, v3, s10
	v_mul_lo_u32 v3, v3, s11
	v_add3_u32 v1, v5, v2, v1
	v_add3_u32 v21, v9, v4, v7
	;; [unrolled: 1-line block ×3, first 2 shown]
	s_cbranch_scc0 .LBB20_290
	s_branch .LBB20_294
.LBB20_291:
	s_mov_b64 s[4:5], -1
                                        ; implicit-def: $vgpr21
                                        ; implicit-def: $vgpr2
	s_branch .LBB20_298
.LBB20_292:
	v_mov_b32_e32 v21, 0
	v_mov_b32_e32 v2, 0
	s_branch .LBB20_297
.LBB20_293:
	s_mov_b32 s30, 0
	v_mov_b32_e32 v21, 0
	v_mov_b32_e32 v2, 0
	v_mov_b32_e32 v0, v23
.LBB20_294:
	s_and_b32 s8, s31, 3
	s_cmp_eq_u32 s8, 0
	s_cbranch_scc1 .LBB20_297
; %bb.295:
	s_lshl_b32 s4, s30, 3
	s_add_u32 s4, s34, s4
	s_addc_u32 s5, s35, 0
	s_add_u32 s4, s4, 0xc4
	s_addc_u32 s5, s5, 0
	s_mul_i32 s6, s30, 12
	s_add_u32 s6, s34, s6
	s_addc_u32 s7, s35, 0
.LBB20_296:                             ; =>This Inner Loop Header: Depth=1
	s_load_dwordx2 s[10:11], s[6:7], 0x4
	s_load_dword s9, s[6:7], 0xc
	s_load_dwordx2 s[12:13], s[4:5], 0x0
	s_add_u32 s6, s6, 12
	s_addc_u32 s7, s7, 0
	s_waitcnt lgkmcnt(0)
	v_mul_hi_u32 v1, s11, v0
	s_add_u32 s4, s4, 8
	s_addc_u32 s5, s5, 0
	s_add_i32 s8, s8, -1
	v_add_u32_e32 v1, v0, v1
	v_lshrrev_b32_e32 v1, s9, v1
	v_mul_lo_u32 v3, v1, s10
	s_cmp_lg_u32 s8, 0
	v_sub_u32_e32 v0, v0, v3
	v_mad_u64_u32 v[21:22], s[10:11], v0, s12, v[21:22]
	v_mad_u64_u32 v[2:3], s[10:11], v0, s13, v[2:3]
	v_mov_b32_e32 v0, v1
	s_cbranch_scc1 .LBB20_296
.LBB20_297:
	s_mov_b64 s[4:5], 0
.LBB20_298:
	s_andn2_b64 vcc, exec, s[4:5]
	s_cbranch_vccnz .LBB20_301
; %bb.299:
	s_waitcnt lgkmcnt(0)
	v_mul_hi_u32 v0, s45, v23
	s_andn2_b64 vcc, exec, s[56:57]
	v_add_u32_e32 v0, v23, v0
	v_lshrrev_b32_e32 v0, s46, v0
	v_mul_lo_u32 v1, v0, s44
	v_sub_u32_e32 v1, v23, v1
	v_mul_lo_u32 v21, v1, s40
	v_mul_lo_u32 v2, v1, s41
	s_cbranch_vccnz .LBB20_301
; %bb.300:
	v_mul_hi_u32 v1, s54, v0
	v_add_u32_e32 v1, v0, v1
	v_lshrrev_b32_e32 v1, s55, v1
	v_mul_lo_u32 v1, v1, s47
	v_sub_u32_e32 v0, v0, v1
	v_mad_u64_u32 v[21:22], s[4:5], v0, s42, v[21:22]
	v_mad_u64_u32 v[2:3], s[4:5], v0, s43, v[2:3]
.LBB20_301:
	s_getpc_b64 s[4:5]
	s_add_u32 s4, s4, _ZN2at6native6invokeIZZZNS0_16asin_kernel_cudaERNS_18TensorIteratorBaseEENKUlvE_clEvENKUlvE0_clEvEUlN3c107complexIfEEE_j15function_traitsIS9_EEENT1_11result_typeERKT_PrKPcPKT0_PKNS6_10ScalarTypeEi@rel32@lo+4
	s_addc_u32 s5, s5, _ZN2at6native6invokeIZZZNS0_16asin_kernel_cudaERNS_18TensorIteratorBaseEENKUlvE_clEvENKUlvE0_clEvEUlN3c107complexIfEEE_j15function_traitsIS9_EEENT1_11result_typeERKT_PrKPcPKT0_PKNS6_10ScalarTypeEi@rel32@hi+12
	s_waitcnt lgkmcnt(0)
	v_mov_b32_e32 v0, s38
	v_mov_b32_e32 v1, s39
	v_mov_b32_e32 v3, v20
	s_swappc_b64 s[30:31], s[4:5]
	v_mov_b32_e32 v3, s37
	s_and_b32 s12, s77, 0xff
	v_add_co_u32_e32 v2, vcc, s36, v21
	s_cmp_lt_i32 s12, 11
	v_addc_co_u32_e32 v3, vcc, 0, v3, vcc
	s_cbranch_scc1 .LBB20_308
; %bb.302:
	s_and_b32 s13, 0xffff, s12
	s_cmp_gt_i32 s13, 25
	s_cbranch_scc0 .LBB20_309
; %bb.303:
	s_cmp_gt_i32 s13, 28
	s_cbranch_scc0 .LBB20_310
; %bb.304:
	;; [unrolled: 3-line block ×4, first 2 shown]
	s_mov_b64 s[8:9], 0
	s_mov_b64 s[4:5], -1
	s_cmp_eq_u32 s13, 46
	s_mov_b64 s[6:7], 0
	s_cbranch_scc0 .LBB20_317
; %bb.307:
	s_movk_i32 s4, 0x7fff
	v_bfe_u32 v5, v1, 16, 1
	v_add3_u32 v5, v1, v5, s4
	v_bfe_u32 v4, v0, 16, 1
	v_and_b32_e32 v5, 0xffff0000, v5
	v_mov_b32_e32 v6, 0x7fc00000
	v_cmp_o_f32_e32 vcc, v1, v1
	v_add3_u32 v4, v0, v4, s4
	v_cndmask_b32_e32 v5, v6, v5, vcc
	v_cmp_o_f32_e32 vcc, v0, v0
	v_mov_b32_e32 v6, 0x7fc0
	v_cndmask_b32_sdwa v4, v6, v4, vcc dst_sel:DWORD dst_unused:UNUSED_PAD src0_sel:DWORD src1_sel:WORD_1
	v_or_b32_e32 v4, v5, v4
	global_store_dword v[2:3], v4, off
	s_mov_b64 s[6:7], -1
	s_mov_b64 s[4:5], 0
	s_branch .LBB20_317
.LBB20_308:
	s_mov_b64 s[8:9], -1
	s_mov_b64 s[6:7], 0
	s_mov_b64 s[4:5], s[66:67]
	s_branch .LBB20_386
.LBB20_309:
	s_mov_b64 s[8:9], -1
	s_mov_b64 s[6:7], 0
	s_mov_b64 s[4:5], s[66:67]
	s_branch .LBB20_344
.LBB20_310:
	s_mov_b64 s[8:9], -1
	s_mov_b64 s[6:7], 0
	s_mov_b64 s[4:5], s[66:67]
	s_branch .LBB20_327
.LBB20_311:
	s_andn2_saveexec_b64 s[10:11], s[10:11]
	s_cbranch_execz .LBB20_196
.LBB20_312:
	s_mov_b32 s14, 0x46000000
	v_add_f32_e64 v4, |v0|, s14
	v_and_b32_e32 v4, 0xff, v4
	v_cmp_ne_u32_e32 vcc, 0, v4
	s_andn2_b64 s[8:9], s[8:9], exec
	s_and_b64 s[14:15], vcc, exec
	s_or_b64 s[8:9], s[8:9], s[14:15]
	s_or_b64 exec, exec, s[10:11]
	v_mov_b32_e32 v5, 0
	s_and_saveexec_b64 s[10:11], s[8:9]
	s_cbranch_execnz .LBB20_197
	s_branch .LBB20_198
.LBB20_313:
	s_mov_b64 s[8:9], -1
	s_mov_b64 s[6:7], 0
	s_mov_b64 s[4:5], s[66:67]
	s_branch .LBB20_323
.LBB20_314:
	s_andn2_saveexec_b64 s[10:11], s[10:11]
	s_cbranch_execz .LBB20_209
.LBB20_315:
	s_mov_b32 s14, 0x42800000
	v_add_f32_e64 v4, |v0|, s14
	v_and_b32_e32 v4, 0xff, v4
	v_cmp_ne_u32_e32 vcc, 0, v4
	s_andn2_b64 s[8:9], s[8:9], exec
	s_and_b64 s[14:15], vcc, exec
	s_or_b64 s[8:9], s[8:9], s[14:15]
	s_or_b64 exec, exec, s[10:11]
	v_mov_b32_e32 v5, 0
	s_and_saveexec_b64 s[10:11], s[8:9]
	s_cbranch_execnz .LBB20_210
	s_branch .LBB20_211
.LBB20_316:
	s_mov_b64 s[8:9], -1
	s_mov_b64 s[6:7], 0
	s_mov_b64 s[4:5], s[66:67]
.LBB20_317:
	s_and_b64 vcc, exec, s[8:9]
	s_cbranch_vccz .LBB20_322
; %bb.318:
	s_cmp_eq_u32 s13, 44
	s_mov_b64 s[4:5], -1
	s_cbranch_scc0 .LBB20_322
; %bb.319:
	v_bfe_u32 v4, v0, 23, 8
	s_movk_i32 s4, 0xff
	v_cmp_ne_u32_e32 vcc, s4, v4
	v_mov_b32_e32 v5, 0xff
	s_and_saveexec_b64 s[6:7], vcc
; %bb.320:
	s_mov_b32 s4, 0x3fffff
	v_and_b32_e32 v6, 0x400000, v0
	v_and_or_b32 v4, v0, s4, v4
	v_cmp_ne_u32_e32 vcc, 0, v6
	v_cmp_ne_u32_e64 s[4:5], 0, v4
	s_and_b64 s[4:5], vcc, s[4:5]
	v_lshrrev_b32_e32 v5, 23, v0
	v_cndmask_b32_e64 v4, 0, 1, s[4:5]
	v_add_u32_e32 v5, v5, v4
; %bb.321:
	s_or_b64 exec, exec, s[6:7]
	s_mov_b64 s[6:7], -1
	s_mov_b64 s[4:5], 0
	global_store_byte v[2:3], v5, off
.LBB20_322:
	s_mov_b64 s[8:9], 0
.LBB20_323:
	s_and_b64 vcc, exec, s[8:9]
	s_cbranch_vccz .LBB20_326
; %bb.324:
	s_cmp_eq_u32 s13, 29
	s_mov_b64 s[4:5], -1
	s_cbranch_scc0 .LBB20_326
; %bb.325:
	v_trunc_f32_e32 v4, v0
	v_mul_f32_e32 v5, 0x2f800000, v4
	v_floor_f32_e32 v6, v5
	v_fmac_f32_e32 v4, 0xcf800000, v6
	v_cvt_u32_f32_e32 v5, v6
	v_cvt_u32_f32_e32 v4, v4
	s_mov_b64 s[6:7], -1
	s_mov_b64 s[4:5], 0
	s_mov_b64 s[8:9], 0
	global_store_dwordx2 v[2:3], v[4:5], off
	s_branch .LBB20_327
.LBB20_326:
	s_mov_b64 s[8:9], 0
.LBB20_327:
	s_and_b64 vcc, exec, s[8:9]
	s_cbranch_vccz .LBB20_343
; %bb.328:
	s_cmp_lt_i32 s13, 27
	s_mov_b64 s[6:7], -1
	s_cbranch_scc1 .LBB20_334
; %bb.329:
	v_cvt_u32_f32_e32 v4, v0
	s_cmp_gt_i32 s13, 27
	s_cbranch_scc0 .LBB20_331
; %bb.330:
	s_mov_b64 s[6:7], 0
	global_store_dword v[2:3], v4, off
.LBB20_331:
	s_andn2_b64 vcc, exec, s[6:7]
	s_cbranch_vccnz .LBB20_333
; %bb.332:
	global_store_short v[2:3], v4, off
.LBB20_333:
	s_mov_b64 s[6:7], 0
.LBB20_334:
	s_andn2_b64 vcc, exec, s[6:7]
	s_cbranch_vccnz .LBB20_342
; %bb.335:
	v_and_b32_e32 v4, 0x7fffffff, v0
	s_mov_b32 s6, 0x43800000
	v_cmp_gt_u32_e32 vcc, s6, v4
	v_mov_b32_e32 v5, 0x80
	s_and_saveexec_b64 s[6:7], vcc
	s_cbranch_execz .LBB20_341
; %bb.336:
	s_mov_b32 s8, 0x3bffffff
	v_cmp_lt_u32_e32 vcc, s8, v4
	s_mov_b64 s[8:9], 0
                                        ; implicit-def: $vgpr4
	s_and_saveexec_b64 s[10:11], vcc
	s_xor_b64 s[10:11], exec, s[10:11]
	s_cbranch_execz .LBB20_1112
; %bb.337:
	v_bfe_u32 v4, v0, 20, 1
	s_mov_b32 s14, 0x487ffff
	v_add3_u32 v4, v0, v4, s14
	s_mov_b64 s[8:9], exec
	v_lshrrev_b32_e32 v4, 20, v4
	s_andn2_saveexec_b64 s[10:11], s[10:11]
	s_cbranch_execnz .LBB20_1113
.LBB20_338:
	s_or_b64 exec, exec, s[10:11]
	v_mov_b32_e32 v5, 0
	s_and_saveexec_b64 s[10:11], s[8:9]
.LBB20_339:
	v_lshrrev_b32_e32 v5, 24, v0
	s_movk_i32 s8, 0x80
	v_and_or_b32 v5, v5, s8, v4
.LBB20_340:
	s_or_b64 exec, exec, s[10:11]
.LBB20_341:
	s_or_b64 exec, exec, s[6:7]
	global_store_byte v[2:3], v5, off
.LBB20_342:
	s_mov_b64 s[6:7], -1
.LBB20_343:
	s_mov_b64 s[8:9], 0
.LBB20_344:
	s_and_b64 vcc, exec, s[8:9]
	s_cbranch_vccz .LBB20_385
; %bb.345:
	s_cmp_gt_i32 s13, 22
	s_mov_b64 s[8:9], -1
	s_cbranch_scc0 .LBB20_377
; %bb.346:
	s_cmp_lt_i32 s13, 24
	s_mov_b64 s[6:7], -1
	s_cbranch_scc1 .LBB20_366
; %bb.347:
	s_cmp_gt_i32 s13, 24
	s_cbranch_scc0 .LBB20_355
; %bb.348:
	v_and_b32_e32 v4, 0x7fffffff, v0
	s_mov_b32 s6, 0x47800000
	v_cmp_gt_u32_e32 vcc, s6, v4
	v_mov_b32_e32 v5, 0x80
	s_and_saveexec_b64 s[6:7], vcc
	s_cbranch_execz .LBB20_354
; %bb.349:
	s_mov_b32 s8, 0x37ffffff
	v_cmp_lt_u32_e32 vcc, s8, v4
	s_mov_b64 s[8:9], 0
                                        ; implicit-def: $vgpr4
	s_and_saveexec_b64 s[10:11], vcc
	s_xor_b64 s[10:11], exec, s[10:11]
	s_cbranch_execz .LBB20_1119
; %bb.350:
	v_bfe_u32 v4, v0, 21, 1
	s_mov_b32 s14, 0x88fffff
	v_add3_u32 v4, v0, v4, s14
	s_mov_b64 s[8:9], exec
	v_lshrrev_b32_e32 v4, 21, v4
	s_andn2_saveexec_b64 s[10:11], s[10:11]
	s_cbranch_execnz .LBB20_1120
.LBB20_351:
	s_or_b64 exec, exec, s[10:11]
	v_mov_b32_e32 v5, 0
	s_and_saveexec_b64 s[10:11], s[8:9]
.LBB20_352:
	v_lshrrev_b32_e32 v5, 24, v0
	s_movk_i32 s8, 0x80
	v_and_or_b32 v5, v5, s8, v4
.LBB20_353:
	s_or_b64 exec, exec, s[10:11]
.LBB20_354:
	s_or_b64 exec, exec, s[6:7]
	s_mov_b64 s[6:7], 0
	global_store_byte v[2:3], v5, off
.LBB20_355:
	s_and_b64 vcc, exec, s[6:7]
	s_cbranch_vccz .LBB20_365
; %bb.356:
	v_and_b32_e32 v5, 0x7fffffff, v0
	s_mov_b32 s6, 0x43f00000
	v_cmp_gt_u32_e32 vcc, s6, v5
                                        ; implicit-def: $vgpr4
	s_and_saveexec_b64 s[6:7], vcc
	s_xor_b64 s[6:7], exec, s[6:7]
	s_cbranch_execz .LBB20_362
; %bb.357:
	s_mov_b32 s8, 0x3c7fffff
	v_cmp_lt_u32_e32 vcc, s8, v5
                                        ; implicit-def: $vgpr4
	s_and_saveexec_b64 s[8:9], vcc
	s_xor_b64 s[8:9], exec, s[8:9]
; %bb.358:
	v_bfe_u32 v4, v0, 20, 1
	s_mov_b32 s10, 0x407ffff
	v_add3_u32 v4, v0, v4, s10
	v_lshrrev_b32_e32 v5, 20, v4
	v_and_b32_e32 v4, 0xff00000, v4
	s_mov_b32 s10, 0x7f00000
	v_mov_b32_e32 v6, 0x7e
	v_cmp_ne_u32_e32 vcc, s10, v4
	v_cndmask_b32_e32 v4, v6, v5, vcc
; %bb.359:
	s_andn2_saveexec_b64 s[8:9], s[8:9]
; %bb.360:
	s_mov_b32 s10, 0x46800000
	v_add_f32_e64 v4, |v0|, s10
; %bb.361:
	s_or_b64 exec, exec, s[8:9]
                                        ; implicit-def: $vgpr5
.LBB20_362:
	s_andn2_saveexec_b64 s[6:7], s[6:7]
; %bb.363:
	s_mov_b32 s8, 0x7f800000
	v_mov_b32_e32 v4, 0x7e
	v_mov_b32_e32 v6, 0x7f
	v_cmp_lt_u32_e32 vcc, s8, v5
	v_cndmask_b32_e32 v4, v4, v6, vcc
; %bb.364:
	s_or_b64 exec, exec, s[6:7]
	v_lshrrev_b32_e32 v5, 24, v0
	s_movk_i32 s6, 0x80
	v_and_or_b32 v4, v5, s6, v4
	global_store_byte v[2:3], v4, off
.LBB20_365:
	s_mov_b64 s[6:7], 0
.LBB20_366:
	s_andn2_b64 vcc, exec, s[6:7]
	s_cbranch_vccnz .LBB20_376
; %bb.367:
	v_and_b32_e32 v5, 0x7fffffff, v0
	s_mov_b32 s6, 0x47800000
	v_cmp_gt_u32_e32 vcc, s6, v5
                                        ; implicit-def: $vgpr4
	s_and_saveexec_b64 s[6:7], vcc
	s_xor_b64 s[6:7], exec, s[6:7]
	s_cbranch_execz .LBB20_373
; %bb.368:
	s_mov_b32 s8, 0x387fffff
	v_cmp_lt_u32_e32 vcc, s8, v5
                                        ; implicit-def: $vgpr4
	s_and_saveexec_b64 s[8:9], vcc
	s_xor_b64 s[8:9], exec, s[8:9]
; %bb.369:
	v_bfe_u32 v4, v0, 21, 1
	s_mov_b32 s10, 0x80fffff
	v_add3_u32 v4, v0, v4, s10
	v_lshrrev_b32_e32 v4, 21, v4
; %bb.370:
	s_andn2_saveexec_b64 s[8:9], s[8:9]
; %bb.371:
	s_mov_b32 s10, 0x43000000
	v_add_f32_e64 v4, |v0|, s10
; %bb.372:
	s_or_b64 exec, exec, s[8:9]
                                        ; implicit-def: $vgpr5
.LBB20_373:
	s_andn2_saveexec_b64 s[6:7], s[6:7]
; %bb.374:
	s_mov_b32 s8, 0x7f800000
	v_mov_b32_e32 v4, 0x7c
	v_mov_b32_e32 v6, 0x7f
	v_cmp_lt_u32_e32 vcc, s8, v5
	v_cndmask_b32_e32 v4, v4, v6, vcc
; %bb.375:
	s_or_b64 exec, exec, s[6:7]
	v_lshrrev_b32_e32 v5, 24, v0
	s_movk_i32 s6, 0x80
	v_and_or_b32 v4, v5, s6, v4
	global_store_byte v[2:3], v4, off
.LBB20_376:
	s_mov_b64 s[8:9], 0
	s_mov_b64 s[6:7], -1
.LBB20_377:
	s_andn2_b64 vcc, exec, s[8:9]
	s_cbranch_vccnz .LBB20_385
; %bb.378:
	s_cmp_gt_i32 s13, 14
	s_mov_b64 s[8:9], -1
	s_cbranch_scc0 .LBB20_382
; %bb.379:
	s_cmp_eq_u32 s13, 15
	s_mov_b64 s[4:5], -1
	s_cbranch_scc0 .LBB20_381
; %bb.380:
	v_bfe_u32 v4, v0, 16, 1
	s_movk_i32 s4, 0x7fff
	v_add3_u32 v4, v0, v4, s4
	v_cmp_o_f32_e32 vcc, v0, v0
	v_mov_b32_e32 v5, 0x7fc0
	v_cndmask_b32_sdwa v4, v5, v4, vcc dst_sel:DWORD dst_unused:UNUSED_PAD src0_sel:DWORD src1_sel:WORD_1
	global_store_short v[2:3], v4, off
	s_mov_b64 s[6:7], -1
	s_mov_b64 s[4:5], 0
.LBB20_381:
	s_mov_b64 s[8:9], 0
.LBB20_382:
	s_and_b64 vcc, exec, s[8:9]
	s_cbranch_vccz .LBB20_385
; %bb.383:
	s_cmp_eq_u32 s13, 11
	s_mov_b64 s[4:5], -1
	s_cbranch_scc0 .LBB20_385
; %bb.384:
	v_or_b32_e32 v4, v0, v1
	v_and_b32_e32 v4, 0x7fffffff, v4
	v_cmp_ne_u32_e32 vcc, 0, v4
	v_cndmask_b32_e64 v4, 0, 1, vcc
	s_mov_b64 s[6:7], -1
	s_mov_b64 s[4:5], 0
	global_store_byte v[2:3], v4, off
.LBB20_385:
	s_mov_b64 s[8:9], 0
.LBB20_386:
	s_and_b64 vcc, exec, s[8:9]
	s_cbranch_vccz .LBB20_425
; %bb.387:
	s_and_b32 s8, 0xffff, s12
	s_cmp_lt_i32 s8, 5
	s_mov_b64 s[6:7], -1
	s_cbranch_scc1 .LBB20_408
; %bb.388:
	s_cmp_lt_i32 s8, 8
	s_cbranch_scc1 .LBB20_398
; %bb.389:
	s_cmp_lt_i32 s8, 9
	s_cbranch_scc1 .LBB20_395
; %bb.390:
	s_cmp_gt_i32 s8, 9
	s_cbranch_scc0 .LBB20_392
; %bb.391:
	v_cvt_f64_f32_e32 v[4:5], v0
	v_cvt_f64_f32_e32 v[6:7], v1
	s_mov_b64 s[6:7], 0
	global_store_dwordx4 v[2:3], v[4:7], off
.LBB20_392:
	s_andn2_b64 vcc, exec, s[6:7]
	s_cbranch_vccnz .LBB20_394
; %bb.393:
	global_store_dwordx2 v[2:3], v[0:1], off
.LBB20_394:
	s_mov_b64 s[6:7], 0
.LBB20_395:
	s_andn2_b64 vcc, exec, s[6:7]
	s_cbranch_vccnz .LBB20_397
; %bb.396:
	v_cvt_f16_f32_e32 v4, v0
	v_cvt_f16_f32_sdwa v1, v1 dst_sel:WORD_1 dst_unused:UNUSED_PAD src0_sel:DWORD
	v_or_b32_e32 v1, v1, v4
	global_store_dword v[2:3], v1, off
.LBB20_397:
	s_mov_b64 s[6:7], 0
.LBB20_398:
	s_andn2_b64 vcc, exec, s[6:7]
	s_cbranch_vccnz .LBB20_407
; %bb.399:
	s_cmp_lt_i32 s8, 6
	s_mov_b64 s[6:7], -1
	s_cbranch_scc1 .LBB20_405
; %bb.400:
	s_cmp_gt_i32 s8, 6
	s_cbranch_scc0 .LBB20_402
; %bb.401:
	v_cvt_f64_f32_e32 v[4:5], v0
	s_mov_b64 s[6:7], 0
	global_store_dwordx2 v[2:3], v[4:5], off
.LBB20_402:
	s_andn2_b64 vcc, exec, s[6:7]
	s_cbranch_vccnz .LBB20_404
; %bb.403:
	global_store_dword v[2:3], v0, off
.LBB20_404:
	s_mov_b64 s[6:7], 0
.LBB20_405:
	s_andn2_b64 vcc, exec, s[6:7]
	s_cbranch_vccnz .LBB20_407
; %bb.406:
	v_cvt_f16_f32_e32 v1, v0
	global_store_short v[2:3], v1, off
.LBB20_407:
	s_mov_b64 s[6:7], 0
.LBB20_408:
	s_andn2_b64 vcc, exec, s[6:7]
	s_cbranch_vccnz .LBB20_424
; %bb.409:
	s_cmp_lt_i32 s8, 2
	s_mov_b64 s[6:7], -1
	s_cbranch_scc1 .LBB20_419
; %bb.410:
	s_cmp_lt_i32 s8, 3
	s_cbranch_scc1 .LBB20_416
; %bb.411:
	s_cmp_gt_i32 s8, 3
	s_cbranch_scc0 .LBB20_413
; %bb.412:
	v_trunc_f32_e32 v1, v0
	s_mov_b32 s6, 0x2f800000
	v_mul_f32_e64 v4, |v1|, s6
	v_floor_f32_e32 v4, v4
	s_mov_b32 s6, 0xcf800000
	v_cvt_u32_f32_e32 v5, v4
	v_fma_f32 v4, v4, s6, |v1|
	v_cvt_u32_f32_e32 v4, v4
	v_ashrrev_i32_e32 v1, 31, v1
	v_xor_b32_e32 v5, v5, v1
	s_mov_b64 s[6:7], 0
	v_xor_b32_e32 v4, v4, v1
	v_sub_co_u32_e32 v4, vcc, v4, v1
	v_subb_co_u32_e32 v5, vcc, v5, v1, vcc
	global_store_dwordx2 v[2:3], v[4:5], off
.LBB20_413:
	s_andn2_b64 vcc, exec, s[6:7]
	s_cbranch_vccnz .LBB20_415
; %bb.414:
	v_cvt_i32_f32_e32 v1, v0
	global_store_dword v[2:3], v1, off
.LBB20_415:
	s_mov_b64 s[6:7], 0
.LBB20_416:
	s_andn2_b64 vcc, exec, s[6:7]
	s_cbranch_vccnz .LBB20_418
; %bb.417:
	v_cvt_i32_f32_e32 v1, v0
	global_store_short v[2:3], v1, off
.LBB20_418:
	s_mov_b64 s[6:7], 0
.LBB20_419:
	s_andn2_b64 vcc, exec, s[6:7]
	s_cbranch_vccnz .LBB20_424
; %bb.420:
	s_cmp_gt_i32 s8, 0
	s_mov_b64 s[6:7], -1
	s_cbranch_scc0 .LBB20_422
; %bb.421:
	v_cvt_i32_f32_e32 v1, v0
	s_mov_b64 s[6:7], 0
	global_store_byte v[2:3], v1, off
.LBB20_422:
	s_andn2_b64 vcc, exec, s[6:7]
	s_cbranch_vccnz .LBB20_424
; %bb.423:
	v_trunc_f32_e32 v0, v0
	s_mov_b32 s6, 0x2f800000
	v_mul_f32_e64 v1, |v0|, s6
	v_floor_f32_e32 v1, v1
	s_mov_b32 s6, 0xcf800000
	v_fma_f32 v1, v1, s6, |v0|
	v_cvt_u32_f32_e32 v1, v1
	v_ashrrev_i32_e32 v0, 31, v0
	v_xor_b32_e32 v1, v1, v0
	v_sub_u32_e32 v0, v1, v0
	global_store_byte v[2:3], v0, off
.LBB20_424:
	s_mov_b64 s[6:7], -1
.LBB20_425:
	s_andn2_b64 vcc, exec, s[6:7]
	s_cbranch_vccnz .LBB20_427
; %bb.426:
	v_add_u32_e32 v23, 0x80, v23
	s_mov_b64 s[6:7], -1
	s_branch .LBB20_428
.LBB20_427:
	s_mov_b64 s[6:7], 0
                                        ; implicit-def: $vgpr23
.LBB20_428:
	s_andn2_b64 s[8:9], s[66:67], exec
	s_and_b64 s[4:5], s[4:5], exec
	s_or_b64 s[72:73], s[8:9], s[4:5]
	s_orn2_b64 s[6:7], s[6:7], exec
.LBB20_429:
	s_or_b64 exec, exec, s[70:71]
	s_mov_b64 s[4:5], 0
	s_mov_b64 s[10:11], 0
                                        ; implicit-def: $sgpr14
                                        ; implicit-def: $vgpr2_vgpr3
                                        ; implicit-def: $vgpr0
	s_and_saveexec_b64 s[70:71], s[6:7]
	s_cbranch_execz .LBB20_524
; %bb.430:
	v_cmp_gt_i32_e32 vcc, s74, v23
	s_mov_b64 s[6:7], 0
	s_mov_b64 s[8:9], s[72:73]
                                        ; implicit-def: $sgpr14
                                        ; implicit-def: $vgpr2_vgpr3
                                        ; implicit-def: $vgpr0
	s_and_saveexec_b64 s[74:75], vcc
	s_cbranch_execz .LBB20_523
; %bb.431:
	s_andn2_b64 vcc, exec, s[50:51]
	s_cbranch_vccnz .LBB20_436
; %bb.432:
	s_andn2_b64 vcc, exec, s[60:61]
	s_cbranch_vccnz .LBB20_437
; %bb.433:
	s_add_i32 s78, s78, 1
	s_cmp_eq_u32 s76, 2
	s_cbranch_scc1 .LBB20_438
; %bb.434:
	s_and_b32 s26, s78, 28
	v_mov_b32_e32 v2, 0
	s_mov_b32 s27, 0
	s_mov_b64 s[24:25], s[34:35]
	v_mov_b32_e32 v21, 0
	v_mov_b32_e32 v0, v23
.LBB20_435:                             ; =>This Inner Loop Header: Depth=1
	s_load_dwordx8 s[12:19], s[24:25], 0x4
	s_load_dwordx4 s[20:23], s[24:25], 0x24
	s_load_dwordx8 s[4:11], s[58:59], 0x0
	s_add_u32 s24, s24, 48
	s_addc_u32 s25, s25, 0
	s_waitcnt lgkmcnt(0)
	v_mul_hi_u32 v1, s13, v0
	s_add_i32 s27, s27, 4
	s_add_u32 s58, s58, 32
	s_addc_u32 s59, s59, 0
	v_add_u32_e32 v1, v0, v1
	v_lshrrev_b32_e32 v1, s14, v1
	v_mul_lo_u32 v3, v1, s12
	v_mul_hi_u32 v4, s16, v1
	s_cmp_eq_u32 s26, s27
	v_sub_u32_e32 v0, v0, v3
	v_add_u32_e32 v3, v1, v4
	v_mul_lo_u32 v4, v0, s4
	v_mul_lo_u32 v5, v0, s5
	v_lshrrev_b32_e32 v0, s17, v3
	v_mul_lo_u32 v3, v0, s15
	v_mul_hi_u32 v6, s19, v0
	v_sub_u32_e32 v1, v1, v3
	v_add_u32_e32 v3, v0, v6
	v_lshrrev_b32_e32 v3, s20, v3
	v_mul_hi_u32 v7, s22, v3
	v_mul_lo_u32 v8, v3, s18
	v_mul_lo_u32 v6, v1, s6
	;; [unrolled: 1-line block ×3, first 2 shown]
	v_sub_u32_e32 v8, v0, v8
	v_add_u32_e32 v0, v3, v7
	v_lshrrev_b32_e32 v0, s23, v0
	v_mul_lo_u32 v7, v0, s21
	v_mul_lo_u32 v9, v8, s8
	;; [unrolled: 1-line block ×3, first 2 shown]
	v_add3_u32 v4, v4, v21, v6
	v_sub_u32_e32 v3, v3, v7
	v_mul_lo_u32 v7, v3, s10
	v_mul_lo_u32 v3, v3, s11
	v_add3_u32 v1, v5, v2, v1
	v_add3_u32 v21, v9, v4, v7
	;; [unrolled: 1-line block ×3, first 2 shown]
	s_cbranch_scc0 .LBB20_435
	s_branch .LBB20_439
.LBB20_436:
	s_mov_b64 s[4:5], -1
                                        ; implicit-def: $vgpr21
                                        ; implicit-def: $vgpr2
	s_branch .LBB20_443
.LBB20_437:
	v_mov_b32_e32 v21, 0
	v_mov_b32_e32 v2, 0
	s_branch .LBB20_442
.LBB20_438:
	s_mov_b32 s26, 0
	v_mov_b32_e32 v21, 0
	v_mov_b32_e32 v2, 0
	;; [unrolled: 1-line block ×3, first 2 shown]
.LBB20_439:
	s_and_b32 s8, s78, 3
	s_cmp_eq_u32 s8, 0
	s_cbranch_scc1 .LBB20_442
; %bb.440:
	s_lshl_b32 s4, s26, 3
	s_add_u32 s4, s34, s4
	s_addc_u32 s5, s35, 0
	s_add_u32 s4, s4, 0xc4
	s_addc_u32 s5, s5, 0
	s_mul_i32 s6, s26, 12
	s_add_u32 s6, s34, s6
	s_addc_u32 s7, s35, 0
.LBB20_441:                             ; =>This Inner Loop Header: Depth=1
	s_load_dwordx2 s[10:11], s[6:7], 0x4
	s_load_dword s9, s[6:7], 0xc
	s_load_dwordx2 s[12:13], s[4:5], 0x0
	s_add_u32 s6, s6, 12
	s_addc_u32 s7, s7, 0
	s_waitcnt lgkmcnt(0)
	v_mul_hi_u32 v1, s11, v0
	s_add_u32 s4, s4, 8
	s_addc_u32 s5, s5, 0
	s_add_i32 s8, s8, -1
	v_add_u32_e32 v1, v0, v1
	v_lshrrev_b32_e32 v1, s9, v1
	v_mul_lo_u32 v3, v1, s10
	s_cmp_lg_u32 s8, 0
	v_sub_u32_e32 v0, v0, v3
	v_mad_u64_u32 v[21:22], s[10:11], v0, s12, v[21:22]
	v_mad_u64_u32 v[2:3], s[10:11], v0, s13, v[2:3]
	v_mov_b32_e32 v0, v1
	s_cbranch_scc1 .LBB20_441
.LBB20_442:
	s_mov_b64 s[4:5], 0
.LBB20_443:
	s_andn2_b64 vcc, exec, s[4:5]
	s_cbranch_vccnz .LBB20_446
; %bb.444:
	s_waitcnt lgkmcnt(0)
	v_mul_hi_u32 v0, s45, v23
	s_andn2_b64 vcc, exec, s[56:57]
	v_add_u32_e32 v0, v23, v0
	v_lshrrev_b32_e32 v0, s46, v0
	v_mul_lo_u32 v1, v0, s44
	v_sub_u32_e32 v1, v23, v1
	v_mul_lo_u32 v21, v1, s40
	v_mul_lo_u32 v2, v1, s41
	s_cbranch_vccnz .LBB20_446
; %bb.445:
	v_mul_hi_u32 v1, s54, v0
	v_add_u32_e32 v1, v0, v1
	v_lshrrev_b32_e32 v1, s55, v1
	v_mul_lo_u32 v1, v1, s47
	v_sub_u32_e32 v0, v0, v1
	v_mad_u64_u32 v[21:22], s[4:5], v0, s42, v[21:22]
	v_mad_u64_u32 v[2:3], s[4:5], v0, s43, v[2:3]
.LBB20_446:
	s_getpc_b64 s[4:5]
	s_add_u32 s4, s4, _ZN2at6native6invokeIZZZNS0_16asin_kernel_cudaERNS_18TensorIteratorBaseEENKUlvE_clEvENKUlvE0_clEvEUlN3c107complexIfEEE_j15function_traitsIS9_EEENT1_11result_typeERKT_PrKPcPKT0_PKNS6_10ScalarTypeEi@rel32@lo+4
	s_addc_u32 s5, s5, _ZN2at6native6invokeIZZZNS0_16asin_kernel_cudaERNS_18TensorIteratorBaseEENKUlvE_clEvENKUlvE0_clEvEUlN3c107complexIfEEE_j15function_traitsIS9_EEENT1_11result_typeERKT_PrKPcPKT0_PKNS6_10ScalarTypeEi@rel32@hi+12
	s_waitcnt lgkmcnt(0)
	v_mov_b32_e32 v0, s38
	v_mov_b32_e32 v1, s39
	;; [unrolled: 1-line block ×3, first 2 shown]
	s_swappc_b64 s[30:31], s[4:5]
	v_mov_b32_e32 v3, s37
	s_and_b32 s14, s77, 0xff
	v_add_co_u32_e32 v2, vcc, s36, v21
	s_cmp_lt_i32 s14, 11
	v_addc_co_u32_e32 v3, vcc, 0, v3, vcc
	s_cbranch_scc1 .LBB20_463
; %bb.447:
	s_and_b32 s15, 0xffff, s14
	s_mov_b64 s[8:9], -1
	s_cmp_gt_i32 s15, 25
	s_mov_b64 s[4:5], s[72:73]
	s_cbranch_scc0 .LBB20_481
; %bb.448:
	s_mov_b64 s[6:7], -1
	s_cmp_gt_i32 s15, 28
	s_mov_b64 s[4:5], s[72:73]
	s_cbranch_scc0 .LBB20_465
; %bb.449:
	s_cmp_gt_i32 s15, 43
	s_mov_b64 s[4:5], s[72:73]
	s_cbranch_scc0 .LBB20_460
; %bb.450:
	;; [unrolled: 4-line block ×3, first 2 shown]
	s_cmp_eq_u32 s15, 46
	s_mov_b64 s[4:5], -1
	s_cbranch_scc0 .LBB20_453
; %bb.452:
	s_movk_i32 s4, 0x7fff
	v_bfe_u32 v5, v1, 16, 1
	v_add3_u32 v5, v1, v5, s4
	v_bfe_u32 v4, v0, 16, 1
	v_and_b32_e32 v5, 0xffff0000, v5
	v_mov_b32_e32 v6, 0x7fc00000
	v_cmp_o_f32_e32 vcc, v1, v1
	v_add3_u32 v4, v0, v4, s4
	v_cndmask_b32_e32 v5, v6, v5, vcc
	v_cmp_o_f32_e32 vcc, v0, v0
	v_mov_b32_e32 v6, 0x7fc0
	v_cndmask_b32_sdwa v4, v6, v4, vcc dst_sel:DWORD dst_unused:UNUSED_PAD src0_sel:DWORD src1_sel:WORD_1
	v_or_b32_e32 v4, v5, v4
	global_store_dword v[2:3], v4, off
	s_mov_b64 s[4:5], 0
.LBB20_453:
	s_mov_b64 s[6:7], 0
.LBB20_454:
	s_and_b64 vcc, exec, s[6:7]
	s_cbranch_vccz .LBB20_459
; %bb.455:
	s_cmp_eq_u32 s15, 44
	s_mov_b64 s[4:5], -1
	s_cbranch_scc0 .LBB20_459
; %bb.456:
	v_bfe_u32 v4, v0, 23, 8
	s_movk_i32 s4, 0xff
	v_cmp_ne_u32_e32 vcc, s4, v4
	v_mov_b32_e32 v5, 0xff
	s_and_saveexec_b64 s[6:7], vcc
; %bb.457:
	s_mov_b32 s4, 0x3fffff
	v_and_b32_e32 v6, 0x400000, v0
	v_and_or_b32 v4, v0, s4, v4
	v_cmp_ne_u32_e32 vcc, 0, v6
	v_cmp_ne_u32_e64 s[4:5], 0, v4
	s_and_b64 s[4:5], vcc, s[4:5]
	v_lshrrev_b32_e32 v5, 23, v0
	v_cndmask_b32_e64 v4, 0, 1, s[4:5]
	v_add_u32_e32 v5, v5, v4
; %bb.458:
	s_or_b64 exec, exec, s[6:7]
	s_mov_b64 s[4:5], 0
	global_store_byte v[2:3], v5, off
.LBB20_459:
	s_mov_b64 s[6:7], 0
.LBB20_460:
	s_and_b64 vcc, exec, s[6:7]
	s_cbranch_vccz .LBB20_464
; %bb.461:
	s_cmp_eq_u32 s15, 29
	s_mov_b64 s[4:5], -1
	s_cbranch_scc0 .LBB20_464
; %bb.462:
	v_trunc_f32_e32 v4, v0
	v_mul_f32_e32 v5, 0x2f800000, v4
	v_floor_f32_e32 v6, v5
	v_fmac_f32_e32 v4, 0xcf800000, v6
	v_cvt_u32_f32_e32 v5, v6
	v_cvt_u32_f32_e32 v4, v4
	s_mov_b64 s[4:5], 0
	s_mov_b64 s[6:7], 0
	global_store_dwordx2 v[2:3], v[4:5], off
	s_branch .LBB20_465
.LBB20_463:
	s_mov_b64 s[8:9], 0
	s_mov_b64 s[6:7], -1
	s_mov_b64 s[4:5], s[72:73]
	s_branch .LBB20_522
.LBB20_464:
	s_mov_b64 s[6:7], 0
.LBB20_465:
	s_and_b64 vcc, exec, s[6:7]
	s_cbranch_vccz .LBB20_480
; %bb.466:
	s_cmp_lt_i32 s15, 27
	s_mov_b64 s[6:7], -1
	s_cbranch_scc1 .LBB20_472
; %bb.467:
	v_cvt_u32_f32_e32 v4, v0
	s_cmp_gt_i32 s15, 27
	s_cbranch_scc0 .LBB20_469
; %bb.468:
	s_mov_b64 s[6:7], 0
	global_store_dword v[2:3], v4, off
.LBB20_469:
	s_andn2_b64 vcc, exec, s[6:7]
	s_cbranch_vccnz .LBB20_471
; %bb.470:
	global_store_short v[2:3], v4, off
.LBB20_471:
	s_mov_b64 s[6:7], 0
.LBB20_472:
	s_andn2_b64 vcc, exec, s[6:7]
	s_cbranch_vccnz .LBB20_480
; %bb.473:
	v_and_b32_e32 v4, 0x7fffffff, v0
	s_mov_b32 s6, 0x43800000
	v_cmp_gt_u32_e32 vcc, s6, v4
	v_mov_b32_e32 v5, 0x80
	s_and_saveexec_b64 s[6:7], vcc
	s_cbranch_execz .LBB20_479
; %bb.474:
	s_mov_b32 s8, 0x3bffffff
	v_cmp_lt_u32_e32 vcc, s8, v4
	s_mov_b64 s[8:9], 0
                                        ; implicit-def: $vgpr4
	s_and_saveexec_b64 s[10:11], vcc
	s_xor_b64 s[10:11], exec, s[10:11]
	s_cbranch_execz .LBB20_1121
; %bb.475:
	v_bfe_u32 v4, v0, 20, 1
	s_mov_b32 s12, 0x487ffff
	v_add3_u32 v4, v0, v4, s12
	s_mov_b64 s[8:9], exec
	v_lshrrev_b32_e32 v4, 20, v4
	s_andn2_saveexec_b64 s[10:11], s[10:11]
	s_cbranch_execnz .LBB20_1122
.LBB20_476:
	s_or_b64 exec, exec, s[10:11]
	v_mov_b32_e32 v5, 0
	s_and_saveexec_b64 s[10:11], s[8:9]
.LBB20_477:
	v_lshrrev_b32_e32 v5, 24, v0
	s_movk_i32 s8, 0x80
	v_and_or_b32 v5, v5, s8, v4
.LBB20_478:
	s_or_b64 exec, exec, s[10:11]
.LBB20_479:
	s_or_b64 exec, exec, s[6:7]
	global_store_byte v[2:3], v5, off
.LBB20_480:
	s_mov_b64 s[8:9], 0
.LBB20_481:
	s_mov_b64 s[6:7], 0
	s_and_b64 vcc, exec, s[8:9]
	s_cbranch_vccz .LBB20_521
; %bb.482:
	s_cmp_gt_i32 s15, 22
	s_mov_b64 s[8:9], -1
	s_cbranch_scc0 .LBB20_514
; %bb.483:
	s_cmp_lt_i32 s15, 24
	s_cbranch_scc1 .LBB20_503
; %bb.484:
	s_cmp_gt_i32 s15, 24
	s_cbranch_scc0 .LBB20_492
; %bb.485:
	v_and_b32_e32 v4, 0x7fffffff, v0
	s_mov_b32 s8, 0x47800000
	v_cmp_gt_u32_e32 vcc, s8, v4
	v_mov_b32_e32 v5, 0x80
	s_and_saveexec_b64 s[8:9], vcc
	s_cbranch_execz .LBB20_491
; %bb.486:
	s_mov_b32 s10, 0x37ffffff
	v_cmp_lt_u32_e32 vcc, s10, v4
	s_mov_b64 s[10:11], 0
                                        ; implicit-def: $vgpr4
	s_and_saveexec_b64 s[12:13], vcc
	s_xor_b64 s[12:13], exec, s[12:13]
	s_cbranch_execz .LBB20_1125
; %bb.487:
	v_bfe_u32 v4, v0, 21, 1
	s_mov_b32 s16, 0x88fffff
	v_add3_u32 v4, v0, v4, s16
	s_mov_b64 s[10:11], exec
	v_lshrrev_b32_e32 v4, 21, v4
	s_andn2_saveexec_b64 s[12:13], s[12:13]
	s_cbranch_execnz .LBB20_1126
.LBB20_488:
	s_or_b64 exec, exec, s[12:13]
	v_mov_b32_e32 v5, 0
	s_and_saveexec_b64 s[12:13], s[10:11]
.LBB20_489:
	v_lshrrev_b32_e32 v5, 24, v0
	s_movk_i32 s10, 0x80
	v_and_or_b32 v5, v5, s10, v4
.LBB20_490:
	s_or_b64 exec, exec, s[12:13]
.LBB20_491:
	s_or_b64 exec, exec, s[8:9]
	s_mov_b64 s[8:9], 0
	global_store_byte v[2:3], v5, off
.LBB20_492:
	s_and_b64 vcc, exec, s[8:9]
	s_cbranch_vccz .LBB20_502
; %bb.493:
	v_and_b32_e32 v5, 0x7fffffff, v0
	s_mov_b32 s8, 0x43f00000
	v_cmp_gt_u32_e32 vcc, s8, v5
                                        ; implicit-def: $vgpr4
	s_and_saveexec_b64 s[8:9], vcc
	s_xor_b64 s[8:9], exec, s[8:9]
	s_cbranch_execz .LBB20_499
; %bb.494:
	s_mov_b32 s10, 0x3c7fffff
	v_cmp_lt_u32_e32 vcc, s10, v5
                                        ; implicit-def: $vgpr4
	s_and_saveexec_b64 s[10:11], vcc
	s_xor_b64 s[10:11], exec, s[10:11]
; %bb.495:
	v_bfe_u32 v4, v0, 20, 1
	s_mov_b32 s12, 0x407ffff
	v_add3_u32 v4, v0, v4, s12
	v_lshrrev_b32_e32 v5, 20, v4
	v_and_b32_e32 v4, 0xff00000, v4
	s_mov_b32 s12, 0x7f00000
	v_mov_b32_e32 v6, 0x7e
	v_cmp_ne_u32_e32 vcc, s12, v4
	v_cndmask_b32_e32 v4, v6, v5, vcc
; %bb.496:
	s_andn2_saveexec_b64 s[10:11], s[10:11]
; %bb.497:
	s_mov_b32 s12, 0x46800000
	v_add_f32_e64 v4, |v0|, s12
; %bb.498:
	s_or_b64 exec, exec, s[10:11]
                                        ; implicit-def: $vgpr5
.LBB20_499:
	s_andn2_saveexec_b64 s[8:9], s[8:9]
; %bb.500:
	s_mov_b32 s10, 0x7f800000
	v_mov_b32_e32 v4, 0x7e
	v_mov_b32_e32 v6, 0x7f
	v_cmp_lt_u32_e32 vcc, s10, v5
	v_cndmask_b32_e32 v4, v4, v6, vcc
; %bb.501:
	s_or_b64 exec, exec, s[8:9]
	v_lshrrev_b32_e32 v5, 24, v0
	s_movk_i32 s8, 0x80
	v_and_or_b32 v4, v5, s8, v4
	global_store_byte v[2:3], v4, off
.LBB20_502:
	s_mov_b64 s[8:9], 0
.LBB20_503:
	s_andn2_b64 vcc, exec, s[8:9]
	s_cbranch_vccnz .LBB20_513
; %bb.504:
	v_and_b32_e32 v5, 0x7fffffff, v0
	s_mov_b32 s8, 0x47800000
	v_cmp_gt_u32_e32 vcc, s8, v5
                                        ; implicit-def: $vgpr4
	s_and_saveexec_b64 s[8:9], vcc
	s_xor_b64 s[8:9], exec, s[8:9]
	s_cbranch_execz .LBB20_510
; %bb.505:
	s_mov_b32 s10, 0x387fffff
	v_cmp_lt_u32_e32 vcc, s10, v5
                                        ; implicit-def: $vgpr4
	s_and_saveexec_b64 s[10:11], vcc
	s_xor_b64 s[10:11], exec, s[10:11]
; %bb.506:
	v_bfe_u32 v4, v0, 21, 1
	s_mov_b32 s12, 0x80fffff
	v_add3_u32 v4, v0, v4, s12
	v_lshrrev_b32_e32 v4, 21, v4
; %bb.507:
	s_andn2_saveexec_b64 s[10:11], s[10:11]
; %bb.508:
	s_mov_b32 s12, 0x43000000
	v_add_f32_e64 v4, |v0|, s12
; %bb.509:
	s_or_b64 exec, exec, s[10:11]
                                        ; implicit-def: $vgpr5
.LBB20_510:
	s_andn2_saveexec_b64 s[8:9], s[8:9]
; %bb.511:
	s_mov_b32 s10, 0x7f800000
	v_mov_b32_e32 v4, 0x7c
	v_mov_b32_e32 v6, 0x7f
	v_cmp_lt_u32_e32 vcc, s10, v5
	v_cndmask_b32_e32 v4, v4, v6, vcc
; %bb.512:
	s_or_b64 exec, exec, s[8:9]
	v_lshrrev_b32_e32 v5, 24, v0
	s_movk_i32 s8, 0x80
	v_and_or_b32 v4, v5, s8, v4
	global_store_byte v[2:3], v4, off
.LBB20_513:
	s_mov_b64 s[8:9], 0
.LBB20_514:
	s_andn2_b64 vcc, exec, s[8:9]
	s_mov_b64 s[8:9], 0
	s_cbranch_vccnz .LBB20_522
; %bb.515:
	s_cmp_gt_i32 s15, 14
	s_mov_b64 s[10:11], -1
	s_cbranch_scc0 .LBB20_519
; %bb.516:
	s_cmp_eq_u32 s15, 15
	s_mov_b64 s[4:5], -1
	s_cbranch_scc0 .LBB20_518
; %bb.517:
	v_bfe_u32 v4, v0, 16, 1
	s_movk_i32 s4, 0x7fff
	v_add3_u32 v4, v0, v4, s4
	v_cmp_o_f32_e32 vcc, v0, v0
	v_mov_b32_e32 v5, 0x7fc0
	v_cndmask_b32_sdwa v4, v5, v4, vcc dst_sel:DWORD dst_unused:UNUSED_PAD src0_sel:DWORD src1_sel:WORD_1
	global_store_short v[2:3], v4, off
	s_mov_b64 s[4:5], 0
.LBB20_518:
	s_mov_b64 s[10:11], 0
.LBB20_519:
	s_and_b64 vcc, exec, s[10:11]
	s_cbranch_vccz .LBB20_522
; %bb.520:
	s_cmp_lg_u32 s15, 11
	s_cselect_b64 s[10:11], -1, 0
	s_andn2_b64 s[4:5], s[4:5], exec
	s_and_b64 s[10:11], s[10:11], exec
	s_mov_b64 s[8:9], -1
	s_or_b64 s[4:5], s[4:5], s[10:11]
	s_branch .LBB20_522
.LBB20_521:
	s_mov_b64 s[8:9], 0
.LBB20_522:
	s_and_b64 s[10:11], s[6:7], exec
	s_and_b64 s[6:7], s[8:9], exec
	s_andn2_b64 s[8:9], s[72:73], exec
	s_and_b64 s[4:5], s[4:5], exec
	s_or_b64 s[8:9], s[8:9], s[4:5]
.LBB20_523:
	s_or_b64 exec, exec, s[74:75]
	s_and_b64 s[4:5], s[6:7], exec
	s_andn2_b64 s[6:7], s[72:73], exec
	s_and_b64 s[8:9], s[8:9], exec
	s_and_b64 s[10:11], s[10:11], exec
	s_or_b64 s[72:73], s[6:7], s[8:9]
.LBB20_524:
	s_or_b64 exec, exec, s[70:71]
	s_and_b64 s[6:7], s[10:11], exec
	s_andn2_b64 s[8:9], s[66:67], exec
	s_and_b64 s[10:11], s[72:73], exec
	s_and_b64 s[4:5], s[4:5], exec
	s_or_b64 s[66:67], s[8:9], s[10:11]
.LBB20_525:
	s_or_b64 exec, exec, s[68:69]
	s_and_b64 s[68:69], s[4:5], exec
	s_andn2_b64 s[4:5], s[62:63], exec
	s_and_b64 s[8:9], s[66:67], exec
	s_and_b64 s[6:7], s[6:7], exec
	s_or_b64 s[62:63], s[4:5], s[8:9]
	s_or_b64 exec, exec, s[64:65]
	s_mov_b64 s[4:5], 0
	s_and_saveexec_b64 s[8:9], s[62:63]
	s_cbranch_execz .LBB20_146
.LBB20_526:
	s_mov_b64 s[4:5], exec
	s_andn2_b64 s[68:69], s[68:69], exec
	s_trap 2
	s_or_b64 exec, exec, s[8:9]
	s_and_saveexec_b64 s[8:9], s[68:69]
	s_xor_b64 s[8:9], exec, s[8:9]
	s_cbranch_execnz .LBB20_147
.LBB20_527:
	s_or_b64 exec, exec, s[8:9]
	s_and_saveexec_b64 s[8:9], s[6:7]
	s_xor_b64 s[6:7], exec, s[8:9]
	s_cbranch_execz .LBB20_565
.LBB20_528:
	s_sext_i32_i16 s10, s14
	s_cmp_lt_i32 s10, 5
	s_mov_b64 s[8:9], -1
	s_cbranch_scc1 .LBB20_549
; %bb.529:
	s_cmp_lt_i32 s10, 8
	s_cbranch_scc1 .LBB20_539
; %bb.530:
	s_cmp_lt_i32 s10, 9
	s_cbranch_scc1 .LBB20_536
; %bb.531:
	s_cmp_gt_i32 s10, 9
	s_cbranch_scc0 .LBB20_533
; %bb.532:
	v_cvt_f64_f32_e32 v[4:5], v0
	v_cvt_f64_f32_e32 v[6:7], v1
	s_mov_b64 s[8:9], 0
	global_store_dwordx4 v[2:3], v[4:7], off
.LBB20_533:
	s_andn2_b64 vcc, exec, s[8:9]
	s_cbranch_vccnz .LBB20_535
; %bb.534:
	global_store_dwordx2 v[2:3], v[0:1], off
.LBB20_535:
	s_mov_b64 s[8:9], 0
.LBB20_536:
	s_andn2_b64 vcc, exec, s[8:9]
	s_cbranch_vccnz .LBB20_538
; %bb.537:
	v_cvt_f16_f32_e32 v4, v0
	v_cvt_f16_f32_sdwa v1, v1 dst_sel:WORD_1 dst_unused:UNUSED_PAD src0_sel:DWORD
	v_or_b32_e32 v1, v1, v4
	global_store_dword v[2:3], v1, off
.LBB20_538:
	s_mov_b64 s[8:9], 0
.LBB20_539:
	s_andn2_b64 vcc, exec, s[8:9]
	s_cbranch_vccnz .LBB20_548
; %bb.540:
	s_sext_i32_i16 s10, s14
	s_cmp_lt_i32 s10, 6
	s_mov_b64 s[8:9], -1
	s_cbranch_scc1 .LBB20_546
; %bb.541:
	s_cmp_gt_i32 s10, 6
	s_cbranch_scc0 .LBB20_543
; %bb.542:
	v_cvt_f64_f32_e32 v[4:5], v0
	s_mov_b64 s[8:9], 0
	global_store_dwordx2 v[2:3], v[4:5], off
.LBB20_543:
	s_andn2_b64 vcc, exec, s[8:9]
	s_cbranch_vccnz .LBB20_545
; %bb.544:
	global_store_dword v[2:3], v0, off
.LBB20_545:
	s_mov_b64 s[8:9], 0
.LBB20_546:
	s_andn2_b64 vcc, exec, s[8:9]
	s_cbranch_vccnz .LBB20_548
; %bb.547:
	v_cvt_f16_f32_e32 v1, v0
	global_store_short v[2:3], v1, off
.LBB20_548:
	s_mov_b64 s[8:9], 0
.LBB20_549:
	s_andn2_b64 vcc, exec, s[8:9]
	s_cbranch_vccnz .LBB20_565
; %bb.550:
	s_sext_i32_i16 s10, s14
	s_cmp_lt_i32 s10, 2
	s_mov_b64 s[8:9], -1
	s_cbranch_scc1 .LBB20_560
; %bb.551:
	s_cmp_lt_i32 s10, 3
	s_cbranch_scc1 .LBB20_557
; %bb.552:
	s_cmp_gt_i32 s10, 3
	s_cbranch_scc0 .LBB20_554
; %bb.553:
	v_trunc_f32_e32 v1, v0
	s_mov_b32 s8, 0x2f800000
	v_mul_f32_e64 v4, |v1|, s8
	v_floor_f32_e32 v4, v4
	s_mov_b32 s8, 0xcf800000
	v_cvt_u32_f32_e32 v5, v4
	v_fma_f32 v4, v4, s8, |v1|
	v_cvt_u32_f32_e32 v4, v4
	v_ashrrev_i32_e32 v1, 31, v1
	v_xor_b32_e32 v5, v5, v1
	s_mov_b64 s[8:9], 0
	v_xor_b32_e32 v4, v4, v1
	v_sub_co_u32_e32 v4, vcc, v4, v1
	v_subb_co_u32_e32 v5, vcc, v5, v1, vcc
	global_store_dwordx2 v[2:3], v[4:5], off
.LBB20_554:
	s_andn2_b64 vcc, exec, s[8:9]
	s_cbranch_vccnz .LBB20_556
; %bb.555:
	v_cvt_i32_f32_e32 v1, v0
	global_store_dword v[2:3], v1, off
.LBB20_556:
	s_mov_b64 s[8:9], 0
.LBB20_557:
	s_andn2_b64 vcc, exec, s[8:9]
	s_cbranch_vccnz .LBB20_559
; %bb.558:
	v_cvt_i32_f32_e32 v1, v0
	global_store_short v[2:3], v1, off
.LBB20_559:
	s_mov_b64 s[8:9], 0
.LBB20_560:
	s_andn2_b64 vcc, exec, s[8:9]
	s_cbranch_vccnz .LBB20_565
; %bb.561:
	s_sext_i32_i16 s8, s14
	s_cmp_gt_i32 s8, 0
	s_mov_b64 s[8:9], -1
	s_cbranch_scc0 .LBB20_563
; %bb.562:
	v_cvt_i32_f32_e32 v1, v0
	s_mov_b64 s[8:9], 0
	global_store_byte v[2:3], v1, off
.LBB20_563:
	s_andn2_b64 vcc, exec, s[8:9]
	s_cbranch_vccnz .LBB20_565
; %bb.564:
	v_trunc_f32_e32 v0, v0
	s_mov_b32 s8, 0x2f800000
	v_mul_f32_e64 v1, |v0|, s8
	v_floor_f32_e32 v1, v1
	s_mov_b32 s8, 0xcf800000
	v_fma_f32 v1, v1, s8, |v0|
	v_cvt_u32_f32_e32 v1, v1
	v_ashrrev_i32_e32 v0, 31, v0
	v_xor_b32_e32 v1, v1, v0
	v_sub_u32_e32 v0, v1, v0
	global_store_byte v[2:3], v0, off
.LBB20_565:
	s_or_b64 exec, exec, s[6:7]
	s_waitcnt lgkmcnt(0)
	s_and_b64 s[40:41], s[4:5], exec
                                        ; implicit-def: $vgpr1
                                        ; implicit-def: $vgpr23
.LBB20_566:
	s_or_saveexec_b64 s[42:43], s[52:53]
	s_mov_b64 s[4:5], 0
                                        ; implicit-def: $sgpr16
                                        ; implicit-def: $vgpr2_vgpr3
                                        ; implicit-def: $vgpr0
	s_xor_b64 exec, exec, s[42:43]
	s_cbranch_execz .LBB20_1055
; %bb.567:
	v_cndmask_b32_e64 v0, 0, 1, s[50:51]
	v_cmp_ne_u32_e64 s[4:5], 1, v0
	s_andn2_b64 vcc, exec, s[50:51]
	s_cbranch_vccnz .LBB20_573
; %bb.568:
	s_cmp_lg_u32 s33, 0
	s_mov_b32 s36, 0
	s_cbranch_scc0 .LBB20_574
; %bb.569:
	s_min_u32 s37, s76, 15
	s_add_i32 s37, s37, 1
	s_cmp_eq_u32 s76, 2
	s_cbranch_scc1 .LBB20_575
; %bb.570:
	s_and_b32 s36, s37, 28
	s_add_u32 s6, s34, 0xc4
	s_addc_u32 s7, s35, 0
	v_mov_b32_e32 v2, 0
	s_mov_b32 s38, 0
	s_mov_b64 s[30:31], s[34:35]
	v_mov_b32_e32 v34, 0
	v_mov_b32_e32 v0, v23
.LBB20_571:                             ; =>This Inner Loop Header: Depth=1
	s_load_dwordx8 s[16:23], s[30:31], 0x4
	s_load_dwordx4 s[24:27], s[30:31], 0x24
	s_load_dwordx8 s[8:15], s[6:7], 0x0
	s_add_u32 s30, s30, 48
	s_addc_u32 s31, s31, 0
	s_waitcnt lgkmcnt(0)
	v_mul_hi_u32 v3, s17, v0
	s_add_i32 s38, s38, 4
	s_add_u32 s6, s6, 32
	s_addc_u32 s7, s7, 0
	v_add_u32_e32 v3, v0, v3
	v_lshrrev_b32_e32 v3, s18, v3
	v_mul_lo_u32 v4, v3, s16
	v_mul_hi_u32 v5, s20, v3
	s_cmp_lg_u32 s36, s38
	v_sub_u32_e32 v0, v0, v4
	v_add_u32_e32 v4, v3, v5
	v_mul_lo_u32 v5, v0, s8
	v_mul_lo_u32 v6, v0, s9
	v_lshrrev_b32_e32 v0, s21, v4
	v_mul_lo_u32 v4, v0, s19
	v_mul_hi_u32 v7, s23, v0
	v_sub_u32_e32 v3, v3, v4
	v_add_u32_e32 v4, v0, v7
	v_lshrrev_b32_e32 v4, s24, v4
	v_mul_hi_u32 v8, s26, v4
	v_mul_lo_u32 v9, v4, s22
	v_mul_lo_u32 v7, v3, s10
	;; [unrolled: 1-line block ×3, first 2 shown]
	v_sub_u32_e32 v9, v0, v9
	v_add_u32_e32 v0, v4, v8
	v_lshrrev_b32_e32 v0, s27, v0
	v_mul_lo_u32 v8, v0, s25
	v_mul_lo_u32 v10, v9, s12
	;; [unrolled: 1-line block ×3, first 2 shown]
	v_add3_u32 v5, v5, v34, v7
	v_sub_u32_e32 v4, v4, v8
	v_mul_lo_u32 v8, v4, s14
	v_mul_lo_u32 v4, v4, s15
	v_add3_u32 v2, v6, v2, v3
	v_add3_u32 v34, v10, v5, v8
	;; [unrolled: 1-line block ×3, first 2 shown]
	s_cbranch_scc1 .LBB20_571
; %bb.572:
	s_and_b32 s10, s37, 3
	s_cmp_eq_u32 s10, 0
	s_cbranch_scc0 .LBB20_576
	s_branch .LBB20_578
.LBB20_573:
                                        ; implicit-def: $vgpr34
                                        ; implicit-def: $vgpr2
	s_branch .LBB20_579
.LBB20_574:
	v_mov_b32_e32 v34, 0
	v_mov_b32_e32 v2, 0
	s_branch .LBB20_578
.LBB20_575:
	v_mov_b32_e32 v34, 0
	v_mov_b32_e32 v2, 0
	;; [unrolled: 1-line block ×3, first 2 shown]
	s_and_b32 s10, s37, 3
	s_cmp_eq_u32 s10, 0
	s_cbranch_scc1 .LBB20_578
.LBB20_576:
	s_lshl_b32 s6, s36, 3
	s_add_u32 s6, s34, s6
	s_addc_u32 s7, s35, 0
	s_add_u32 s6, s6, 0xc4
	s_addc_u32 s7, s7, 0
	s_mul_i32 s8, s36, 12
	s_add_u32 s8, s34, s8
	s_addc_u32 s9, s35, 0
.LBB20_577:                             ; =>This Inner Loop Header: Depth=1
	s_load_dwordx2 s[12:13], s[8:9], 0x4
	s_load_dword s11, s[8:9], 0xc
	s_load_dwordx2 s[14:15], s[6:7], 0x0
	s_add_u32 s8, s8, 12
	s_addc_u32 s9, s9, 0
	s_waitcnt lgkmcnt(0)
	v_mul_hi_u32 v3, s13, v0
	s_add_u32 s6, s6, 8
	s_addc_u32 s7, s7, 0
	s_add_i32 s10, s10, -1
	v_add_u32_e32 v3, v0, v3
	v_lshrrev_b32_e32 v4, s11, v3
	v_mul_lo_u32 v3, v4, s12
	s_cmp_lg_u32 s10, 0
	v_sub_u32_e32 v0, v0, v3
	v_mad_u64_u32 v[34:35], s[12:13], v0, s14, v[34:35]
	v_mad_u64_u32 v[2:3], s[12:13], v0, s15, v[2:3]
	v_mov_b32_e32 v0, v4
	s_cbranch_scc1 .LBB20_577
.LBB20_578:
	s_cbranch_execnz .LBB20_581
.LBB20_579:
	s_load_dwordx4 s[8:11], s[34:35], 0x4
	s_load_dwordx2 s[6:7], s[34:35], 0xc4
	s_cmp_lt_u32 s33, 2
	s_waitcnt lgkmcnt(0)
	v_mul_hi_u32 v0, s9, v23
	v_add_u32_e32 v0, v23, v0
	v_lshrrev_b32_e32 v0, s10, v0
	v_mul_lo_u32 v2, v0, s8
	v_sub_u32_e32 v2, v23, v2
	v_mul_lo_u32 v34, v2, s6
	v_mul_lo_u32 v2, v2, s7
	s_cbranch_scc1 .LBB20_581
; %bb.580:
	s_load_dwordx4 s[8:11], s[34:35], 0x10
	s_load_dwordx2 s[6:7], s[34:35], 0xcc
	s_waitcnt lgkmcnt(0)
	v_mul_hi_u32 v3, s9, v0
	v_add_u32_e32 v3, v0, v3
	v_lshrrev_b32_e32 v3, s10, v3
	v_mul_lo_u32 v3, v3, s8
	v_sub_u32_e32 v0, v0, v3
	v_mad_u64_u32 v[34:35], s[8:9], v0, s6, v[34:35]
	v_mad_u64_u32 v[2:3], s[6:7], v0, s7, v[2:3]
.LBB20_581:
	s_and_b64 vcc, exec, s[4:5]
	v_add_u32_e32 v0, 0x80, v23
	s_cbranch_vccnz .LBB20_587
; %bb.582:
	s_cmp_lg_u32 s33, 0
	s_mov_b32 s36, 0
	s_cbranch_scc0 .LBB20_588
; %bb.583:
	s_min_u32 s37, s76, 15
	s_add_i32 s37, s37, 1
	s_cmp_eq_u32 s76, 2
	s_cbranch_scc1 .LBB20_589
; %bb.584:
	s_and_b32 s36, s37, 28
	s_add_u32 s6, s34, 0xc4
	s_addc_u32 s7, s35, 0
	v_mov_b32_e32 v20, 0
	s_mov_b32 s38, 0
	s_mov_b64 s[30:31], s[34:35]
	v_mov_b32_e32 v32, 0
	v_mov_b32_e32 v3, v0
.LBB20_585:                             ; =>This Inner Loop Header: Depth=1
	s_load_dwordx8 s[16:23], s[30:31], 0x4
	s_load_dwordx4 s[24:27], s[30:31], 0x24
	s_load_dwordx8 s[8:15], s[6:7], 0x0
	s_add_u32 s30, s30, 48
	s_addc_u32 s31, s31, 0
	s_waitcnt lgkmcnt(0)
	v_mul_hi_u32 v4, s17, v3
	s_add_i32 s38, s38, 4
	s_add_u32 s6, s6, 32
	s_addc_u32 s7, s7, 0
	v_add_u32_e32 v4, v3, v4
	v_lshrrev_b32_e32 v4, s18, v4
	v_mul_lo_u32 v5, v4, s16
	v_mul_hi_u32 v6, s20, v4
	s_cmp_lg_u32 s36, s38
	v_sub_u32_e32 v3, v3, v5
	v_add_u32_e32 v5, v4, v6
	v_mul_lo_u32 v6, v3, s8
	v_mul_lo_u32 v7, v3, s9
	v_lshrrev_b32_e32 v3, s21, v5
	v_mul_lo_u32 v5, v3, s19
	v_mul_hi_u32 v8, s23, v3
	v_sub_u32_e32 v4, v4, v5
	v_add_u32_e32 v5, v3, v8
	v_lshrrev_b32_e32 v5, s24, v5
	v_mul_hi_u32 v9, s26, v5
	v_mul_lo_u32 v10, v5, s22
	v_mul_lo_u32 v8, v4, s10
	;; [unrolled: 1-line block ×3, first 2 shown]
	v_sub_u32_e32 v10, v3, v10
	v_add_u32_e32 v3, v5, v9
	v_lshrrev_b32_e32 v3, s27, v3
	v_mul_lo_u32 v9, v3, s25
	v_mul_lo_u32 v11, v10, s12
	;; [unrolled: 1-line block ×3, first 2 shown]
	v_add3_u32 v6, v6, v32, v8
	v_sub_u32_e32 v5, v5, v9
	v_mul_lo_u32 v9, v5, s14
	v_mul_lo_u32 v5, v5, s15
	v_add3_u32 v4, v7, v20, v4
	v_add3_u32 v32, v11, v6, v9
	;; [unrolled: 1-line block ×3, first 2 shown]
	s_cbranch_scc1 .LBB20_585
; %bb.586:
	s_and_b32 s10, s37, 3
	s_cmp_eq_u32 s10, 0
	s_cbranch_scc0 .LBB20_590
	s_branch .LBB20_592
.LBB20_587:
                                        ; implicit-def: $vgpr32
                                        ; implicit-def: $vgpr20
	s_branch .LBB20_593
.LBB20_588:
	v_mov_b32_e32 v32, 0
	v_mov_b32_e32 v20, 0
	s_branch .LBB20_592
.LBB20_589:
	v_mov_b32_e32 v32, 0
	v_mov_b32_e32 v20, 0
	;; [unrolled: 1-line block ×3, first 2 shown]
	s_and_b32 s10, s37, 3
	s_cmp_eq_u32 s10, 0
	s_cbranch_scc1 .LBB20_592
.LBB20_590:
	s_lshl_b32 s6, s36, 3
	s_add_u32 s6, s34, s6
	s_addc_u32 s7, s35, 0
	s_add_u32 s6, s6, 0xc4
	s_addc_u32 s7, s7, 0
	s_mul_i32 s8, s36, 12
	s_add_u32 s8, s34, s8
	s_addc_u32 s9, s35, 0
.LBB20_591:                             ; =>This Inner Loop Header: Depth=1
	s_load_dwordx2 s[12:13], s[8:9], 0x4
	s_load_dword s11, s[8:9], 0xc
	s_load_dwordx2 s[14:15], s[6:7], 0x0
	s_add_u32 s8, s8, 12
	s_addc_u32 s9, s9, 0
	s_waitcnt lgkmcnt(0)
	v_mul_hi_u32 v4, s13, v3
	s_add_u32 s6, s6, 8
	s_addc_u32 s7, s7, 0
	s_add_i32 s10, s10, -1
	v_add_u32_e32 v4, v3, v4
	v_lshrrev_b32_e32 v4, s11, v4
	v_mul_lo_u32 v5, v4, s12
	s_cmp_lg_u32 s10, 0
	v_sub_u32_e32 v3, v3, v5
	v_mad_u64_u32 v[32:33], s[12:13], v3, s14, v[32:33]
	v_mad_u64_u32 v[20:21], s[12:13], v3, s15, v[20:21]
	v_mov_b32_e32 v3, v4
	s_cbranch_scc1 .LBB20_591
.LBB20_592:
	s_cbranch_execnz .LBB20_595
.LBB20_593:
	s_load_dwordx4 s[8:11], s[34:35], 0x4
	s_load_dwordx2 s[6:7], s[34:35], 0xc4
	s_cmp_lt_u32 s33, 2
	s_waitcnt lgkmcnt(0)
	v_mul_hi_u32 v3, s9, v0
	v_add_u32_e32 v3, v0, v3
	v_lshrrev_b32_e32 v3, s10, v3
	v_mul_lo_u32 v4, v3, s8
	v_sub_u32_e32 v0, v0, v4
	v_mul_lo_u32 v32, v0, s6
	v_mul_lo_u32 v20, v0, s7
	s_cbranch_scc1 .LBB20_595
; %bb.594:
	s_load_dwordx4 s[8:11], s[34:35], 0x10
	s_load_dwordx2 s[6:7], s[34:35], 0xcc
	s_waitcnt lgkmcnt(0)
	v_mul_hi_u32 v0, s9, v3
	v_add_u32_e32 v0, v3, v0
	v_lshrrev_b32_e32 v0, s10, v0
	v_mul_lo_u32 v0, v0, s8
	v_sub_u32_e32 v0, v3, v0
	v_mad_u64_u32 v[32:33], s[8:9], v0, s6, v[32:33]
	v_mad_u64_u32 v[20:21], s[6:7], v0, s7, v[20:21]
.LBB20_595:
	s_and_b64 vcc, exec, s[4:5]
	v_add_u32_e32 v0, 0x100, v23
	s_cbranch_vccnz .LBB20_601
; %bb.596:
	s_cmp_lg_u32 s33, 0
	s_mov_b32 s36, 0
	s_cbranch_scc0 .LBB20_602
; %bb.597:
	s_min_u32 s37, s76, 15
	s_add_i32 s37, s37, 1
	s_cmp_eq_u32 s76, 2
	s_cbranch_scc1 .LBB20_603
; %bb.598:
	s_and_b32 s36, s37, 28
	s_add_u32 s6, s34, 0xc4
	s_addc_u32 s7, s35, 0
	v_mov_b32_e32 v21, 0
	s_mov_b32 s38, 0
	s_mov_b64 s[30:31], s[34:35]
	v_mov_b32_e32 v30, 0
	v_mov_b32_e32 v3, v0
.LBB20_599:                             ; =>This Inner Loop Header: Depth=1
	s_load_dwordx8 s[16:23], s[30:31], 0x4
	s_load_dwordx4 s[24:27], s[30:31], 0x24
	s_load_dwordx8 s[8:15], s[6:7], 0x0
	s_add_u32 s30, s30, 48
	s_addc_u32 s31, s31, 0
	s_waitcnt lgkmcnt(0)
	v_mul_hi_u32 v4, s17, v3
	s_add_i32 s38, s38, 4
	s_add_u32 s6, s6, 32
	s_addc_u32 s7, s7, 0
	v_add_u32_e32 v4, v3, v4
	v_lshrrev_b32_e32 v4, s18, v4
	v_mul_lo_u32 v5, v4, s16
	v_mul_hi_u32 v6, s20, v4
	s_cmp_lg_u32 s36, s38
	v_sub_u32_e32 v3, v3, v5
	v_add_u32_e32 v5, v4, v6
	v_mul_lo_u32 v6, v3, s8
	v_mul_lo_u32 v7, v3, s9
	v_lshrrev_b32_e32 v3, s21, v5
	v_mul_lo_u32 v5, v3, s19
	v_mul_hi_u32 v8, s23, v3
	v_sub_u32_e32 v4, v4, v5
	v_add_u32_e32 v5, v3, v8
	v_lshrrev_b32_e32 v5, s24, v5
	v_mul_hi_u32 v9, s26, v5
	v_mul_lo_u32 v10, v5, s22
	v_mul_lo_u32 v8, v4, s10
	;; [unrolled: 1-line block ×3, first 2 shown]
	v_sub_u32_e32 v10, v3, v10
	v_add_u32_e32 v3, v5, v9
	v_lshrrev_b32_e32 v3, s27, v3
	v_mul_lo_u32 v9, v3, s25
	v_mul_lo_u32 v11, v10, s12
	;; [unrolled: 1-line block ×3, first 2 shown]
	v_add3_u32 v6, v6, v30, v8
	v_sub_u32_e32 v5, v5, v9
	v_mul_lo_u32 v9, v5, s14
	v_mul_lo_u32 v5, v5, s15
	v_add3_u32 v4, v7, v21, v4
	v_add3_u32 v30, v11, v6, v9
	v_add3_u32 v21, v10, v4, v5
	s_cbranch_scc1 .LBB20_599
; %bb.600:
	s_and_b32 s10, s37, 3
	s_cmp_eq_u32 s10, 0
	s_cbranch_scc0 .LBB20_604
	s_branch .LBB20_606
.LBB20_601:
                                        ; implicit-def: $vgpr30
                                        ; implicit-def: $vgpr21
	s_branch .LBB20_607
.LBB20_602:
	v_mov_b32_e32 v30, 0
	v_mov_b32_e32 v21, 0
	s_branch .LBB20_606
.LBB20_603:
	v_mov_b32_e32 v30, 0
	v_mov_b32_e32 v21, 0
	;; [unrolled: 1-line block ×3, first 2 shown]
	s_and_b32 s10, s37, 3
	s_cmp_eq_u32 s10, 0
	s_cbranch_scc1 .LBB20_606
.LBB20_604:
	s_lshl_b32 s6, s36, 3
	s_add_u32 s6, s34, s6
	s_addc_u32 s7, s35, 0
	s_add_u32 s6, s6, 0xc4
	s_addc_u32 s7, s7, 0
	s_mul_i32 s8, s36, 12
	s_add_u32 s8, s34, s8
	s_addc_u32 s9, s35, 0
.LBB20_605:                             ; =>This Inner Loop Header: Depth=1
	s_load_dwordx2 s[12:13], s[8:9], 0x4
	s_load_dword s11, s[8:9], 0xc
	s_load_dwordx2 s[14:15], s[6:7], 0x0
	s_add_u32 s8, s8, 12
	s_addc_u32 s9, s9, 0
	s_waitcnt lgkmcnt(0)
	v_mul_hi_u32 v4, s13, v3
	s_add_u32 s6, s6, 8
	s_addc_u32 s7, s7, 0
	s_add_i32 s10, s10, -1
	v_add_u32_e32 v4, v3, v4
	v_lshrrev_b32_e32 v4, s11, v4
	v_mul_lo_u32 v5, v4, s12
	s_cmp_lg_u32 s10, 0
	v_sub_u32_e32 v3, v3, v5
	v_mad_u64_u32 v[30:31], s[12:13], v3, s14, v[30:31]
	v_mad_u64_u32 v[21:22], s[12:13], v3, s15, v[21:22]
	v_mov_b32_e32 v3, v4
	s_cbranch_scc1 .LBB20_605
.LBB20_606:
	s_cbranch_execnz .LBB20_609
.LBB20_607:
	s_load_dwordx4 s[8:11], s[34:35], 0x4
	s_load_dwordx2 s[6:7], s[34:35], 0xc4
	s_cmp_lt_u32 s33, 2
	s_waitcnt lgkmcnt(0)
	v_mul_hi_u32 v3, s9, v0
	v_add_u32_e32 v3, v0, v3
	v_lshrrev_b32_e32 v3, s10, v3
	v_mul_lo_u32 v4, v3, s8
	v_sub_u32_e32 v0, v0, v4
	v_mul_lo_u32 v30, v0, s6
	v_mul_lo_u32 v21, v0, s7
	s_cbranch_scc1 .LBB20_609
; %bb.608:
	s_load_dwordx4 s[8:11], s[34:35], 0x10
	s_load_dwordx2 s[6:7], s[34:35], 0xcc
	s_waitcnt lgkmcnt(0)
	v_mul_hi_u32 v0, s9, v3
	v_add_u32_e32 v0, v3, v0
	v_lshrrev_b32_e32 v0, s10, v0
	v_mul_lo_u32 v0, v0, s8
	v_sub_u32_e32 v0, v3, v0
	v_mad_u64_u32 v[30:31], s[8:9], v0, s6, v[30:31]
	v_mad_u64_u32 v[21:22], s[6:7], v0, s7, v[21:22]
.LBB20_609:
	s_and_b64 vcc, exec, s[4:5]
	s_cbranch_vccnz .LBB20_615
; %bb.610:
	s_cmp_lg_u32 s33, 0
	s_mov_b32 s30, 0
	s_cbranch_scc0 .LBB20_616
; %bb.611:
	s_min_u32 s31, s76, 15
	s_add_i32 s31, s31, 1
	s_cmp_eq_u32 s76, 2
	s_cbranch_scc1 .LBB20_617
; %bb.612:
	s_and_b32 s30, s31, 28
	s_add_u32 s24, s34, 0xc4
	s_addc_u32 s25, s35, 0
	v_mov_b32_e32 v26, 0
	s_mov_b32 s36, 0
	s_mov_b64 s[26:27], s[34:35]
	v_mov_b32_e32 v28, 0
	v_mov_b32_e32 v0, v1
.LBB20_613:                             ; =>This Inner Loop Header: Depth=1
	s_load_dwordx8 s[12:19], s[26:27], 0x4
	s_load_dwordx4 s[20:23], s[26:27], 0x24
	s_load_dwordx8 s[4:11], s[24:25], 0x0
	s_add_u32 s26, s26, 48
	s_addc_u32 s27, s27, 0
	s_waitcnt lgkmcnt(0)
	v_mul_hi_u32 v3, s13, v0
	s_add_i32 s36, s36, 4
	s_add_u32 s24, s24, 32
	s_addc_u32 s25, s25, 0
	v_add_u32_e32 v3, v0, v3
	v_lshrrev_b32_e32 v3, s14, v3
	v_mul_lo_u32 v4, v3, s12
	v_mul_hi_u32 v5, s16, v3
	s_cmp_lg_u32 s30, s36
	v_sub_u32_e32 v0, v0, v4
	v_add_u32_e32 v4, v3, v5
	v_mul_lo_u32 v5, v0, s4
	v_mul_lo_u32 v6, v0, s5
	v_lshrrev_b32_e32 v0, s17, v4
	v_mul_lo_u32 v4, v0, s15
	v_mul_hi_u32 v7, s19, v0
	v_sub_u32_e32 v3, v3, v4
	v_add_u32_e32 v4, v0, v7
	v_lshrrev_b32_e32 v4, s20, v4
	v_mul_hi_u32 v8, s22, v4
	v_mul_lo_u32 v9, v4, s18
	v_mul_lo_u32 v7, v3, s6
	;; [unrolled: 1-line block ×3, first 2 shown]
	v_sub_u32_e32 v9, v0, v9
	v_add_u32_e32 v0, v4, v8
	v_lshrrev_b32_e32 v0, s23, v0
	v_mul_lo_u32 v8, v0, s21
	v_mul_lo_u32 v10, v9, s8
	;; [unrolled: 1-line block ×3, first 2 shown]
	v_add3_u32 v5, v5, v28, v7
	v_sub_u32_e32 v4, v4, v8
	v_mul_lo_u32 v8, v4, s10
	v_mul_lo_u32 v4, v4, s11
	v_add3_u32 v3, v6, v26, v3
	v_add3_u32 v28, v10, v5, v8
	;; [unrolled: 1-line block ×3, first 2 shown]
	s_cbranch_scc1 .LBB20_613
; %bb.614:
	s_and_b32 s8, s31, 3
	s_cmp_eq_u32 s8, 0
	s_cbranch_scc0 .LBB20_618
	s_branch .LBB20_620
.LBB20_615:
                                        ; implicit-def: $vgpr28
                                        ; implicit-def: $vgpr26
	s_branch .LBB20_621
.LBB20_616:
	v_mov_b32_e32 v28, 0
	v_mov_b32_e32 v26, 0
	s_branch .LBB20_620
.LBB20_617:
	v_mov_b32_e32 v28, 0
	v_mov_b32_e32 v26, 0
	;; [unrolled: 1-line block ×3, first 2 shown]
	s_and_b32 s8, s31, 3
	s_cmp_eq_u32 s8, 0
	s_cbranch_scc1 .LBB20_620
.LBB20_618:
	s_lshl_b32 s4, s30, 3
	s_add_u32 s4, s34, s4
	s_addc_u32 s5, s35, 0
	s_add_u32 s4, s4, 0xc4
	s_addc_u32 s5, s5, 0
	s_mul_i32 s6, s30, 12
	s_add_u32 s6, s34, s6
	s_addc_u32 s7, s35, 0
.LBB20_619:                             ; =>This Inner Loop Header: Depth=1
	s_load_dwordx2 s[10:11], s[6:7], 0x4
	s_load_dword s9, s[6:7], 0xc
	s_load_dwordx2 s[12:13], s[4:5], 0x0
	s_add_u32 s6, s6, 12
	s_addc_u32 s7, s7, 0
	s_waitcnt lgkmcnt(0)
	v_mul_hi_u32 v3, s11, v0
	s_add_u32 s4, s4, 8
	s_addc_u32 s5, s5, 0
	s_add_i32 s8, s8, -1
	v_add_u32_e32 v3, v0, v3
	v_lshrrev_b32_e32 v3, s9, v3
	v_mul_lo_u32 v4, v3, s10
	s_cmp_lg_u32 s8, 0
	v_sub_u32_e32 v0, v0, v4
	v_mad_u64_u32 v[28:29], s[10:11], v0, s12, v[28:29]
	v_mad_u64_u32 v[26:27], s[10:11], v0, s13, v[26:27]
	v_mov_b32_e32 v0, v3
	s_cbranch_scc1 .LBB20_619
.LBB20_620:
	s_cbranch_execnz .LBB20_623
.LBB20_621:
	s_load_dwordx4 s[4:7], s[34:35], 0x4
	s_load_dwordx2 s[8:9], s[34:35], 0xc4
	s_cmp_lt_u32 s33, 2
	s_waitcnt lgkmcnt(0)
	v_mul_hi_u32 v0, s5, v1
	v_add_u32_e32 v0, v1, v0
	v_lshrrev_b32_e32 v0, s6, v0
	v_mul_lo_u32 v3, v0, s4
	v_sub_u32_e32 v1, v1, v3
	v_mul_lo_u32 v28, v1, s8
	v_mul_lo_u32 v26, v1, s9
	s_cbranch_scc1 .LBB20_623
; %bb.622:
	s_load_dwordx4 s[4:7], s[34:35], 0x10
	s_load_dwordx2 s[8:9], s[34:35], 0xcc
	s_waitcnt lgkmcnt(0)
	v_mul_hi_u32 v1, s5, v0
	v_add_u32_e32 v1, v0, v1
	v_lshrrev_b32_e32 v1, s6, v1
	v_mul_lo_u32 v1, v1, s4
	v_sub_u32_e32 v0, v0, v1
	v_mad_u64_u32 v[28:29], s[4:5], v0, s8, v[28:29]
	v_mad_u64_u32 v[26:27], s[4:5], v0, s9, v[26:27]
.LBB20_623:
	s_load_dword s33, s[28:29], 0x160
	s_load_dwordx4 s[36:39], s[34:35], 0x148
	s_getpc_b64 s[28:29]
	s_add_u32 s28, s28, _ZN2at6native6invokeIZZZNS0_16asin_kernel_cudaERNS_18TensorIteratorBaseEENKUlvE_clEvENKUlvE0_clEvEUlN3c107complexIfEEE_j15function_traitsIS9_EEENT1_11result_typeERKT_PrKPcPKT0_PKNS6_10ScalarTypeEi@rel32@lo+4
	s_addc_u32 s29, s29, _ZN2at6native6invokeIZZZNS0_16asin_kernel_cudaERNS_18TensorIteratorBaseEENKUlvE_clEvENKUlvE0_clEvEUlN3c107complexIfEEE_j15function_traitsIS9_EEENT1_11result_typeERKT_PrKPcPKT0_PKNS6_10ScalarTypeEi@rel32@hi+12
	s_waitcnt lgkmcnt(0)
	s_lshr_b32 s34, s33, 16
	v_mov_b32_e32 v0, s38
	v_mov_b32_e32 v1, s39
	v_mov_b32_e32 v3, s34
	s_swappc_b64 s[30:31], s[28:29]
	v_mov_b32_e32 v24, v0
	v_mov_b32_e32 v25, v1
	v_mov_b32_e32 v0, s38
	v_mov_b32_e32 v1, s39
	v_mov_b32_e32 v2, v20
	v_mov_b32_e32 v3, s34
	s_swappc_b64 s[30:31], s[28:29]
	v_mov_b32_e32 v22, v0
	v_mov_b32_e32 v23, v1
	v_mov_b32_e32 v0, s38
	;; [unrolled: 7-line block ×3, first 2 shown]
	v_mov_b32_e32 v1, s39
	v_mov_b32_e32 v2, v26
	;; [unrolled: 1-line block ×3, first 2 shown]
	s_swappc_b64 s[30:31], s[28:29]
	v_mov_b32_e32 v3, s37
	s_bfe_u32 s14, s33, 0x80008
	v_add_co_u32_e32 v2, vcc, s36, v34
	s_cmp_lt_i32 s14, 11
	v_addc_co_u32_e32 v3, vcc, 0, v3, vcc
	s_cbranch_scc1 .LBB20_702
; %bb.624:
	s_and_b32 s15, 0xffff, s14
	s_mov_b64 s[6:7], -1
	s_mov_b64 s[8:9], 0
	s_cmp_gt_i32 s15, 25
	s_mov_b64 s[10:11], 0
	s_mov_b64 s[4:5], 0
	s_cbranch_scc0 .LBB20_657
; %bb.625:
	s_cmp_gt_i32 s15, 28
	s_cbranch_scc0 .LBB20_640
; %bb.626:
	s_cmp_gt_i32 s15, 43
	s_cbranch_scc0 .LBB20_636
; %bb.627:
	s_cmp_gt_i32 s15, 45
	s_cbranch_scc0 .LBB20_630
; %bb.628:
	s_mov_b64 s[4:5], -1
	s_mov_b64 s[6:7], 0
	s_cmp_eq_u32 s15, 46
	s_cbranch_scc0 .LBB20_630
; %bb.629:
	s_movk_i32 s4, 0x7fff
	v_bfe_u32 v5, v25, 16, 1
	v_add3_u32 v5, v25, v5, s4
	v_bfe_u32 v4, v24, 16, 1
	v_and_b32_e32 v5, 0xffff0000, v5
	v_mov_b32_e32 v6, 0x7fc00000
	v_cmp_o_f32_e32 vcc, v25, v25
	v_add3_u32 v4, v24, v4, s4
	v_cndmask_b32_e32 v5, v6, v5, vcc
	v_cmp_o_f32_e32 vcc, v24, v24
	v_mov_b32_e32 v6, 0x7fc0
	v_cndmask_b32_sdwa v4, v6, v4, vcc dst_sel:DWORD dst_unused:UNUSED_PAD src0_sel:DWORD src1_sel:WORD_1
	v_or_b32_e32 v4, v5, v4
	global_store_dword v[2:3], v4, off
	s_mov_b64 s[4:5], 0
	s_mov_b64 s[10:11], -1
.LBB20_630:
	s_and_b64 vcc, exec, s[6:7]
	s_cbranch_vccz .LBB20_635
; %bb.631:
	s_cmp_eq_u32 s15, 44
	s_mov_b64 s[4:5], -1
	s_cbranch_scc0 .LBB20_635
; %bb.632:
	v_bfe_u32 v4, v24, 23, 8
	s_movk_i32 s4, 0xff
	v_cmp_ne_u32_e32 vcc, s4, v4
	v_mov_b32_e32 v5, 0xff
	s_and_saveexec_b64 s[6:7], vcc
; %bb.633:
	s_mov_b32 s4, 0x3fffff
	v_and_b32_e32 v6, 0x400000, v24
	v_and_or_b32 v4, v24, s4, v4
	v_cmp_ne_u32_e32 vcc, 0, v6
	v_cmp_ne_u32_e64 s[4:5], 0, v4
	s_and_b64 s[4:5], vcc, s[4:5]
	v_lshrrev_b32_e32 v5, 23, v24
	v_cndmask_b32_e64 v4, 0, 1, s[4:5]
	v_add_u32_e32 v5, v5, v4
; %bb.634:
	s_or_b64 exec, exec, s[6:7]
	s_mov_b64 s[4:5], 0
	s_mov_b64 s[10:11], -1
	global_store_byte v[2:3], v5, off
.LBB20_635:
	s_mov_b64 s[6:7], 0
.LBB20_636:
	s_and_b64 vcc, exec, s[6:7]
	s_cbranch_vccz .LBB20_639
; %bb.637:
	s_cmp_eq_u32 s15, 29
	s_mov_b64 s[4:5], -1
	s_cbranch_scc0 .LBB20_639
; %bb.638:
	v_trunc_f32_e32 v4, v24
	v_mul_f32_e32 v5, 0x2f800000, v4
	v_floor_f32_e32 v6, v5
	v_fmac_f32_e32 v4, 0xcf800000, v6
	v_cvt_u32_f32_e32 v5, v6
	v_cvt_u32_f32_e32 v4, v4
	s_mov_b64 s[4:5], 0
	s_mov_b64 s[10:11], -1
	global_store_dwordx2 v[2:3], v[4:5], off
.LBB20_639:
	s_mov_b64 s[6:7], 0
.LBB20_640:
	s_and_b64 vcc, exec, s[6:7]
	s_cbranch_vccz .LBB20_656
; %bb.641:
	s_cmp_lt_i32 s15, 27
	s_mov_b64 s[6:7], -1
	s_cbranch_scc1 .LBB20_647
; %bb.642:
	s_cmp_gt_i32 s15, 27
	s_cbranch_scc0 .LBB20_644
; %bb.643:
	v_cvt_u32_f32_e32 v4, v24
	s_mov_b64 s[6:7], 0
	global_store_dword v[2:3], v4, off
.LBB20_644:
	s_andn2_b64 vcc, exec, s[6:7]
	s_cbranch_vccnz .LBB20_646
; %bb.645:
	v_cvt_u32_f32_e32 v4, v24
	global_store_short v[2:3], v4, off
.LBB20_646:
	s_mov_b64 s[6:7], 0
.LBB20_647:
	s_andn2_b64 vcc, exec, s[6:7]
	s_cbranch_vccnz .LBB20_655
; %bb.648:
	v_and_b32_e32 v4, 0x7fffffff, v24
	s_mov_b32 s6, 0x43800000
	v_cmp_gt_u32_e32 vcc, s6, v4
	v_mov_b32_e32 v5, 0x80
	s_and_saveexec_b64 s[6:7], vcc
	s_cbranch_execz .LBB20_654
; %bb.649:
	s_mov_b32 s10, 0x3bffffff
	v_cmp_lt_u32_e32 vcc, s10, v4
	s_mov_b64 s[10:11], 0
                                        ; implicit-def: $vgpr4
	s_and_saveexec_b64 s[12:13], vcc
	s_xor_b64 s[12:13], exec, s[12:13]
	s_cbranch_execz .LBB20_1099
; %bb.650:
	v_bfe_u32 v4, v24, 20, 1
	s_mov_b32 s16, 0x487ffff
	v_add3_u32 v4, v24, v4, s16
	s_mov_b64 s[10:11], exec
	v_lshrrev_b32_e32 v4, 20, v4
	s_andn2_saveexec_b64 s[12:13], s[12:13]
	s_cbranch_execnz .LBB20_1100
.LBB20_651:
	s_or_b64 exec, exec, s[12:13]
	v_mov_b32_e32 v5, 0
	s_and_saveexec_b64 s[12:13], s[10:11]
.LBB20_652:
	v_lshrrev_b32_e32 v5, 24, v24
	s_movk_i32 s10, 0x80
	v_and_or_b32 v5, v5, s10, v4
.LBB20_653:
	s_or_b64 exec, exec, s[12:13]
.LBB20_654:
	s_or_b64 exec, exec, s[6:7]
	global_store_byte v[2:3], v5, off
.LBB20_655:
	s_mov_b64 s[10:11], -1
.LBB20_656:
	s_mov_b64 s[6:7], 0
.LBB20_657:
	s_and_b64 vcc, exec, s[6:7]
	s_cbranch_vccz .LBB20_697
; %bb.658:
	s_cmp_gt_i32 s15, 22
	s_mov_b64 s[6:7], -1
	s_cbranch_scc0 .LBB20_690
; %bb.659:
	s_cmp_lt_i32 s15, 24
	s_cbranch_scc1 .LBB20_679
; %bb.660:
	s_cmp_gt_i32 s15, 24
	s_cbranch_scc0 .LBB20_668
; %bb.661:
	v_and_b32_e32 v4, 0x7fffffff, v24
	s_mov_b32 s6, 0x47800000
	v_cmp_gt_u32_e32 vcc, s6, v4
	v_mov_b32_e32 v5, 0x80
	s_and_saveexec_b64 s[6:7], vcc
	s_cbranch_execz .LBB20_667
; %bb.662:
	s_mov_b32 s8, 0x37ffffff
	v_cmp_lt_u32_e32 vcc, s8, v4
	s_mov_b64 s[8:9], 0
                                        ; implicit-def: $vgpr4
	s_and_saveexec_b64 s[10:11], vcc
	s_xor_b64 s[10:11], exec, s[10:11]
	s_cbranch_execz .LBB20_1102
; %bb.663:
	v_bfe_u32 v4, v24, 21, 1
	s_mov_b32 s12, 0x88fffff
	v_add3_u32 v4, v24, v4, s12
	s_mov_b64 s[8:9], exec
	v_lshrrev_b32_e32 v4, 21, v4
	s_andn2_saveexec_b64 s[10:11], s[10:11]
	s_cbranch_execnz .LBB20_1103
.LBB20_664:
	s_or_b64 exec, exec, s[10:11]
	v_mov_b32_e32 v5, 0
	s_and_saveexec_b64 s[10:11], s[8:9]
.LBB20_665:
	v_lshrrev_b32_e32 v5, 24, v24
	s_movk_i32 s8, 0x80
	v_and_or_b32 v5, v5, s8, v4
.LBB20_666:
	s_or_b64 exec, exec, s[10:11]
.LBB20_667:
	s_or_b64 exec, exec, s[6:7]
	s_mov_b64 s[6:7], 0
	global_store_byte v[2:3], v5, off
.LBB20_668:
	s_and_b64 vcc, exec, s[6:7]
	s_cbranch_vccz .LBB20_678
; %bb.669:
	v_and_b32_e32 v5, 0x7fffffff, v24
	s_mov_b32 s6, 0x43f00000
	v_cmp_gt_u32_e32 vcc, s6, v5
                                        ; implicit-def: $vgpr4
	s_and_saveexec_b64 s[6:7], vcc
	s_xor_b64 s[6:7], exec, s[6:7]
	s_cbranch_execz .LBB20_675
; %bb.670:
	s_mov_b32 s8, 0x3c7fffff
	v_cmp_lt_u32_e32 vcc, s8, v5
                                        ; implicit-def: $vgpr4
	s_and_saveexec_b64 s[8:9], vcc
	s_xor_b64 s[8:9], exec, s[8:9]
; %bb.671:
	v_bfe_u32 v4, v24, 20, 1
	s_mov_b32 s10, 0x407ffff
	v_add3_u32 v4, v24, v4, s10
	v_lshrrev_b32_e32 v5, 20, v4
	v_and_b32_e32 v4, 0xff00000, v4
	s_mov_b32 s10, 0x7f00000
	v_mov_b32_e32 v6, 0x7e
	v_cmp_ne_u32_e32 vcc, s10, v4
	v_cndmask_b32_e32 v4, v6, v5, vcc
; %bb.672:
	s_andn2_saveexec_b64 s[8:9], s[8:9]
; %bb.673:
	s_mov_b32 s10, 0x46800000
	v_add_f32_e64 v4, |v24|, s10
; %bb.674:
	s_or_b64 exec, exec, s[8:9]
                                        ; implicit-def: $vgpr5
.LBB20_675:
	s_andn2_saveexec_b64 s[6:7], s[6:7]
; %bb.676:
	s_mov_b32 s8, 0x7f800000
	v_mov_b32_e32 v4, 0x7e
	v_mov_b32_e32 v6, 0x7f
	v_cmp_lt_u32_e32 vcc, s8, v5
	v_cndmask_b32_e32 v4, v4, v6, vcc
; %bb.677:
	s_or_b64 exec, exec, s[6:7]
	v_lshrrev_b32_e32 v5, 24, v24
	s_movk_i32 s6, 0x80
	v_and_or_b32 v4, v5, s6, v4
	global_store_byte v[2:3], v4, off
.LBB20_678:
	s_mov_b64 s[6:7], 0
.LBB20_679:
	s_andn2_b64 vcc, exec, s[6:7]
	s_cbranch_vccnz .LBB20_689
; %bb.680:
	v_and_b32_e32 v5, 0x7fffffff, v24
	s_mov_b32 s6, 0x47800000
	v_cmp_gt_u32_e32 vcc, s6, v5
                                        ; implicit-def: $vgpr4
	s_and_saveexec_b64 s[6:7], vcc
	s_xor_b64 s[6:7], exec, s[6:7]
	s_cbranch_execz .LBB20_686
; %bb.681:
	s_mov_b32 s8, 0x387fffff
	v_cmp_lt_u32_e32 vcc, s8, v5
                                        ; implicit-def: $vgpr4
	s_and_saveexec_b64 s[8:9], vcc
	s_xor_b64 s[8:9], exec, s[8:9]
; %bb.682:
	v_bfe_u32 v4, v24, 21, 1
	s_mov_b32 s10, 0x80fffff
	v_add3_u32 v4, v24, v4, s10
	v_lshrrev_b32_e32 v4, 21, v4
; %bb.683:
	s_andn2_saveexec_b64 s[8:9], s[8:9]
; %bb.684:
	s_mov_b32 s10, 0x43000000
	v_add_f32_e64 v4, |v24|, s10
; %bb.685:
	s_or_b64 exec, exec, s[8:9]
                                        ; implicit-def: $vgpr5
.LBB20_686:
	s_andn2_saveexec_b64 s[6:7], s[6:7]
; %bb.687:
	s_mov_b32 s8, 0x7f800000
	v_mov_b32_e32 v4, 0x7c
	v_mov_b32_e32 v6, 0x7f
	v_cmp_lt_u32_e32 vcc, s8, v5
	v_cndmask_b32_e32 v4, v4, v6, vcc
; %bb.688:
	s_or_b64 exec, exec, s[6:7]
	v_lshrrev_b32_e32 v5, 24, v24
	s_movk_i32 s6, 0x80
	v_and_or_b32 v4, v5, s6, v4
	global_store_byte v[2:3], v4, off
.LBB20_689:
	s_mov_b64 s[6:7], 0
	s_mov_b64 s[10:11], -1
.LBB20_690:
	s_andn2_b64 vcc, exec, s[6:7]
	s_mov_b64 s[8:9], 0
	s_cbranch_vccnz .LBB20_697
; %bb.691:
	s_cmp_gt_i32 s15, 14
	s_mov_b64 s[6:7], -1
	s_cbranch_scc0 .LBB20_695
; %bb.692:
	s_cmp_eq_u32 s15, 15
	s_mov_b64 s[4:5], -1
	s_cbranch_scc0 .LBB20_694
; %bb.693:
	v_bfe_u32 v4, v24, 16, 1
	s_movk_i32 s4, 0x7fff
	v_add3_u32 v4, v24, v4, s4
	v_cmp_o_f32_e32 vcc, v24, v24
	v_mov_b32_e32 v5, 0x7fc0
	v_cndmask_b32_sdwa v4, v5, v4, vcc dst_sel:DWORD dst_unused:UNUSED_PAD src0_sel:DWORD src1_sel:WORD_1
	global_store_short v[2:3], v4, off
	s_mov_b64 s[4:5], 0
	s_mov_b64 s[10:11], -1
.LBB20_694:
	s_mov_b64 s[6:7], 0
.LBB20_695:
	s_and_b64 vcc, exec, s[6:7]
	s_cbranch_vccz .LBB20_697
; %bb.696:
	s_cmp_lg_u32 s15, 11
	s_mov_b64 s[8:9], -1
	s_cselect_b64 s[4:5], -1, 0
.LBB20_697:
	s_and_b64 vcc, exec, s[4:5]
	s_mov_b64 s[6:7], s[40:41]
	s_cbranch_vccnz .LBB20_1101
; %bb.698:
	s_andn2_b64 vcc, exec, s[8:9]
	s_cbranch_vccnz .LBB20_700
.LBB20_699:
	v_or_b32_e32 v4, v24, v25
	v_and_b32_e32 v4, 0x7fffffff, v4
	v_cmp_ne_u32_e32 vcc, 0, v4
	v_cndmask_b32_e64 v4, 0, 1, vcc
	global_store_byte v[2:3], v4, off
	s_mov_b64 s[10:11], -1
.LBB20_700:
.LBB20_701:
	s_andn2_b64 vcc, exec, s[10:11]
	s_cbranch_vccz .LBB20_741
	s_branch .LBB20_1053
.LBB20_702:
	s_mov_b64 s[10:11], 0
	s_mov_b64 s[6:7], s[40:41]
	s_cbranch_execz .LBB20_701
; %bb.703:
	s_and_b32 s8, 0xffff, s14
	s_cmp_lt_i32 s8, 5
	s_mov_b64 s[4:5], -1
	s_cbranch_scc1 .LBB20_724
; %bb.704:
	s_cmp_lt_i32 s8, 8
	s_cbranch_scc1 .LBB20_714
; %bb.705:
	s_cmp_lt_i32 s8, 9
	s_cbranch_scc1 .LBB20_711
; %bb.706:
	s_cmp_gt_i32 s8, 9
	s_cbranch_scc0 .LBB20_708
; %bb.707:
	v_cvt_f64_f32_e32 v[4:5], v24
	v_cvt_f64_f32_e32 v[6:7], v25
	s_mov_b64 s[4:5], 0
	global_store_dwordx4 v[2:3], v[4:7], off
.LBB20_708:
	s_andn2_b64 vcc, exec, s[4:5]
	s_cbranch_vccnz .LBB20_710
; %bb.709:
	global_store_dwordx2 v[2:3], v[24:25], off
.LBB20_710:
	s_mov_b64 s[4:5], 0
.LBB20_711:
	s_andn2_b64 vcc, exec, s[4:5]
	s_cbranch_vccnz .LBB20_713
; %bb.712:
	v_cvt_f16_f32_e32 v4, v24
	v_cvt_f16_f32_sdwa v5, v25 dst_sel:WORD_1 dst_unused:UNUSED_PAD src0_sel:DWORD
	v_or_b32_e32 v4, v5, v4
	global_store_dword v[2:3], v4, off
.LBB20_713:
	s_mov_b64 s[4:5], 0
.LBB20_714:
	s_andn2_b64 vcc, exec, s[4:5]
	s_cbranch_vccnz .LBB20_723
; %bb.715:
	s_cmp_lt_i32 s8, 6
	s_mov_b64 s[4:5], -1
	s_cbranch_scc1 .LBB20_721
; %bb.716:
	s_cmp_gt_i32 s8, 6
	s_cbranch_scc0 .LBB20_718
; %bb.717:
	v_cvt_f64_f32_e32 v[4:5], v24
	s_mov_b64 s[4:5], 0
	global_store_dwordx2 v[2:3], v[4:5], off
.LBB20_718:
	s_andn2_b64 vcc, exec, s[4:5]
	s_cbranch_vccnz .LBB20_720
; %bb.719:
	global_store_dword v[2:3], v24, off
.LBB20_720:
	s_mov_b64 s[4:5], 0
.LBB20_721:
	s_andn2_b64 vcc, exec, s[4:5]
	s_cbranch_vccnz .LBB20_723
; %bb.722:
	v_cvt_f16_f32_e32 v4, v24
	global_store_short v[2:3], v4, off
.LBB20_723:
	s_mov_b64 s[4:5], 0
.LBB20_724:
	s_andn2_b64 vcc, exec, s[4:5]
	s_cbranch_vccnz .LBB20_740
; %bb.725:
	s_cmp_lt_i32 s8, 2
	s_mov_b64 s[4:5], -1
	s_cbranch_scc1 .LBB20_735
; %bb.726:
	s_cmp_lt_i32 s8, 3
	s_cbranch_scc1 .LBB20_732
; %bb.727:
	s_cmp_gt_i32 s8, 3
	s_cbranch_scc0 .LBB20_729
; %bb.728:
	v_trunc_f32_e32 v4, v24
	s_mov_b32 s4, 0x2f800000
	v_mul_f32_e64 v5, |v4|, s4
	v_floor_f32_e32 v5, v5
	s_mov_b32 s4, 0xcf800000
	v_cvt_u32_f32_e32 v6, v5
	v_fma_f32 v5, v5, s4, |v4|
	v_cvt_u32_f32_e32 v5, v5
	v_ashrrev_i32_e32 v7, 31, v4
	v_xor_b32_e32 v6, v6, v7
	s_mov_b64 s[4:5], 0
	v_xor_b32_e32 v4, v5, v7
	v_sub_co_u32_e32 v4, vcc, v4, v7
	v_subb_co_u32_e32 v5, vcc, v6, v7, vcc
	global_store_dwordx2 v[2:3], v[4:5], off
.LBB20_729:
	s_andn2_b64 vcc, exec, s[4:5]
	s_cbranch_vccnz .LBB20_731
; %bb.730:
	v_cvt_i32_f32_e32 v4, v24
	global_store_dword v[2:3], v4, off
.LBB20_731:
	s_mov_b64 s[4:5], 0
.LBB20_732:
	s_andn2_b64 vcc, exec, s[4:5]
	s_cbranch_vccnz .LBB20_734
; %bb.733:
	v_cvt_i32_f32_e32 v4, v24
	global_store_short v[2:3], v4, off
.LBB20_734:
	s_mov_b64 s[4:5], 0
.LBB20_735:
	s_andn2_b64 vcc, exec, s[4:5]
	s_cbranch_vccnz .LBB20_740
; %bb.736:
	s_cmp_gt_i32 s8, 0
	s_mov_b64 s[4:5], -1
	s_cbranch_scc0 .LBB20_738
; %bb.737:
	v_cvt_i32_f32_e32 v4, v24
	s_mov_b64 s[4:5], 0
	global_store_byte v[2:3], v4, off
.LBB20_738:
	s_andn2_b64 vcc, exec, s[4:5]
	s_cbranch_vccnz .LBB20_740
; %bb.739:
	v_trunc_f32_e32 v4, v24
	s_mov_b32 s4, 0x2f800000
	v_mul_f32_e64 v5, |v4|, s4
	v_floor_f32_e32 v5, v5
	s_mov_b32 s4, 0xcf800000
	v_fma_f32 v5, v5, s4, |v4|
	v_cvt_u32_f32_e32 v5, v5
	v_ashrrev_i32_e32 v4, 31, v4
	v_xor_b32_e32 v5, v5, v4
	v_sub_u32_e32 v4, v5, v4
	global_store_byte v[2:3], v4, off
.LBB20_740:
.LBB20_741:
	s_lshr_b32 s4, s33, 8
	v_mov_b32_e32 v3, s37
	s_and_b32 s16, s4, 0xff
	v_add_co_u32_e32 v2, vcc, s36, v32
	s_cmp_lt_i32 s16, 11
	v_addc_co_u32_e32 v3, vcc, 0, v3, vcc
	s_cbranch_scc1 .LBB20_820
; %bb.742:
	s_and_b32 s17, 0xffff, s16
	s_mov_b64 s[12:13], -1
	s_mov_b64 s[8:9], 0
	s_cmp_gt_i32 s17, 25
	s_mov_b64 s[10:11], 0
	s_mov_b64 s[4:5], 0
	s_cbranch_scc0 .LBB20_775
; %bb.743:
	s_cmp_gt_i32 s17, 28
	s_cbranch_scc0 .LBB20_758
; %bb.744:
	s_cmp_gt_i32 s17, 43
	;; [unrolled: 3-line block ×3, first 2 shown]
	s_cbranch_scc0 .LBB20_748
; %bb.746:
	s_mov_b64 s[4:5], -1
	s_mov_b64 s[12:13], 0
	s_cmp_eq_u32 s17, 46
	s_cbranch_scc0 .LBB20_748
; %bb.747:
	s_movk_i32 s4, 0x7fff
	v_bfe_u32 v5, v23, 16, 1
	v_add3_u32 v5, v23, v5, s4
	v_bfe_u32 v4, v22, 16, 1
	v_and_b32_e32 v5, 0xffff0000, v5
	v_mov_b32_e32 v6, 0x7fc00000
	v_cmp_o_f32_e32 vcc, v23, v23
	v_add3_u32 v4, v22, v4, s4
	v_cndmask_b32_e32 v5, v6, v5, vcc
	v_cmp_o_f32_e32 vcc, v22, v22
	v_mov_b32_e32 v6, 0x7fc0
	v_cndmask_b32_sdwa v4, v6, v4, vcc dst_sel:DWORD dst_unused:UNUSED_PAD src0_sel:DWORD src1_sel:WORD_1
	v_or_b32_e32 v4, v5, v4
	global_store_dword v[2:3], v4, off
	s_mov_b64 s[4:5], 0
	s_mov_b64 s[10:11], -1
.LBB20_748:
	s_and_b64 vcc, exec, s[12:13]
	s_cbranch_vccz .LBB20_753
; %bb.749:
	s_cmp_eq_u32 s17, 44
	s_mov_b64 s[4:5], -1
	s_cbranch_scc0 .LBB20_753
; %bb.750:
	v_bfe_u32 v4, v22, 23, 8
	s_movk_i32 s4, 0xff
	v_cmp_ne_u32_e32 vcc, s4, v4
	v_mov_b32_e32 v5, 0xff
	s_and_saveexec_b64 s[10:11], vcc
; %bb.751:
	s_mov_b32 s4, 0x3fffff
	v_and_b32_e32 v6, 0x400000, v22
	v_and_or_b32 v4, v22, s4, v4
	v_cmp_ne_u32_e32 vcc, 0, v6
	v_cmp_ne_u32_e64 s[4:5], 0, v4
	s_and_b64 s[4:5], vcc, s[4:5]
	v_lshrrev_b32_e32 v5, 23, v22
	v_cndmask_b32_e64 v4, 0, 1, s[4:5]
	v_add_u32_e32 v5, v5, v4
; %bb.752:
	s_or_b64 exec, exec, s[10:11]
	s_mov_b64 s[4:5], 0
	s_mov_b64 s[10:11], -1
	global_store_byte v[2:3], v5, off
.LBB20_753:
	s_mov_b64 s[12:13], 0
.LBB20_754:
	s_and_b64 vcc, exec, s[12:13]
	s_cbranch_vccz .LBB20_757
; %bb.755:
	s_cmp_eq_u32 s17, 29
	s_mov_b64 s[4:5], -1
	s_cbranch_scc0 .LBB20_757
; %bb.756:
	v_trunc_f32_e32 v4, v22
	v_mul_f32_e32 v5, 0x2f800000, v4
	v_floor_f32_e32 v6, v5
	v_fmac_f32_e32 v4, 0xcf800000, v6
	v_cvt_u32_f32_e32 v5, v6
	v_cvt_u32_f32_e32 v4, v4
	s_mov_b64 s[4:5], 0
	s_mov_b64 s[10:11], -1
	global_store_dwordx2 v[2:3], v[4:5], off
.LBB20_757:
	s_mov_b64 s[12:13], 0
.LBB20_758:
	s_and_b64 vcc, exec, s[12:13]
	s_cbranch_vccz .LBB20_774
; %bb.759:
	s_cmp_lt_i32 s17, 27
	s_mov_b64 s[10:11], -1
	s_cbranch_scc1 .LBB20_765
; %bb.760:
	s_cmp_gt_i32 s17, 27
	s_cbranch_scc0 .LBB20_762
; %bb.761:
	v_cvt_u32_f32_e32 v4, v22
	s_mov_b64 s[10:11], 0
	global_store_dword v[2:3], v4, off
.LBB20_762:
	s_andn2_b64 vcc, exec, s[10:11]
	s_cbranch_vccnz .LBB20_764
; %bb.763:
	v_cvt_u32_f32_e32 v4, v22
	global_store_short v[2:3], v4, off
.LBB20_764:
	s_mov_b64 s[10:11], 0
.LBB20_765:
	s_andn2_b64 vcc, exec, s[10:11]
	s_cbranch_vccnz .LBB20_773
; %bb.766:
	v_and_b32_e32 v4, 0x7fffffff, v22
	s_mov_b32 s10, 0x43800000
	v_cmp_gt_u32_e32 vcc, s10, v4
	v_mov_b32_e32 v5, 0x80
	s_and_saveexec_b64 s[10:11], vcc
	s_cbranch_execz .LBB20_772
; %bb.767:
	s_mov_b32 s12, 0x3bffffff
	v_cmp_lt_u32_e32 vcc, s12, v4
	s_mov_b64 s[12:13], 0
                                        ; implicit-def: $vgpr4
	s_and_saveexec_b64 s[14:15], vcc
	s_xor_b64 s[14:15], exec, s[14:15]
	s_cbranch_execz .LBB20_1104
; %bb.768:
	v_bfe_u32 v4, v22, 20, 1
	s_mov_b32 s18, 0x487ffff
	v_add3_u32 v4, v22, v4, s18
	s_mov_b64 s[12:13], exec
	v_lshrrev_b32_e32 v4, 20, v4
	s_andn2_saveexec_b64 s[14:15], s[14:15]
	s_cbranch_execnz .LBB20_1105
.LBB20_769:
	s_or_b64 exec, exec, s[14:15]
	v_mov_b32_e32 v5, 0
	s_and_saveexec_b64 s[14:15], s[12:13]
.LBB20_770:
	v_lshrrev_b32_e32 v5, 24, v22
	s_movk_i32 s12, 0x80
	v_and_or_b32 v5, v5, s12, v4
.LBB20_771:
	s_or_b64 exec, exec, s[14:15]
.LBB20_772:
	s_or_b64 exec, exec, s[10:11]
	global_store_byte v[2:3], v5, off
.LBB20_773:
	s_mov_b64 s[10:11], -1
.LBB20_774:
	s_mov_b64 s[12:13], 0
.LBB20_775:
	s_and_b64 vcc, exec, s[12:13]
	s_cbranch_vccz .LBB20_815
; %bb.776:
	s_cmp_gt_i32 s17, 22
	s_mov_b64 s[8:9], -1
	s_cbranch_scc0 .LBB20_808
; %bb.777:
	s_cmp_lt_i32 s17, 24
	s_cbranch_scc1 .LBB20_797
; %bb.778:
	s_cmp_gt_i32 s17, 24
	s_cbranch_scc0 .LBB20_786
; %bb.779:
	v_and_b32_e32 v4, 0x7fffffff, v22
	s_mov_b32 s8, 0x47800000
	v_cmp_gt_u32_e32 vcc, s8, v4
	v_mov_b32_e32 v5, 0x80
	s_and_saveexec_b64 s[8:9], vcc
	s_cbranch_execz .LBB20_785
; %bb.780:
	s_mov_b32 s10, 0x37ffffff
	v_cmp_lt_u32_e32 vcc, s10, v4
	s_mov_b64 s[10:11], 0
                                        ; implicit-def: $vgpr4
	s_and_saveexec_b64 s[12:13], vcc
	s_xor_b64 s[12:13], exec, s[12:13]
	s_cbranch_execz .LBB20_1107
; %bb.781:
	v_bfe_u32 v4, v22, 21, 1
	s_mov_b32 s14, 0x88fffff
	v_add3_u32 v4, v22, v4, s14
	s_mov_b64 s[10:11], exec
	v_lshrrev_b32_e32 v4, 21, v4
	s_andn2_saveexec_b64 s[12:13], s[12:13]
	s_cbranch_execnz .LBB20_1108
.LBB20_782:
	s_or_b64 exec, exec, s[12:13]
	v_mov_b32_e32 v5, 0
	s_and_saveexec_b64 s[12:13], s[10:11]
.LBB20_783:
	v_lshrrev_b32_e32 v5, 24, v22
	s_movk_i32 s10, 0x80
	v_and_or_b32 v5, v5, s10, v4
.LBB20_784:
	s_or_b64 exec, exec, s[12:13]
.LBB20_785:
	s_or_b64 exec, exec, s[8:9]
	s_mov_b64 s[8:9], 0
	global_store_byte v[2:3], v5, off
.LBB20_786:
	s_and_b64 vcc, exec, s[8:9]
	s_cbranch_vccz .LBB20_796
; %bb.787:
	v_and_b32_e32 v5, 0x7fffffff, v22
	s_mov_b32 s8, 0x43f00000
	v_cmp_gt_u32_e32 vcc, s8, v5
                                        ; implicit-def: $vgpr4
	s_and_saveexec_b64 s[8:9], vcc
	s_xor_b64 s[8:9], exec, s[8:9]
	s_cbranch_execz .LBB20_793
; %bb.788:
	s_mov_b32 s10, 0x3c7fffff
	v_cmp_lt_u32_e32 vcc, s10, v5
                                        ; implicit-def: $vgpr4
	s_and_saveexec_b64 s[10:11], vcc
	s_xor_b64 s[10:11], exec, s[10:11]
; %bb.789:
	v_bfe_u32 v4, v22, 20, 1
	s_mov_b32 s12, 0x407ffff
	v_add3_u32 v4, v22, v4, s12
	v_lshrrev_b32_e32 v5, 20, v4
	v_and_b32_e32 v4, 0xff00000, v4
	s_mov_b32 s12, 0x7f00000
	v_mov_b32_e32 v6, 0x7e
	v_cmp_ne_u32_e32 vcc, s12, v4
	v_cndmask_b32_e32 v4, v6, v5, vcc
; %bb.790:
	s_andn2_saveexec_b64 s[10:11], s[10:11]
; %bb.791:
	s_mov_b32 s12, 0x46800000
	v_add_f32_e64 v4, |v22|, s12
; %bb.792:
	s_or_b64 exec, exec, s[10:11]
                                        ; implicit-def: $vgpr5
.LBB20_793:
	s_andn2_saveexec_b64 s[8:9], s[8:9]
; %bb.794:
	s_mov_b32 s10, 0x7f800000
	v_mov_b32_e32 v4, 0x7e
	v_mov_b32_e32 v6, 0x7f
	v_cmp_lt_u32_e32 vcc, s10, v5
	v_cndmask_b32_e32 v4, v4, v6, vcc
; %bb.795:
	s_or_b64 exec, exec, s[8:9]
	v_lshrrev_b32_e32 v5, 24, v22
	s_movk_i32 s8, 0x80
	v_and_or_b32 v4, v5, s8, v4
	global_store_byte v[2:3], v4, off
.LBB20_796:
	s_mov_b64 s[8:9], 0
.LBB20_797:
	s_andn2_b64 vcc, exec, s[8:9]
	s_cbranch_vccnz .LBB20_807
; %bb.798:
	v_and_b32_e32 v5, 0x7fffffff, v22
	s_mov_b32 s8, 0x47800000
	v_cmp_gt_u32_e32 vcc, s8, v5
                                        ; implicit-def: $vgpr4
	s_and_saveexec_b64 s[8:9], vcc
	s_xor_b64 s[8:9], exec, s[8:9]
	s_cbranch_execz .LBB20_804
; %bb.799:
	s_mov_b32 s10, 0x387fffff
	v_cmp_lt_u32_e32 vcc, s10, v5
                                        ; implicit-def: $vgpr4
	s_and_saveexec_b64 s[10:11], vcc
	s_xor_b64 s[10:11], exec, s[10:11]
; %bb.800:
	v_bfe_u32 v4, v22, 21, 1
	s_mov_b32 s12, 0x80fffff
	v_add3_u32 v4, v22, v4, s12
	v_lshrrev_b32_e32 v4, 21, v4
; %bb.801:
	s_andn2_saveexec_b64 s[10:11], s[10:11]
; %bb.802:
	s_mov_b32 s12, 0x43000000
	v_add_f32_e64 v4, |v22|, s12
; %bb.803:
	s_or_b64 exec, exec, s[10:11]
                                        ; implicit-def: $vgpr5
.LBB20_804:
	s_andn2_saveexec_b64 s[8:9], s[8:9]
; %bb.805:
	s_mov_b32 s10, 0x7f800000
	v_mov_b32_e32 v4, 0x7c
	v_mov_b32_e32 v6, 0x7f
	v_cmp_lt_u32_e32 vcc, s10, v5
	v_cndmask_b32_e32 v4, v4, v6, vcc
; %bb.806:
	s_or_b64 exec, exec, s[8:9]
	v_lshrrev_b32_e32 v5, 24, v22
	s_movk_i32 s8, 0x80
	v_and_or_b32 v4, v5, s8, v4
	global_store_byte v[2:3], v4, off
.LBB20_807:
	s_mov_b64 s[8:9], 0
	s_mov_b64 s[10:11], -1
.LBB20_808:
	s_andn2_b64 vcc, exec, s[8:9]
	s_mov_b64 s[8:9], 0
	s_cbranch_vccnz .LBB20_815
; %bb.809:
	s_cmp_gt_i32 s17, 14
	s_mov_b64 s[12:13], -1
	s_cbranch_scc0 .LBB20_813
; %bb.810:
	s_cmp_eq_u32 s17, 15
	s_mov_b64 s[4:5], -1
	s_cbranch_scc0 .LBB20_812
; %bb.811:
	v_bfe_u32 v4, v22, 16, 1
	s_movk_i32 s4, 0x7fff
	v_add3_u32 v4, v22, v4, s4
	v_cmp_o_f32_e32 vcc, v22, v22
	v_mov_b32_e32 v5, 0x7fc0
	v_cndmask_b32_sdwa v4, v5, v4, vcc dst_sel:DWORD dst_unused:UNUSED_PAD src0_sel:DWORD src1_sel:WORD_1
	global_store_short v[2:3], v4, off
	s_mov_b64 s[4:5], 0
	s_mov_b64 s[10:11], -1
.LBB20_812:
	s_mov_b64 s[12:13], 0
.LBB20_813:
	s_and_b64 vcc, exec, s[12:13]
	s_cbranch_vccz .LBB20_815
; %bb.814:
	s_cmp_lg_u32 s17, 11
	s_mov_b64 s[8:9], -1
	s_cselect_b64 s[4:5], -1, 0
.LBB20_815:
	s_and_b64 vcc, exec, s[4:5]
	s_cbranch_vccnz .LBB20_1106
; %bb.816:
	s_andn2_b64 vcc, exec, s[8:9]
	s_cbranch_vccnz .LBB20_818
.LBB20_817:
	v_or_b32_e32 v4, v22, v23
	v_and_b32_e32 v4, 0x7fffffff, v4
	v_cmp_ne_u32_e32 vcc, 0, v4
	v_cndmask_b32_e64 v4, 0, 1, vcc
	s_mov_b64 s[10:11], -1
	global_store_byte v[2:3], v4, off
.LBB20_818:
.LBB20_819:
	s_andn2_b64 vcc, exec, s[10:11]
	s_cbranch_vccz .LBB20_859
	s_branch .LBB20_1053
.LBB20_820:
	s_mov_b64 s[10:11], 0
	s_cbranch_execz .LBB20_819
; %bb.821:
	s_and_b32 s8, 0xffff, s16
	s_cmp_lt_i32 s8, 5
	s_mov_b64 s[4:5], -1
	s_cbranch_scc1 .LBB20_842
; %bb.822:
	s_cmp_lt_i32 s8, 8
	s_cbranch_scc1 .LBB20_832
; %bb.823:
	s_cmp_lt_i32 s8, 9
	s_cbranch_scc1 .LBB20_829
; %bb.824:
	s_cmp_gt_i32 s8, 9
	s_cbranch_scc0 .LBB20_826
; %bb.825:
	v_cvt_f64_f32_e32 v[4:5], v22
	v_cvt_f64_f32_e32 v[6:7], v23
	s_mov_b64 s[4:5], 0
	global_store_dwordx4 v[2:3], v[4:7], off
.LBB20_826:
	s_andn2_b64 vcc, exec, s[4:5]
	s_cbranch_vccnz .LBB20_828
; %bb.827:
	global_store_dwordx2 v[2:3], v[22:23], off
.LBB20_828:
	s_mov_b64 s[4:5], 0
.LBB20_829:
	s_andn2_b64 vcc, exec, s[4:5]
	s_cbranch_vccnz .LBB20_831
; %bb.830:
	v_cvt_f16_f32_e32 v4, v22
	v_cvt_f16_f32_sdwa v5, v23 dst_sel:WORD_1 dst_unused:UNUSED_PAD src0_sel:DWORD
	v_or_b32_e32 v4, v5, v4
	global_store_dword v[2:3], v4, off
.LBB20_831:
	s_mov_b64 s[4:5], 0
.LBB20_832:
	s_andn2_b64 vcc, exec, s[4:5]
	s_cbranch_vccnz .LBB20_841
; %bb.833:
	s_cmp_lt_i32 s8, 6
	s_mov_b64 s[4:5], -1
	s_cbranch_scc1 .LBB20_839
; %bb.834:
	s_cmp_gt_i32 s8, 6
	s_cbranch_scc0 .LBB20_836
; %bb.835:
	v_cvt_f64_f32_e32 v[4:5], v22
	s_mov_b64 s[4:5], 0
	global_store_dwordx2 v[2:3], v[4:5], off
.LBB20_836:
	s_andn2_b64 vcc, exec, s[4:5]
	s_cbranch_vccnz .LBB20_838
; %bb.837:
	global_store_dword v[2:3], v22, off
.LBB20_838:
	s_mov_b64 s[4:5], 0
.LBB20_839:
	s_andn2_b64 vcc, exec, s[4:5]
	s_cbranch_vccnz .LBB20_841
; %bb.840:
	v_cvt_f16_f32_e32 v4, v22
	global_store_short v[2:3], v4, off
.LBB20_841:
	s_mov_b64 s[4:5], 0
.LBB20_842:
	s_andn2_b64 vcc, exec, s[4:5]
	s_cbranch_vccnz .LBB20_858
; %bb.843:
	s_cmp_lt_i32 s8, 2
	s_mov_b64 s[4:5], -1
	s_cbranch_scc1 .LBB20_853
; %bb.844:
	s_cmp_lt_i32 s8, 3
	s_cbranch_scc1 .LBB20_850
; %bb.845:
	s_cmp_gt_i32 s8, 3
	s_cbranch_scc0 .LBB20_847
; %bb.846:
	v_trunc_f32_e32 v4, v22
	s_mov_b32 s4, 0x2f800000
	v_mul_f32_e64 v5, |v4|, s4
	v_floor_f32_e32 v5, v5
	s_mov_b32 s4, 0xcf800000
	v_cvt_u32_f32_e32 v6, v5
	v_fma_f32 v5, v5, s4, |v4|
	v_cvt_u32_f32_e32 v5, v5
	v_ashrrev_i32_e32 v7, 31, v4
	v_xor_b32_e32 v6, v6, v7
	s_mov_b64 s[4:5], 0
	v_xor_b32_e32 v4, v5, v7
	v_sub_co_u32_e32 v4, vcc, v4, v7
	v_subb_co_u32_e32 v5, vcc, v6, v7, vcc
	global_store_dwordx2 v[2:3], v[4:5], off
.LBB20_847:
	s_andn2_b64 vcc, exec, s[4:5]
	s_cbranch_vccnz .LBB20_849
; %bb.848:
	v_cvt_i32_f32_e32 v4, v22
	global_store_dword v[2:3], v4, off
.LBB20_849:
	s_mov_b64 s[4:5], 0
.LBB20_850:
	s_andn2_b64 vcc, exec, s[4:5]
	s_cbranch_vccnz .LBB20_852
; %bb.851:
	v_cvt_i32_f32_e32 v4, v22
	global_store_short v[2:3], v4, off
.LBB20_852:
	s_mov_b64 s[4:5], 0
.LBB20_853:
	s_andn2_b64 vcc, exec, s[4:5]
	s_cbranch_vccnz .LBB20_858
; %bb.854:
	s_cmp_gt_i32 s8, 0
	s_mov_b64 s[4:5], -1
	s_cbranch_scc0 .LBB20_856
; %bb.855:
	v_cvt_i32_f32_e32 v4, v22
	s_mov_b64 s[4:5], 0
	global_store_byte v[2:3], v4, off
.LBB20_856:
	s_andn2_b64 vcc, exec, s[4:5]
	s_cbranch_vccnz .LBB20_858
; %bb.857:
	v_trunc_f32_e32 v4, v22
	s_mov_b32 s4, 0x2f800000
	v_mul_f32_e64 v5, |v4|, s4
	v_floor_f32_e32 v5, v5
	s_mov_b32 s4, 0xcf800000
	v_fma_f32 v5, v5, s4, |v4|
	v_cvt_u32_f32_e32 v5, v5
	v_ashrrev_i32_e32 v4, 31, v4
	v_xor_b32_e32 v5, v5, v4
	v_sub_u32_e32 v4, v5, v4
	global_store_byte v[2:3], v4, off
.LBB20_858:
.LBB20_859:
	v_mov_b32_e32 v3, s37
	v_add_co_u32_e32 v2, vcc, s36, v30
	s_cmp_lt_i32 s16, 11
	v_addc_co_u32_e32 v3, vcc, 0, v3, vcc
	s_cbranch_scc1 .LBB20_1014
; %bb.860:
	s_and_b32 s17, 0xffff, s16
	s_mov_b64 s[12:13], -1
	s_mov_b64 s[8:9], 0
	s_cmp_gt_i32 s17, 25
	s_mov_b64 s[10:11], 0
	s_mov_b64 s[4:5], 0
	s_cbranch_scc0 .LBB20_893
; %bb.861:
	s_cmp_gt_i32 s17, 28
	s_cbranch_scc0 .LBB20_876
; %bb.862:
	s_cmp_gt_i32 s17, 43
	s_cbranch_scc0 .LBB20_872
; %bb.863:
	s_cmp_gt_i32 s17, 45
	s_cbranch_scc0 .LBB20_866
; %bb.864:
	s_mov_b64 s[4:5], -1
	s_mov_b64 s[12:13], 0
	s_cmp_eq_u32 s17, 46
	s_cbranch_scc0 .LBB20_866
; %bb.865:
	s_movk_i32 s4, 0x7fff
	v_bfe_u32 v5, v21, 16, 1
	v_add3_u32 v5, v21, v5, s4
	v_bfe_u32 v4, v20, 16, 1
	v_and_b32_e32 v5, 0xffff0000, v5
	v_mov_b32_e32 v6, 0x7fc00000
	v_cmp_o_f32_e32 vcc, v21, v21
	v_add3_u32 v4, v20, v4, s4
	v_cndmask_b32_e32 v5, v6, v5, vcc
	v_cmp_o_f32_e32 vcc, v20, v20
	v_mov_b32_e32 v6, 0x7fc0
	v_cndmask_b32_sdwa v4, v6, v4, vcc dst_sel:DWORD dst_unused:UNUSED_PAD src0_sel:DWORD src1_sel:WORD_1
	v_or_b32_e32 v4, v5, v4
	global_store_dword v[2:3], v4, off
	s_mov_b64 s[4:5], 0
	s_mov_b64 s[10:11], -1
.LBB20_866:
	s_and_b64 vcc, exec, s[12:13]
	s_cbranch_vccz .LBB20_871
; %bb.867:
	s_cmp_eq_u32 s17, 44
	s_mov_b64 s[4:5], -1
	s_cbranch_scc0 .LBB20_871
; %bb.868:
	v_bfe_u32 v4, v20, 23, 8
	s_movk_i32 s4, 0xff
	v_cmp_ne_u32_e32 vcc, s4, v4
	v_mov_b32_e32 v5, 0xff
	s_and_saveexec_b64 s[10:11], vcc
; %bb.869:
	s_mov_b32 s4, 0x3fffff
	v_and_b32_e32 v6, 0x400000, v20
	v_and_or_b32 v4, v20, s4, v4
	v_cmp_ne_u32_e32 vcc, 0, v6
	v_cmp_ne_u32_e64 s[4:5], 0, v4
	s_and_b64 s[4:5], vcc, s[4:5]
	v_lshrrev_b32_e32 v5, 23, v20
	v_cndmask_b32_e64 v4, 0, 1, s[4:5]
	v_add_u32_e32 v5, v5, v4
; %bb.870:
	s_or_b64 exec, exec, s[10:11]
	s_mov_b64 s[4:5], 0
	s_mov_b64 s[10:11], -1
	global_store_byte v[2:3], v5, off
.LBB20_871:
	s_mov_b64 s[12:13], 0
.LBB20_872:
	s_and_b64 vcc, exec, s[12:13]
	s_cbranch_vccz .LBB20_875
; %bb.873:
	s_cmp_eq_u32 s17, 29
	s_mov_b64 s[4:5], -1
	s_cbranch_scc0 .LBB20_875
; %bb.874:
	v_trunc_f32_e32 v4, v20
	v_mul_f32_e32 v5, 0x2f800000, v4
	v_floor_f32_e32 v6, v5
	v_fmac_f32_e32 v4, 0xcf800000, v6
	v_cvt_u32_f32_e32 v5, v6
	v_cvt_u32_f32_e32 v4, v4
	s_mov_b64 s[4:5], 0
	s_mov_b64 s[10:11], -1
	global_store_dwordx2 v[2:3], v[4:5], off
.LBB20_875:
	s_mov_b64 s[12:13], 0
.LBB20_876:
	s_and_b64 vcc, exec, s[12:13]
	s_cbranch_vccz .LBB20_892
; %bb.877:
	s_cmp_lt_i32 s17, 27
	s_mov_b64 s[10:11], -1
	s_cbranch_scc1 .LBB20_883
; %bb.878:
	v_cvt_u32_f32_e32 v4, v20
	s_cmp_gt_i32 s17, 27
	s_cbranch_scc0 .LBB20_880
; %bb.879:
	s_mov_b64 s[10:11], 0
	global_store_dword v[2:3], v4, off
.LBB20_880:
	s_andn2_b64 vcc, exec, s[10:11]
	s_cbranch_vccnz .LBB20_882
; %bb.881:
	global_store_short v[2:3], v4, off
.LBB20_882:
	s_mov_b64 s[10:11], 0
.LBB20_883:
	s_andn2_b64 vcc, exec, s[10:11]
	s_cbranch_vccnz .LBB20_891
; %bb.884:
	v_and_b32_e32 v4, 0x7fffffff, v20
	s_mov_b32 s10, 0x43800000
	v_cmp_gt_u32_e32 vcc, s10, v4
	v_mov_b32_e32 v5, 0x80
	s_and_saveexec_b64 s[10:11], vcc
	s_cbranch_execz .LBB20_890
; %bb.885:
	s_mov_b32 s12, 0x3bffffff
	v_cmp_lt_u32_e32 vcc, s12, v4
	s_mov_b64 s[12:13], 0
                                        ; implicit-def: $vgpr4
	s_and_saveexec_b64 s[14:15], vcc
	s_xor_b64 s[14:15], exec, s[14:15]
	s_cbranch_execz .LBB20_1109
; %bb.886:
	v_bfe_u32 v4, v20, 20, 1
	s_mov_b32 s18, 0x487ffff
	v_add3_u32 v4, v20, v4, s18
	s_mov_b64 s[12:13], exec
	v_lshrrev_b32_e32 v4, 20, v4
	s_andn2_saveexec_b64 s[14:15], s[14:15]
	s_cbranch_execnz .LBB20_1110
.LBB20_887:
	s_or_b64 exec, exec, s[14:15]
	v_mov_b32_e32 v5, 0
	s_and_saveexec_b64 s[14:15], s[12:13]
.LBB20_888:
	v_lshrrev_b32_e32 v5, 24, v20
	s_movk_i32 s12, 0x80
	v_and_or_b32 v5, v5, s12, v4
.LBB20_889:
	s_or_b64 exec, exec, s[14:15]
.LBB20_890:
	s_or_b64 exec, exec, s[10:11]
	global_store_byte v[2:3], v5, off
.LBB20_891:
	s_mov_b64 s[10:11], -1
.LBB20_892:
	s_mov_b64 s[12:13], 0
.LBB20_893:
	s_and_b64 vcc, exec, s[12:13]
	s_cbranch_vccz .LBB20_933
; %bb.894:
	s_cmp_gt_i32 s17, 22
	s_mov_b64 s[8:9], -1
	s_cbranch_scc0 .LBB20_926
; %bb.895:
	s_cmp_lt_i32 s17, 24
	s_cbranch_scc1 .LBB20_915
; %bb.896:
	s_cmp_gt_i32 s17, 24
	s_cbranch_scc0 .LBB20_904
; %bb.897:
	v_and_b32_e32 v4, 0x7fffffff, v20
	s_mov_b32 s8, 0x47800000
	v_cmp_gt_u32_e32 vcc, s8, v4
	v_mov_b32_e32 v5, 0x80
	s_and_saveexec_b64 s[8:9], vcc
	s_cbranch_execz .LBB20_903
; %bb.898:
	s_mov_b32 s10, 0x37ffffff
	v_cmp_lt_u32_e32 vcc, s10, v4
	s_mov_b64 s[10:11], 0
                                        ; implicit-def: $vgpr4
	s_and_saveexec_b64 s[12:13], vcc
	s_xor_b64 s[12:13], exec, s[12:13]
	s_cbranch_execz .LBB20_1114
; %bb.899:
	v_bfe_u32 v4, v20, 21, 1
	s_mov_b32 s14, 0x88fffff
	v_add3_u32 v4, v20, v4, s14
	s_mov_b64 s[10:11], exec
	v_lshrrev_b32_e32 v4, 21, v4
	s_andn2_saveexec_b64 s[12:13], s[12:13]
	s_cbranch_execnz .LBB20_1115
.LBB20_900:
	s_or_b64 exec, exec, s[12:13]
	v_mov_b32_e32 v5, 0
	s_and_saveexec_b64 s[12:13], s[10:11]
.LBB20_901:
	v_lshrrev_b32_e32 v5, 24, v20
	s_movk_i32 s10, 0x80
	v_and_or_b32 v5, v5, s10, v4
.LBB20_902:
	s_or_b64 exec, exec, s[12:13]
.LBB20_903:
	s_or_b64 exec, exec, s[8:9]
	s_mov_b64 s[8:9], 0
	global_store_byte v[2:3], v5, off
.LBB20_904:
	s_and_b64 vcc, exec, s[8:9]
	s_cbranch_vccz .LBB20_914
; %bb.905:
	v_and_b32_e32 v5, 0x7fffffff, v20
	s_mov_b32 s8, 0x43f00000
	v_cmp_gt_u32_e32 vcc, s8, v5
                                        ; implicit-def: $vgpr4
	s_and_saveexec_b64 s[8:9], vcc
	s_xor_b64 s[8:9], exec, s[8:9]
	s_cbranch_execz .LBB20_911
; %bb.906:
	s_mov_b32 s10, 0x3c7fffff
	v_cmp_lt_u32_e32 vcc, s10, v5
                                        ; implicit-def: $vgpr4
	s_and_saveexec_b64 s[10:11], vcc
	s_xor_b64 s[10:11], exec, s[10:11]
; %bb.907:
	v_bfe_u32 v4, v20, 20, 1
	s_mov_b32 s12, 0x407ffff
	v_add3_u32 v4, v20, v4, s12
	v_lshrrev_b32_e32 v5, 20, v4
	v_and_b32_e32 v4, 0xff00000, v4
	s_mov_b32 s12, 0x7f00000
	v_mov_b32_e32 v6, 0x7e
	v_cmp_ne_u32_e32 vcc, s12, v4
	v_cndmask_b32_e32 v4, v6, v5, vcc
; %bb.908:
	s_andn2_saveexec_b64 s[10:11], s[10:11]
; %bb.909:
	s_mov_b32 s12, 0x46800000
	v_add_f32_e64 v4, |v20|, s12
; %bb.910:
	s_or_b64 exec, exec, s[10:11]
                                        ; implicit-def: $vgpr5
.LBB20_911:
	s_andn2_saveexec_b64 s[8:9], s[8:9]
; %bb.912:
	s_mov_b32 s10, 0x7f800000
	v_mov_b32_e32 v4, 0x7e
	v_mov_b32_e32 v6, 0x7f
	v_cmp_lt_u32_e32 vcc, s10, v5
	v_cndmask_b32_e32 v4, v4, v6, vcc
; %bb.913:
	s_or_b64 exec, exec, s[8:9]
	v_lshrrev_b32_e32 v5, 24, v20
	s_movk_i32 s8, 0x80
	v_and_or_b32 v4, v5, s8, v4
	global_store_byte v[2:3], v4, off
.LBB20_914:
	s_mov_b64 s[8:9], 0
.LBB20_915:
	s_andn2_b64 vcc, exec, s[8:9]
	s_cbranch_vccnz .LBB20_925
; %bb.916:
	v_and_b32_e32 v5, 0x7fffffff, v20
	s_mov_b32 s8, 0x47800000
	v_cmp_gt_u32_e32 vcc, s8, v5
                                        ; implicit-def: $vgpr4
	s_and_saveexec_b64 s[8:9], vcc
	s_xor_b64 s[8:9], exec, s[8:9]
	s_cbranch_execz .LBB20_922
; %bb.917:
	s_mov_b32 s10, 0x387fffff
	v_cmp_lt_u32_e32 vcc, s10, v5
                                        ; implicit-def: $vgpr4
	s_and_saveexec_b64 s[10:11], vcc
	s_xor_b64 s[10:11], exec, s[10:11]
; %bb.918:
	v_bfe_u32 v4, v20, 21, 1
	s_mov_b32 s12, 0x80fffff
	v_add3_u32 v4, v20, v4, s12
	v_lshrrev_b32_e32 v4, 21, v4
; %bb.919:
	s_andn2_saveexec_b64 s[10:11], s[10:11]
; %bb.920:
	s_mov_b32 s12, 0x43000000
	v_add_f32_e64 v4, |v20|, s12
; %bb.921:
	s_or_b64 exec, exec, s[10:11]
                                        ; implicit-def: $vgpr5
.LBB20_922:
	s_andn2_saveexec_b64 s[8:9], s[8:9]
; %bb.923:
	s_mov_b32 s10, 0x7f800000
	v_mov_b32_e32 v4, 0x7c
	v_mov_b32_e32 v6, 0x7f
	v_cmp_lt_u32_e32 vcc, s10, v5
	v_cndmask_b32_e32 v4, v4, v6, vcc
; %bb.924:
	s_or_b64 exec, exec, s[8:9]
	v_lshrrev_b32_e32 v5, 24, v20
	s_movk_i32 s8, 0x80
	v_and_or_b32 v4, v5, s8, v4
	global_store_byte v[2:3], v4, off
.LBB20_925:
	s_mov_b64 s[8:9], 0
	s_mov_b64 s[10:11], -1
.LBB20_926:
	s_andn2_b64 vcc, exec, s[8:9]
	s_mov_b64 s[8:9], 0
	s_cbranch_vccnz .LBB20_933
; %bb.927:
	s_cmp_gt_i32 s17, 14
	s_mov_b64 s[12:13], -1
	s_cbranch_scc0 .LBB20_931
; %bb.928:
	s_cmp_eq_u32 s17, 15
	s_mov_b64 s[4:5], -1
	s_cbranch_scc0 .LBB20_930
; %bb.929:
	v_bfe_u32 v4, v20, 16, 1
	s_movk_i32 s4, 0x7fff
	v_add3_u32 v4, v20, v4, s4
	v_cmp_o_f32_e32 vcc, v20, v20
	v_mov_b32_e32 v5, 0x7fc0
	v_cndmask_b32_sdwa v4, v5, v4, vcc dst_sel:DWORD dst_unused:UNUSED_PAD src0_sel:DWORD src1_sel:WORD_1
	global_store_short v[2:3], v4, off
	s_mov_b64 s[4:5], 0
	s_mov_b64 s[10:11], -1
.LBB20_930:
	s_mov_b64 s[12:13], 0
.LBB20_931:
	s_and_b64 vcc, exec, s[12:13]
	s_cbranch_vccz .LBB20_933
; %bb.932:
	s_cmp_lg_u32 s17, 11
	s_mov_b64 s[8:9], -1
	s_cselect_b64 s[4:5], -1, 0
.LBB20_933:
	s_and_b64 vcc, exec, s[4:5]
	s_cbranch_vccnz .LBB20_1111
; %bb.934:
	s_andn2_b64 vcc, exec, s[8:9]
	s_cbranch_vccnz .LBB20_936
.LBB20_935:
	v_or_b32_e32 v4, v20, v21
	v_and_b32_e32 v4, 0x7fffffff, v4
	v_cmp_ne_u32_e32 vcc, 0, v4
	v_cndmask_b32_e64 v4, 0, 1, vcc
	s_mov_b64 s[10:11], -1
	global_store_byte v[2:3], v4, off
.LBB20_936:
.LBB20_937:
	s_andn2_b64 vcc, exec, s[10:11]
	s_cbranch_vccnz .LBB20_1053
.LBB20_938:
	v_mov_b32_e32 v3, s37
	v_add_co_u32_e32 v2, vcc, s36, v28
	s_cmp_lt_i32 s16, 11
	v_addc_co_u32_e32 v3, vcc, 0, v3, vcc
	s_cbranch_scc1 .LBB20_1098
; %bb.939:
	s_and_b32 s17, 0xffff, s16
	s_mov_b64 s[10:11], -1
	s_mov_b64 s[8:9], 0
	s_cmp_gt_i32 s17, 25
	s_mov_b64 s[4:5], 0
	s_cbranch_scc0 .LBB20_972
; %bb.940:
	s_cmp_gt_i32 s17, 28
	s_cbranch_scc0 .LBB20_956
; %bb.941:
	s_cmp_gt_i32 s17, 43
	;; [unrolled: 3-line block ×3, first 2 shown]
	s_cbranch_scc0 .LBB20_946
; %bb.943:
	s_cmp_eq_u32 s17, 46
	s_mov_b64 s[4:5], -1
	s_cbranch_scc0 .LBB20_945
; %bb.944:
	s_movk_i32 s4, 0x7fff
	v_bfe_u32 v5, v1, 16, 1
	v_add3_u32 v5, v1, v5, s4
	v_bfe_u32 v4, v0, 16, 1
	v_and_b32_e32 v5, 0xffff0000, v5
	v_mov_b32_e32 v6, 0x7fc00000
	v_cmp_o_f32_e32 vcc, v1, v1
	v_add3_u32 v4, v0, v4, s4
	v_cndmask_b32_e32 v5, v6, v5, vcc
	v_cmp_o_f32_e32 vcc, v0, v0
	v_mov_b32_e32 v6, 0x7fc0
	v_cndmask_b32_sdwa v4, v6, v4, vcc dst_sel:DWORD dst_unused:UNUSED_PAD src0_sel:DWORD src1_sel:WORD_1
	v_or_b32_e32 v4, v5, v4
	global_store_dword v[2:3], v4, off
	s_mov_b64 s[4:5], 0
.LBB20_945:
	s_mov_b64 s[10:11], 0
.LBB20_946:
	s_and_b64 vcc, exec, s[10:11]
	s_cbranch_vccz .LBB20_951
; %bb.947:
	s_cmp_eq_u32 s17, 44
	s_mov_b64 s[4:5], -1
	s_cbranch_scc0 .LBB20_951
; %bb.948:
	v_bfe_u32 v4, v0, 23, 8
	s_movk_i32 s4, 0xff
	v_cmp_ne_u32_e32 vcc, s4, v4
	v_mov_b32_e32 v5, 0xff
	s_and_saveexec_b64 s[10:11], vcc
; %bb.949:
	s_mov_b32 s4, 0x3fffff
	v_and_b32_e32 v6, 0x400000, v0
	v_and_or_b32 v4, v0, s4, v4
	v_cmp_ne_u32_e32 vcc, 0, v6
	v_cmp_ne_u32_e64 s[4:5], 0, v4
	s_and_b64 s[4:5], vcc, s[4:5]
	v_lshrrev_b32_e32 v5, 23, v0
	v_cndmask_b32_e64 v4, 0, 1, s[4:5]
	v_add_u32_e32 v5, v5, v4
; %bb.950:
	s_or_b64 exec, exec, s[10:11]
	s_mov_b64 s[4:5], 0
	global_store_byte v[2:3], v5, off
.LBB20_951:
	s_mov_b64 s[10:11], 0
.LBB20_952:
	s_and_b64 vcc, exec, s[10:11]
	s_cbranch_vccz .LBB20_955
; %bb.953:
	s_cmp_eq_u32 s17, 29
	s_mov_b64 s[4:5], -1
	s_cbranch_scc0 .LBB20_955
; %bb.954:
	v_trunc_f32_e32 v4, v0
	v_mul_f32_e32 v5, 0x2f800000, v4
	v_floor_f32_e32 v6, v5
	v_fmac_f32_e32 v4, 0xcf800000, v6
	v_cvt_u32_f32_e32 v5, v6
	v_cvt_u32_f32_e32 v4, v4
	s_mov_b64 s[4:5], 0
	global_store_dwordx2 v[2:3], v[4:5], off
.LBB20_955:
	s_mov_b64 s[10:11], 0
.LBB20_956:
	s_and_b64 vcc, exec, s[10:11]
	s_cbranch_vccz .LBB20_971
; %bb.957:
	s_cmp_lt_i32 s17, 27
	s_mov_b64 s[10:11], -1
	s_cbranch_scc1 .LBB20_963
; %bb.958:
	v_cvt_u32_f32_e32 v4, v0
	s_cmp_gt_i32 s17, 27
	s_cbranch_scc0 .LBB20_960
; %bb.959:
	global_store_dword v[2:3], v4, off
	s_mov_b64 s[10:11], 0
.LBB20_960:
	s_andn2_b64 vcc, exec, s[10:11]
	s_cbranch_vccnz .LBB20_962
; %bb.961:
	global_store_short v[2:3], v4, off
.LBB20_962:
	s_mov_b64 s[10:11], 0
.LBB20_963:
	s_andn2_b64 vcc, exec, s[10:11]
	s_cbranch_vccnz .LBB20_971
; %bb.964:
	v_and_b32_e32 v4, 0x7fffffff, v0
	s_mov_b32 s10, 0x43800000
	v_cmp_gt_u32_e32 vcc, s10, v4
	v_mov_b32_e32 v5, 0x80
	s_and_saveexec_b64 s[10:11], vcc
	s_cbranch_execz .LBB20_970
; %bb.965:
	s_mov_b32 s12, 0x3bffffff
	v_cmp_lt_u32_e32 vcc, s12, v4
	s_mov_b64 s[12:13], 0
                                        ; implicit-def: $vgpr4
	s_and_saveexec_b64 s[14:15], vcc
	s_xor_b64 s[14:15], exec, s[14:15]
	s_cbranch_execz .LBB20_1116
; %bb.966:
	v_bfe_u32 v4, v0, 20, 1
	s_mov_b32 s18, 0x487ffff
	v_add3_u32 v4, v0, v4, s18
	s_mov_b64 s[12:13], exec
	v_lshrrev_b32_e32 v4, 20, v4
	s_andn2_saveexec_b64 s[14:15], s[14:15]
	s_cbranch_execnz .LBB20_1117
.LBB20_967:
	s_or_b64 exec, exec, s[14:15]
	v_mov_b32_e32 v5, 0
	s_and_saveexec_b64 s[14:15], s[12:13]
.LBB20_968:
	v_lshrrev_b32_e32 v5, 24, v0
	s_movk_i32 s12, 0x80
	v_and_or_b32 v5, v5, s12, v4
.LBB20_969:
	s_or_b64 exec, exec, s[14:15]
.LBB20_970:
	s_or_b64 exec, exec, s[10:11]
	global_store_byte v[2:3], v5, off
.LBB20_971:
	s_mov_b64 s[10:11], 0
.LBB20_972:
	s_and_b64 vcc, exec, s[10:11]
	s_cbranch_vccz .LBB20_1012
; %bb.973:
	s_cmp_gt_i32 s17, 22
	s_mov_b64 s[8:9], -1
	s_cbranch_scc0 .LBB20_1005
; %bb.974:
	s_cmp_lt_i32 s17, 24
	s_cbranch_scc1 .LBB20_994
; %bb.975:
	s_cmp_gt_i32 s17, 24
	s_cbranch_scc0 .LBB20_983
; %bb.976:
	v_and_b32_e32 v4, 0x7fffffff, v0
	s_mov_b32 s8, 0x47800000
	v_cmp_gt_u32_e32 vcc, s8, v4
	v_mov_b32_e32 v5, 0x80
	s_and_saveexec_b64 s[8:9], vcc
	s_cbranch_execz .LBB20_982
; %bb.977:
	s_mov_b32 s10, 0x37ffffff
	v_cmp_lt_u32_e32 vcc, s10, v4
	s_mov_b64 s[10:11], 0
                                        ; implicit-def: $vgpr4
	s_and_saveexec_b64 s[12:13], vcc
	s_xor_b64 s[12:13], exec, s[12:13]
	s_cbranch_execz .LBB20_1123
; %bb.978:
	v_bfe_u32 v4, v0, 21, 1
	s_mov_b32 s14, 0x88fffff
	v_add3_u32 v4, v0, v4, s14
	s_mov_b64 s[10:11], exec
	v_lshrrev_b32_e32 v4, 21, v4
	s_andn2_saveexec_b64 s[12:13], s[12:13]
	s_cbranch_execnz .LBB20_1124
.LBB20_979:
	s_or_b64 exec, exec, s[12:13]
	v_mov_b32_e32 v5, 0
	s_and_saveexec_b64 s[12:13], s[10:11]
.LBB20_980:
	v_lshrrev_b32_e32 v5, 24, v0
	s_movk_i32 s10, 0x80
	v_and_or_b32 v5, v5, s10, v4
.LBB20_981:
	s_or_b64 exec, exec, s[12:13]
.LBB20_982:
	s_or_b64 exec, exec, s[8:9]
	s_mov_b64 s[8:9], 0
	global_store_byte v[2:3], v5, off
.LBB20_983:
	s_and_b64 vcc, exec, s[8:9]
	s_cbranch_vccz .LBB20_993
; %bb.984:
	v_and_b32_e32 v5, 0x7fffffff, v0
	s_mov_b32 s8, 0x43f00000
	v_cmp_gt_u32_e32 vcc, s8, v5
                                        ; implicit-def: $vgpr4
	s_and_saveexec_b64 s[8:9], vcc
	s_xor_b64 s[8:9], exec, s[8:9]
	s_cbranch_execz .LBB20_990
; %bb.985:
	s_mov_b32 s10, 0x3c7fffff
	v_cmp_lt_u32_e32 vcc, s10, v5
                                        ; implicit-def: $vgpr4
	s_and_saveexec_b64 s[10:11], vcc
	s_xor_b64 s[10:11], exec, s[10:11]
; %bb.986:
	v_bfe_u32 v4, v0, 20, 1
	s_mov_b32 s12, 0x407ffff
	v_add3_u32 v4, v0, v4, s12
	v_lshrrev_b32_e32 v5, 20, v4
	v_and_b32_e32 v4, 0xff00000, v4
	s_mov_b32 s12, 0x7f00000
	v_mov_b32_e32 v6, 0x7e
	v_cmp_ne_u32_e32 vcc, s12, v4
	v_cndmask_b32_e32 v4, v6, v5, vcc
; %bb.987:
	s_andn2_saveexec_b64 s[10:11], s[10:11]
; %bb.988:
	s_mov_b32 s12, 0x46800000
	v_add_f32_e64 v4, |v0|, s12
; %bb.989:
	s_or_b64 exec, exec, s[10:11]
                                        ; implicit-def: $vgpr5
.LBB20_990:
	s_andn2_saveexec_b64 s[8:9], s[8:9]
; %bb.991:
	s_mov_b32 s10, 0x7f800000
	v_mov_b32_e32 v4, 0x7e
	v_mov_b32_e32 v6, 0x7f
	v_cmp_lt_u32_e32 vcc, s10, v5
	v_cndmask_b32_e32 v4, v4, v6, vcc
; %bb.992:
	s_or_b64 exec, exec, s[8:9]
	v_lshrrev_b32_e32 v5, 24, v0
	s_movk_i32 s8, 0x80
	v_and_or_b32 v4, v5, s8, v4
	global_store_byte v[2:3], v4, off
.LBB20_993:
	s_mov_b64 s[8:9], 0
.LBB20_994:
	s_andn2_b64 vcc, exec, s[8:9]
	s_cbranch_vccnz .LBB20_1004
; %bb.995:
	v_and_b32_e32 v5, 0x7fffffff, v0
	s_mov_b32 s8, 0x47800000
	v_cmp_gt_u32_e32 vcc, s8, v5
                                        ; implicit-def: $vgpr4
	s_and_saveexec_b64 s[8:9], vcc
	s_xor_b64 s[8:9], exec, s[8:9]
	s_cbranch_execz .LBB20_1001
; %bb.996:
	s_mov_b32 s10, 0x387fffff
	v_cmp_lt_u32_e32 vcc, s10, v5
                                        ; implicit-def: $vgpr4
	s_and_saveexec_b64 s[10:11], vcc
	s_xor_b64 s[10:11], exec, s[10:11]
; %bb.997:
	v_bfe_u32 v4, v0, 21, 1
	s_mov_b32 s12, 0x80fffff
	v_add3_u32 v4, v0, v4, s12
	v_lshrrev_b32_e32 v4, 21, v4
; %bb.998:
	s_andn2_saveexec_b64 s[10:11], s[10:11]
; %bb.999:
	s_mov_b32 s12, 0x43000000
	v_add_f32_e64 v4, |v0|, s12
; %bb.1000:
	s_or_b64 exec, exec, s[10:11]
                                        ; implicit-def: $vgpr5
.LBB20_1001:
	s_andn2_saveexec_b64 s[8:9], s[8:9]
; %bb.1002:
	s_mov_b32 s10, 0x7f800000
	v_mov_b32_e32 v4, 0x7c
	v_mov_b32_e32 v6, 0x7f
	v_cmp_lt_u32_e32 vcc, s10, v5
	v_cndmask_b32_e32 v4, v4, v6, vcc
; %bb.1003:
	s_or_b64 exec, exec, s[8:9]
	v_lshrrev_b32_e32 v5, 24, v0
	s_movk_i32 s8, 0x80
	v_and_or_b32 v4, v5, s8, v4
	global_store_byte v[2:3], v4, off
.LBB20_1004:
	s_mov_b64 s[8:9], 0
.LBB20_1005:
	s_andn2_b64 vcc, exec, s[8:9]
	s_mov_b64 s[8:9], 0
	s_cbranch_vccnz .LBB20_1012
; %bb.1006:
	s_cmp_gt_i32 s17, 14
	s_mov_b64 s[10:11], -1
	s_cbranch_scc0 .LBB20_1010
; %bb.1007:
	s_cmp_eq_u32 s17, 15
	s_mov_b64 s[4:5], -1
	s_cbranch_scc0 .LBB20_1009
; %bb.1008:
	v_bfe_u32 v4, v0, 16, 1
	s_movk_i32 s4, 0x7fff
	v_add3_u32 v4, v0, v4, s4
	v_cmp_o_f32_e32 vcc, v0, v0
	v_mov_b32_e32 v5, 0x7fc0
	v_cndmask_b32_sdwa v4, v5, v4, vcc dst_sel:DWORD dst_unused:UNUSED_PAD src0_sel:DWORD src1_sel:WORD_1
	global_store_short v[2:3], v4, off
	s_mov_b64 s[4:5], 0
.LBB20_1009:
	s_mov_b64 s[10:11], 0
.LBB20_1010:
	s_and_b64 vcc, exec, s[10:11]
	s_cbranch_vccz .LBB20_1012
; %bb.1011:
	s_cmp_lg_u32 s17, 11
	s_mov_b64 s[8:9], -1
	s_cselect_b64 s[4:5], -1, 0
.LBB20_1012:
	s_and_b64 vcc, exec, s[4:5]
	s_cbranch_vccnz .LBB20_1118
.LBB20_1013:
	s_mov_b64 s[4:5], 0
	s_branch .LBB20_1054
.LBB20_1014:
	s_mov_b64 s[10:11], 0
	s_cbranch_execz .LBB20_937
; %bb.1015:
	s_and_b32 s8, 0xffff, s16
	s_cmp_lt_i32 s8, 5
	s_mov_b64 s[4:5], -1
	s_cbranch_scc1 .LBB20_1036
; %bb.1016:
	s_cmp_lt_i32 s8, 8
	s_cbranch_scc1 .LBB20_1026
; %bb.1017:
	s_cmp_lt_i32 s8, 9
	s_cbranch_scc1 .LBB20_1023
; %bb.1018:
	s_cmp_gt_i32 s8, 9
	s_cbranch_scc0 .LBB20_1020
; %bb.1019:
	v_cvt_f64_f32_e32 v[4:5], v20
	v_cvt_f64_f32_e32 v[6:7], v21
	s_mov_b64 s[4:5], 0
	global_store_dwordx4 v[2:3], v[4:7], off
.LBB20_1020:
	s_andn2_b64 vcc, exec, s[4:5]
	s_cbranch_vccnz .LBB20_1022
; %bb.1021:
	global_store_dwordx2 v[2:3], v[20:21], off
.LBB20_1022:
	s_mov_b64 s[4:5], 0
.LBB20_1023:
	s_andn2_b64 vcc, exec, s[4:5]
	s_cbranch_vccnz .LBB20_1025
; %bb.1024:
	v_cvt_f16_f32_e32 v4, v20
	v_cvt_f16_f32_sdwa v5, v21 dst_sel:WORD_1 dst_unused:UNUSED_PAD src0_sel:DWORD
	v_or_b32_e32 v4, v5, v4
	global_store_dword v[2:3], v4, off
.LBB20_1025:
	s_mov_b64 s[4:5], 0
.LBB20_1026:
	s_andn2_b64 vcc, exec, s[4:5]
	s_cbranch_vccnz .LBB20_1035
; %bb.1027:
	s_cmp_lt_i32 s8, 6
	s_mov_b64 s[4:5], -1
	s_cbranch_scc1 .LBB20_1033
; %bb.1028:
	s_cmp_gt_i32 s8, 6
	s_cbranch_scc0 .LBB20_1030
; %bb.1029:
	v_cvt_f64_f32_e32 v[4:5], v20
	s_mov_b64 s[4:5], 0
	global_store_dwordx2 v[2:3], v[4:5], off
.LBB20_1030:
	s_andn2_b64 vcc, exec, s[4:5]
	s_cbranch_vccnz .LBB20_1032
; %bb.1031:
	global_store_dword v[2:3], v20, off
.LBB20_1032:
	s_mov_b64 s[4:5], 0
.LBB20_1033:
	s_andn2_b64 vcc, exec, s[4:5]
	s_cbranch_vccnz .LBB20_1035
; %bb.1034:
	v_cvt_f16_f32_e32 v4, v20
	global_store_short v[2:3], v4, off
.LBB20_1035:
	s_mov_b64 s[4:5], 0
.LBB20_1036:
	s_andn2_b64 vcc, exec, s[4:5]
	s_cbranch_vccnz .LBB20_1052
; %bb.1037:
	s_cmp_lt_i32 s8, 2
	s_mov_b64 s[4:5], -1
	s_cbranch_scc1 .LBB20_1047
; %bb.1038:
	s_cmp_lt_i32 s8, 3
	s_cbranch_scc1 .LBB20_1044
; %bb.1039:
	s_cmp_gt_i32 s8, 3
	s_cbranch_scc0 .LBB20_1041
; %bb.1040:
	v_trunc_f32_e32 v4, v20
	s_mov_b32 s4, 0x2f800000
	v_mul_f32_e64 v5, |v4|, s4
	v_floor_f32_e32 v5, v5
	s_mov_b32 s4, 0xcf800000
	v_cvt_u32_f32_e32 v6, v5
	v_fma_f32 v5, v5, s4, |v4|
	v_cvt_u32_f32_e32 v5, v5
	v_ashrrev_i32_e32 v7, 31, v4
	v_xor_b32_e32 v6, v6, v7
	s_mov_b64 s[4:5], 0
	v_xor_b32_e32 v4, v5, v7
	v_sub_co_u32_e32 v4, vcc, v4, v7
	v_subb_co_u32_e32 v5, vcc, v6, v7, vcc
	global_store_dwordx2 v[2:3], v[4:5], off
.LBB20_1041:
	s_andn2_b64 vcc, exec, s[4:5]
	s_cbranch_vccnz .LBB20_1043
; %bb.1042:
	v_cvt_i32_f32_e32 v4, v20
	global_store_dword v[2:3], v4, off
.LBB20_1043:
	s_mov_b64 s[4:5], 0
.LBB20_1044:
	s_andn2_b64 vcc, exec, s[4:5]
	s_cbranch_vccnz .LBB20_1046
; %bb.1045:
	v_cvt_i32_f32_e32 v4, v20
	global_store_short v[2:3], v4, off
.LBB20_1046:
	s_mov_b64 s[4:5], 0
.LBB20_1047:
	s_andn2_b64 vcc, exec, s[4:5]
	s_cbranch_vccnz .LBB20_1052
; %bb.1048:
	s_cmp_gt_i32 s8, 0
	s_mov_b64 s[4:5], -1
	s_cbranch_scc0 .LBB20_1050
; %bb.1049:
	v_cvt_i32_f32_e32 v4, v20
	s_mov_b64 s[4:5], 0
	global_store_byte v[2:3], v4, off
.LBB20_1050:
	s_andn2_b64 vcc, exec, s[4:5]
	s_cbranch_vccnz .LBB20_1052
; %bb.1051:
	v_trunc_f32_e32 v4, v20
	s_mov_b32 s4, 0x2f800000
	v_mul_f32_e64 v5, |v4|, s4
	v_floor_f32_e32 v5, v5
	s_mov_b32 s4, 0xcf800000
	v_fma_f32 v5, v5, s4, |v4|
	v_cvt_u32_f32_e32 v5, v5
	v_ashrrev_i32_e32 v4, 31, v4
	v_xor_b32_e32 v5, v5, v4
	v_sub_u32_e32 v4, v5, v4
	global_store_byte v[2:3], v4, off
.LBB20_1052:
	s_branch .LBB20_938
.LBB20_1053:
	s_mov_b64 s[4:5], 0
	s_mov_b64 s[8:9], 0
                                        ; implicit-def: $sgpr16
                                        ; implicit-def: $vgpr2_vgpr3
.LBB20_1054:
	s_and_b64 s[48:49], s[8:9], exec
	s_andn2_b64 s[8:9], s[40:41], exec
	s_and_b64 s[6:7], s[6:7], exec
	s_and_b64 s[4:5], s[4:5], exec
	s_or_b64 s[40:41], s[8:9], s[6:7]
.LBB20_1055:
	s_or_b64 exec, exec, s[42:43]
	s_and_saveexec_b64 s[6:7], s[40:41]
	s_cbranch_execz .LBB20_1058
; %bb.1056:
	; divergent unreachable
	s_or_b64 exec, exec, s[6:7]
	s_and_saveexec_b64 s[6:7], s[48:49]
	s_xor_b64 s[6:7], exec, s[6:7]
	s_cbranch_execnz .LBB20_1059
.LBB20_1057:
	s_or_b64 exec, exec, s[6:7]
	s_and_saveexec_b64 s[6:7], s[4:5]
	s_cbranch_execnz .LBB20_1060
	s_branch .LBB20_1097
.LBB20_1058:
	s_or_b64 exec, exec, s[6:7]
	s_and_saveexec_b64 s[6:7], s[48:49]
	s_xor_b64 s[6:7], exec, s[6:7]
	s_cbranch_execz .LBB20_1057
.LBB20_1059:
	v_or_b32_e32 v4, v0, v1
	v_and_b32_e32 v4, 0x7fffffff, v4
	v_cmp_ne_u32_e32 vcc, 0, v4
	v_cndmask_b32_e64 v4, 0, 1, vcc
	global_store_byte v[2:3], v4, off
	s_or_b64 exec, exec, s[6:7]
	s_and_saveexec_b64 s[6:7], s[4:5]
	s_cbranch_execz .LBB20_1097
.LBB20_1060:
	s_sext_i32_i16 s6, s16
	s_cmp_lt_i32 s6, 5
	s_mov_b64 s[4:5], -1
	s_cbranch_scc1 .LBB20_1081
; %bb.1061:
	s_cmp_lt_i32 s6, 8
	s_cbranch_scc1 .LBB20_1071
; %bb.1062:
	s_cmp_lt_i32 s6, 9
	s_cbranch_scc1 .LBB20_1068
; %bb.1063:
	s_cmp_gt_i32 s6, 9
	s_cbranch_scc0 .LBB20_1065
; %bb.1064:
	v_cvt_f64_f32_e32 v[4:5], v0
	v_cvt_f64_f32_e32 v[6:7], v1
	s_mov_b64 s[4:5], 0
	global_store_dwordx4 v[2:3], v[4:7], off
.LBB20_1065:
	s_andn2_b64 vcc, exec, s[4:5]
	s_cbranch_vccnz .LBB20_1067
; %bb.1066:
	global_store_dwordx2 v[2:3], v[0:1], off
.LBB20_1067:
	s_mov_b64 s[4:5], 0
.LBB20_1068:
	s_andn2_b64 vcc, exec, s[4:5]
	s_cbranch_vccnz .LBB20_1070
; %bb.1069:
	v_cvt_f16_f32_e32 v4, v0
	v_cvt_f16_f32_sdwa v1, v1 dst_sel:WORD_1 dst_unused:UNUSED_PAD src0_sel:DWORD
	v_or_b32_e32 v1, v1, v4
	global_store_dword v[2:3], v1, off
.LBB20_1070:
	s_mov_b64 s[4:5], 0
.LBB20_1071:
	s_andn2_b64 vcc, exec, s[4:5]
	s_cbranch_vccnz .LBB20_1080
; %bb.1072:
	s_sext_i32_i16 s6, s16
	s_cmp_lt_i32 s6, 6
	s_mov_b64 s[4:5], -1
	s_cbranch_scc1 .LBB20_1078
; %bb.1073:
	s_cmp_gt_i32 s6, 6
	s_cbranch_scc0 .LBB20_1075
; %bb.1074:
	v_cvt_f64_f32_e32 v[4:5], v0
	s_mov_b64 s[4:5], 0
	global_store_dwordx2 v[2:3], v[4:5], off
.LBB20_1075:
	s_andn2_b64 vcc, exec, s[4:5]
	s_cbranch_vccnz .LBB20_1077
; %bb.1076:
	global_store_dword v[2:3], v0, off
.LBB20_1077:
	s_mov_b64 s[4:5], 0
.LBB20_1078:
	s_andn2_b64 vcc, exec, s[4:5]
	s_cbranch_vccnz .LBB20_1080
; %bb.1079:
	v_cvt_f16_f32_e32 v1, v0
	global_store_short v[2:3], v1, off
.LBB20_1080:
	s_mov_b64 s[4:5], 0
.LBB20_1081:
	s_andn2_b64 vcc, exec, s[4:5]
	s_cbranch_vccnz .LBB20_1097
; %bb.1082:
	s_sext_i32_i16 s6, s16
	s_cmp_lt_i32 s6, 2
	s_mov_b64 s[4:5], -1
	s_cbranch_scc1 .LBB20_1092
; %bb.1083:
	s_cmp_lt_i32 s6, 3
	s_cbranch_scc1 .LBB20_1089
; %bb.1084:
	s_cmp_gt_i32 s6, 3
	s_cbranch_scc0 .LBB20_1086
; %bb.1085:
	v_trunc_f32_e32 v1, v0
	s_mov_b32 s4, 0x2f800000
	v_mul_f32_e64 v4, |v1|, s4
	v_floor_f32_e32 v4, v4
	s_mov_b32 s4, 0xcf800000
	v_cvt_u32_f32_e32 v5, v4
	v_fma_f32 v4, v4, s4, |v1|
	v_cvt_u32_f32_e32 v4, v4
	v_ashrrev_i32_e32 v1, 31, v1
	v_xor_b32_e32 v5, v5, v1
	s_mov_b64 s[4:5], 0
	v_xor_b32_e32 v4, v4, v1
	v_sub_co_u32_e32 v4, vcc, v4, v1
	v_subb_co_u32_e32 v5, vcc, v5, v1, vcc
	global_store_dwordx2 v[2:3], v[4:5], off
.LBB20_1086:
	s_andn2_b64 vcc, exec, s[4:5]
	s_cbranch_vccnz .LBB20_1088
; %bb.1087:
	v_cvt_i32_f32_e32 v1, v0
	global_store_dword v[2:3], v1, off
.LBB20_1088:
	s_mov_b64 s[4:5], 0
.LBB20_1089:
	s_andn2_b64 vcc, exec, s[4:5]
	s_cbranch_vccnz .LBB20_1091
; %bb.1090:
	v_cvt_i32_f32_e32 v1, v0
	global_store_short v[2:3], v1, off
.LBB20_1091:
	s_mov_b64 s[4:5], 0
.LBB20_1092:
	s_andn2_b64 vcc, exec, s[4:5]
	s_cbranch_vccnz .LBB20_1097
; %bb.1093:
	s_sext_i32_i16 s4, s16
	s_cmp_gt_i32 s4, 0
	s_mov_b64 s[4:5], -1
	s_cbranch_scc0 .LBB20_1095
; %bb.1094:
	v_cvt_i32_f32_e32 v1, v0
	s_mov_b64 s[4:5], 0
	global_store_byte v[2:3], v1, off
.LBB20_1095:
	s_andn2_b64 vcc, exec, s[4:5]
	s_cbranch_vccnz .LBB20_1097
; %bb.1096:
	v_trunc_f32_e32 v0, v0
	s_mov_b32 s4, 0x2f800000
	v_mul_f32_e64 v1, |v0|, s4
	v_floor_f32_e32 v1, v1
	s_mov_b32 s4, 0xcf800000
	v_fma_f32 v1, v1, s4, |v0|
	v_cvt_u32_f32_e32 v1, v1
	v_ashrrev_i32_e32 v0, 31, v0
	v_xor_b32_e32 v1, v1, v0
	v_sub_u32_e32 v0, v1, v0
	global_store_byte v[2:3], v0, off
	s_endpgm
.LBB20_1097:
	s_endpgm
.LBB20_1098:
	s_mov_b64 s[8:9], 0
	s_mov_b64 s[4:5], -1
	s_branch .LBB20_1054
.LBB20_1099:
	s_andn2_saveexec_b64 s[12:13], s[12:13]
	s_cbranch_execz .LBB20_651
.LBB20_1100:
	s_mov_b32 s16, 0x46000000
	v_add_f32_e64 v4, |v24|, s16
	v_and_b32_e32 v4, 0xff, v4
	v_cmp_ne_u32_e32 vcc, 0, v4
	s_andn2_b64 s[10:11], s[10:11], exec
	s_and_b64 s[16:17], vcc, exec
	s_or_b64 s[10:11], s[10:11], s[16:17]
	s_or_b64 exec, exec, s[12:13]
	v_mov_b32_e32 v5, 0
	s_and_saveexec_b64 s[12:13], s[10:11]
	s_cbranch_execnz .LBB20_652
	s_branch .LBB20_653
.LBB20_1101:
	s_or_b64 s[6:7], s[40:41], exec
	s_trap 2
	s_cbranch_execz .LBB20_699
	s_branch .LBB20_700
.LBB20_1102:
	s_andn2_saveexec_b64 s[10:11], s[10:11]
	s_cbranch_execz .LBB20_664
.LBB20_1103:
	s_mov_b32 s12, 0x42800000
	v_add_f32_e64 v4, |v24|, s12
	v_and_b32_e32 v4, 0xff, v4
	v_cmp_ne_u32_e32 vcc, 0, v4
	s_andn2_b64 s[8:9], s[8:9], exec
	s_and_b64 s[12:13], vcc, exec
	s_or_b64 s[8:9], s[8:9], s[12:13]
	s_or_b64 exec, exec, s[10:11]
	v_mov_b32_e32 v5, 0
	s_and_saveexec_b64 s[10:11], s[8:9]
	s_cbranch_execnz .LBB20_665
	s_branch .LBB20_666
.LBB20_1104:
	s_andn2_saveexec_b64 s[14:15], s[14:15]
	s_cbranch_execz .LBB20_769
.LBB20_1105:
	s_mov_b32 s18, 0x46000000
	v_add_f32_e64 v4, |v22|, s18
	v_and_b32_e32 v4, 0xff, v4
	v_cmp_ne_u32_e32 vcc, 0, v4
	s_andn2_b64 s[12:13], s[12:13], exec
	s_and_b64 s[18:19], vcc, exec
	s_or_b64 s[12:13], s[12:13], s[18:19]
	s_or_b64 exec, exec, s[14:15]
	v_mov_b32_e32 v5, 0
	s_and_saveexec_b64 s[14:15], s[12:13]
	s_cbranch_execnz .LBB20_770
	s_branch .LBB20_771
.LBB20_1106:
	s_trap 2
	s_or_b64 s[6:7], s[6:7], exec
	s_cbranch_execz .LBB20_817
	s_branch .LBB20_818
.LBB20_1107:
	s_andn2_saveexec_b64 s[12:13], s[12:13]
	s_cbranch_execz .LBB20_782
.LBB20_1108:
	s_mov_b32 s14, 0x42800000
	v_add_f32_e64 v4, |v22|, s14
	v_and_b32_e32 v4, 0xff, v4
	v_cmp_ne_u32_e32 vcc, 0, v4
	s_andn2_b64 s[10:11], s[10:11], exec
	s_and_b64 s[14:15], vcc, exec
	s_or_b64 s[10:11], s[10:11], s[14:15]
	s_or_b64 exec, exec, s[12:13]
	v_mov_b32_e32 v5, 0
	s_and_saveexec_b64 s[12:13], s[10:11]
	s_cbranch_execnz .LBB20_783
	s_branch .LBB20_784
.LBB20_1109:
	s_andn2_saveexec_b64 s[14:15], s[14:15]
	s_cbranch_execz .LBB20_887
.LBB20_1110:
	s_mov_b32 s18, 0x46000000
	v_add_f32_e64 v4, |v20|, s18
	v_and_b32_e32 v4, 0xff, v4
	v_cmp_ne_u32_e32 vcc, 0, v4
	s_andn2_b64 s[12:13], s[12:13], exec
	s_and_b64 s[18:19], vcc, exec
	s_or_b64 s[12:13], s[12:13], s[18:19]
	s_or_b64 exec, exec, s[14:15]
	v_mov_b32_e32 v5, 0
	s_and_saveexec_b64 s[14:15], s[12:13]
	s_cbranch_execnz .LBB20_888
	s_branch .LBB20_889
.LBB20_1111:
	s_trap 2
	s_or_b64 s[6:7], s[6:7], exec
	s_cbranch_execz .LBB20_935
	s_branch .LBB20_936
.LBB20_1112:
	s_andn2_saveexec_b64 s[10:11], s[10:11]
	s_cbranch_execz .LBB20_338
.LBB20_1113:
	s_mov_b32 s14, 0x46000000
	v_add_f32_e64 v4, |v0|, s14
	v_and_b32_e32 v4, 0xff, v4
	v_cmp_ne_u32_e32 vcc, 0, v4
	s_andn2_b64 s[8:9], s[8:9], exec
	s_and_b64 s[14:15], vcc, exec
	s_or_b64 s[8:9], s[8:9], s[14:15]
	s_or_b64 exec, exec, s[10:11]
	v_mov_b32_e32 v5, 0
	s_and_saveexec_b64 s[10:11], s[8:9]
	s_cbranch_execnz .LBB20_339
	s_branch .LBB20_340
.LBB20_1114:
	s_andn2_saveexec_b64 s[12:13], s[12:13]
	s_cbranch_execz .LBB20_900
.LBB20_1115:
	s_mov_b32 s14, 0x42800000
	v_add_f32_e64 v4, |v20|, s14
	v_and_b32_e32 v4, 0xff, v4
	v_cmp_ne_u32_e32 vcc, 0, v4
	s_andn2_b64 s[10:11], s[10:11], exec
	s_and_b64 s[14:15], vcc, exec
	s_or_b64 s[10:11], s[10:11], s[14:15]
	s_or_b64 exec, exec, s[12:13]
	v_mov_b32_e32 v5, 0
	s_and_saveexec_b64 s[12:13], s[10:11]
	s_cbranch_execnz .LBB20_901
	s_branch .LBB20_902
.LBB20_1116:
	s_andn2_saveexec_b64 s[14:15], s[14:15]
	s_cbranch_execz .LBB20_967
.LBB20_1117:
	s_mov_b32 s18, 0x46000000
	v_add_f32_e64 v4, |v0|, s18
	v_and_b32_e32 v4, 0xff, v4
	v_cmp_ne_u32_e32 vcc, 0, v4
	s_andn2_b64 s[12:13], s[12:13], exec
	s_and_b64 s[18:19], vcc, exec
	s_or_b64 s[12:13], s[12:13], s[18:19]
	s_or_b64 exec, exec, s[14:15]
	v_mov_b32_e32 v5, 0
	s_and_saveexec_b64 s[14:15], s[12:13]
	s_cbranch_execnz .LBB20_968
	s_branch .LBB20_969
.LBB20_1118:
	s_mov_b64 s[8:9], 0
	s_or_b64 s[6:7], s[6:7], exec
	s_trap 2
	s_branch .LBB20_1013
.LBB20_1119:
	s_andn2_saveexec_b64 s[10:11], s[10:11]
	s_cbranch_execz .LBB20_351
.LBB20_1120:
	s_mov_b32 s14, 0x42800000
	v_add_f32_e64 v4, |v0|, s14
	v_and_b32_e32 v4, 0xff, v4
	v_cmp_ne_u32_e32 vcc, 0, v4
	s_andn2_b64 s[8:9], s[8:9], exec
	s_and_b64 s[14:15], vcc, exec
	s_or_b64 s[8:9], s[8:9], s[14:15]
	s_or_b64 exec, exec, s[10:11]
	v_mov_b32_e32 v5, 0
	s_and_saveexec_b64 s[10:11], s[8:9]
	s_cbranch_execnz .LBB20_352
	s_branch .LBB20_353
.LBB20_1121:
	s_andn2_saveexec_b64 s[10:11], s[10:11]
	s_cbranch_execz .LBB20_476
.LBB20_1122:
	s_mov_b32 s12, 0x46000000
	v_add_f32_e64 v4, |v0|, s12
	v_and_b32_e32 v4, 0xff, v4
	v_cmp_ne_u32_e32 vcc, 0, v4
	s_andn2_b64 s[8:9], s[8:9], exec
	s_and_b64 s[12:13], vcc, exec
	s_or_b64 s[8:9], s[8:9], s[12:13]
	s_or_b64 exec, exec, s[10:11]
	v_mov_b32_e32 v5, 0
	s_and_saveexec_b64 s[10:11], s[8:9]
	s_cbranch_execnz .LBB20_477
	s_branch .LBB20_478
.LBB20_1123:
	s_andn2_saveexec_b64 s[12:13], s[12:13]
	s_cbranch_execz .LBB20_979
.LBB20_1124:
	s_mov_b32 s14, 0x42800000
	v_add_f32_e64 v4, |v0|, s14
	v_and_b32_e32 v4, 0xff, v4
	v_cmp_ne_u32_e32 vcc, 0, v4
	s_andn2_b64 s[10:11], s[10:11], exec
	s_and_b64 s[14:15], vcc, exec
	s_or_b64 s[10:11], s[10:11], s[14:15]
	s_or_b64 exec, exec, s[12:13]
	v_mov_b32_e32 v5, 0
	s_and_saveexec_b64 s[12:13], s[10:11]
	s_cbranch_execnz .LBB20_980
	s_branch .LBB20_981
.LBB20_1125:
	s_andn2_saveexec_b64 s[12:13], s[12:13]
	s_cbranch_execz .LBB20_488
.LBB20_1126:
	s_mov_b32 s16, 0x42800000
	v_add_f32_e64 v4, |v0|, s16
	v_and_b32_e32 v4, 0xff, v4
	v_cmp_ne_u32_e32 vcc, 0, v4
	s_andn2_b64 s[10:11], s[10:11], exec
	s_and_b64 s[16:17], vcc, exec
	s_or_b64 s[10:11], s[10:11], s[16:17]
	s_or_b64 exec, exec, s[12:13]
	v_mov_b32_e32 v5, 0
	s_and_saveexec_b64 s[12:13], s[10:11]
	s_cbranch_execnz .LBB20_489
	s_branch .LBB20_490
	.section	.rodata,"a",@progbits
	.p2align	6, 0x0
	.amdhsa_kernel _ZN2at6native32elementwise_kernel_manual_unrollILi128ELi4EZNS0_15gpu_kernel_implIZZZNS0_16asin_kernel_cudaERNS_18TensorIteratorBaseEENKUlvE_clEvENKUlvE0_clEvEUlN3c107complexIfEEE_EEvS4_RKT_EUlibE0_EEviT1_
		.amdhsa_group_segment_fixed_size 0
		.amdhsa_private_segment_fixed_size 12
		.amdhsa_kernarg_size 360
		.amdhsa_user_sgpr_count 8
		.amdhsa_user_sgpr_private_segment_buffer 1
		.amdhsa_user_sgpr_dispatch_ptr 0
		.amdhsa_user_sgpr_queue_ptr 0
		.amdhsa_user_sgpr_kernarg_segment_ptr 1
		.amdhsa_user_sgpr_dispatch_id 0
		.amdhsa_user_sgpr_flat_scratch_init 1
		.amdhsa_user_sgpr_private_segment_size 0
		.amdhsa_uses_dynamic_stack 0
		.amdhsa_system_sgpr_private_segment_wavefront_offset 1
		.amdhsa_system_sgpr_workgroup_id_x 1
		.amdhsa_system_sgpr_workgroup_id_y 0
		.amdhsa_system_sgpr_workgroup_id_z 0
		.amdhsa_system_sgpr_workgroup_info 0
		.amdhsa_system_vgpr_workitem_id 0
		.amdhsa_next_free_vgpr 36
		.amdhsa_next_free_sgpr 79
		.amdhsa_reserve_vcc 1
		.amdhsa_reserve_flat_scratch 1
		.amdhsa_float_round_mode_32 0
		.amdhsa_float_round_mode_16_64 0
		.amdhsa_float_denorm_mode_32 3
		.amdhsa_float_denorm_mode_16_64 3
		.amdhsa_dx10_clamp 1
		.amdhsa_ieee_mode 1
		.amdhsa_fp16_overflow 0
		.amdhsa_exception_fp_ieee_invalid_op 0
		.amdhsa_exception_fp_denorm_src 0
		.amdhsa_exception_fp_ieee_div_zero 0
		.amdhsa_exception_fp_ieee_overflow 0
		.amdhsa_exception_fp_ieee_underflow 0
		.amdhsa_exception_fp_ieee_inexact 0
		.amdhsa_exception_int_div_zero 0
	.end_amdhsa_kernel
	.section	.text._ZN2at6native32elementwise_kernel_manual_unrollILi128ELi4EZNS0_15gpu_kernel_implIZZZNS0_16asin_kernel_cudaERNS_18TensorIteratorBaseEENKUlvE_clEvENKUlvE0_clEvEUlN3c107complexIfEEE_EEvS4_RKT_EUlibE0_EEviT1_,"axG",@progbits,_ZN2at6native32elementwise_kernel_manual_unrollILi128ELi4EZNS0_15gpu_kernel_implIZZZNS0_16asin_kernel_cudaERNS_18TensorIteratorBaseEENKUlvE_clEvENKUlvE0_clEvEUlN3c107complexIfEEE_EEvS4_RKT_EUlibE0_EEviT1_,comdat
.Lfunc_end20:
	.size	_ZN2at6native32elementwise_kernel_manual_unrollILi128ELi4EZNS0_15gpu_kernel_implIZZZNS0_16asin_kernel_cudaERNS_18TensorIteratorBaseEENKUlvE_clEvENKUlvE0_clEvEUlN3c107complexIfEEE_EEvS4_RKT_EUlibE0_EEviT1_, .Lfunc_end20-_ZN2at6native32elementwise_kernel_manual_unrollILi128ELi4EZNS0_15gpu_kernel_implIZZZNS0_16asin_kernel_cudaERNS_18TensorIteratorBaseEENKUlvE_clEvENKUlvE0_clEvEUlN3c107complexIfEEE_EEvS4_RKT_EUlibE0_EEviT1_
                                        ; -- End function
	.set _ZN2at6native32elementwise_kernel_manual_unrollILi128ELi4EZNS0_15gpu_kernel_implIZZZNS0_16asin_kernel_cudaERNS_18TensorIteratorBaseEENKUlvE_clEvENKUlvE0_clEvEUlN3c107complexIfEEE_EEvS4_RKT_EUlibE0_EEviT1_.num_vgpr, max(36, .L_ZN2at6native6invokeIZZZNS0_16asin_kernel_cudaERNS_18TensorIteratorBaseEENKUlvE_clEvENKUlvE0_clEvEUlN3c107complexIfEEE_j15function_traitsIS9_EEENT1_11result_typeERKT_PrKPcPKT0_PKNS6_10ScalarTypeEi.num_vgpr)
	.set _ZN2at6native32elementwise_kernel_manual_unrollILi128ELi4EZNS0_15gpu_kernel_implIZZZNS0_16asin_kernel_cudaERNS_18TensorIteratorBaseEENKUlvE_clEvENKUlvE0_clEvEUlN3c107complexIfEEE_EEvS4_RKT_EUlibE0_EEviT1_.num_agpr, max(0, .L_ZN2at6native6invokeIZZZNS0_16asin_kernel_cudaERNS_18TensorIteratorBaseEENKUlvE_clEvENKUlvE0_clEvEUlN3c107complexIfEEE_j15function_traitsIS9_EEENT1_11result_typeERKT_PrKPcPKT0_PKNS6_10ScalarTypeEi.num_agpr)
	.set _ZN2at6native32elementwise_kernel_manual_unrollILi128ELi4EZNS0_15gpu_kernel_implIZZZNS0_16asin_kernel_cudaERNS_18TensorIteratorBaseEENKUlvE_clEvENKUlvE0_clEvEUlN3c107complexIfEEE_EEvS4_RKT_EUlibE0_EEviT1_.numbered_sgpr, max(79, .L_ZN2at6native6invokeIZZZNS0_16asin_kernel_cudaERNS_18TensorIteratorBaseEENKUlvE_clEvENKUlvE0_clEvEUlN3c107complexIfEEE_j15function_traitsIS9_EEENT1_11result_typeERKT_PrKPcPKT0_PKNS6_10ScalarTypeEi.numbered_sgpr)
	.set _ZN2at6native32elementwise_kernel_manual_unrollILi128ELi4EZNS0_15gpu_kernel_implIZZZNS0_16asin_kernel_cudaERNS_18TensorIteratorBaseEENKUlvE_clEvENKUlvE0_clEvEUlN3c107complexIfEEE_EEvS4_RKT_EUlibE0_EEviT1_.num_named_barrier, max(0, .L_ZN2at6native6invokeIZZZNS0_16asin_kernel_cudaERNS_18TensorIteratorBaseEENKUlvE_clEvENKUlvE0_clEvEUlN3c107complexIfEEE_j15function_traitsIS9_EEENT1_11result_typeERKT_PrKPcPKT0_PKNS6_10ScalarTypeEi.num_named_barrier)
	.set _ZN2at6native32elementwise_kernel_manual_unrollILi128ELi4EZNS0_15gpu_kernel_implIZZZNS0_16asin_kernel_cudaERNS_18TensorIteratorBaseEENKUlvE_clEvENKUlvE0_clEvEUlN3c107complexIfEEE_EEvS4_RKT_EUlibE0_EEviT1_.private_seg_size, 0+max(.L_ZN2at6native6invokeIZZZNS0_16asin_kernel_cudaERNS_18TensorIteratorBaseEENKUlvE_clEvENKUlvE0_clEvEUlN3c107complexIfEEE_j15function_traitsIS9_EEENT1_11result_typeERKT_PrKPcPKT0_PKNS6_10ScalarTypeEi.private_seg_size)
	.set _ZN2at6native32elementwise_kernel_manual_unrollILi128ELi4EZNS0_15gpu_kernel_implIZZZNS0_16asin_kernel_cudaERNS_18TensorIteratorBaseEENKUlvE_clEvENKUlvE0_clEvEUlN3c107complexIfEEE_EEvS4_RKT_EUlibE0_EEviT1_.uses_vcc, or(1, .L_ZN2at6native6invokeIZZZNS0_16asin_kernel_cudaERNS_18TensorIteratorBaseEENKUlvE_clEvENKUlvE0_clEvEUlN3c107complexIfEEE_j15function_traitsIS9_EEENT1_11result_typeERKT_PrKPcPKT0_PKNS6_10ScalarTypeEi.uses_vcc)
	.set _ZN2at6native32elementwise_kernel_manual_unrollILi128ELi4EZNS0_15gpu_kernel_implIZZZNS0_16asin_kernel_cudaERNS_18TensorIteratorBaseEENKUlvE_clEvENKUlvE0_clEvEUlN3c107complexIfEEE_EEvS4_RKT_EUlibE0_EEviT1_.uses_flat_scratch, or(1, .L_ZN2at6native6invokeIZZZNS0_16asin_kernel_cudaERNS_18TensorIteratorBaseEENKUlvE_clEvENKUlvE0_clEvEUlN3c107complexIfEEE_j15function_traitsIS9_EEENT1_11result_typeERKT_PrKPcPKT0_PKNS6_10ScalarTypeEi.uses_flat_scratch)
	.set _ZN2at6native32elementwise_kernel_manual_unrollILi128ELi4EZNS0_15gpu_kernel_implIZZZNS0_16asin_kernel_cudaERNS_18TensorIteratorBaseEENKUlvE_clEvENKUlvE0_clEvEUlN3c107complexIfEEE_EEvS4_RKT_EUlibE0_EEviT1_.has_dyn_sized_stack, or(0, .L_ZN2at6native6invokeIZZZNS0_16asin_kernel_cudaERNS_18TensorIteratorBaseEENKUlvE_clEvENKUlvE0_clEvEUlN3c107complexIfEEE_j15function_traitsIS9_EEENT1_11result_typeERKT_PrKPcPKT0_PKNS6_10ScalarTypeEi.has_dyn_sized_stack)
	.set _ZN2at6native32elementwise_kernel_manual_unrollILi128ELi4EZNS0_15gpu_kernel_implIZZZNS0_16asin_kernel_cudaERNS_18TensorIteratorBaseEENKUlvE_clEvENKUlvE0_clEvEUlN3c107complexIfEEE_EEvS4_RKT_EUlibE0_EEviT1_.has_recursion, or(0, .L_ZN2at6native6invokeIZZZNS0_16asin_kernel_cudaERNS_18TensorIteratorBaseEENKUlvE_clEvENKUlvE0_clEvEUlN3c107complexIfEEE_j15function_traitsIS9_EEENT1_11result_typeERKT_PrKPcPKT0_PKNS6_10ScalarTypeEi.has_recursion)
	.set _ZN2at6native32elementwise_kernel_manual_unrollILi128ELi4EZNS0_15gpu_kernel_implIZZZNS0_16asin_kernel_cudaERNS_18TensorIteratorBaseEENKUlvE_clEvENKUlvE0_clEvEUlN3c107complexIfEEE_EEvS4_RKT_EUlibE0_EEviT1_.has_indirect_call, or(0, .L_ZN2at6native6invokeIZZZNS0_16asin_kernel_cudaERNS_18TensorIteratorBaseEENKUlvE_clEvENKUlvE0_clEvEUlN3c107complexIfEEE_j15function_traitsIS9_EEENT1_11result_typeERKT_PrKPcPKT0_PKNS6_10ScalarTypeEi.has_indirect_call)
	.section	.AMDGPU.csdata,"",@progbits
; Kernel info:
; codeLenInByte = 22620
; TotalNumSgprs: 85
; NumVgprs: 36
; ScratchSize: 12
; MemoryBound: 0
; FloatMode: 240
; IeeeMode: 1
; LDSByteSize: 0 bytes/workgroup (compile time only)
; SGPRBlocks: 10
; VGPRBlocks: 8
; NumSGPRsForWavesPerEU: 85
; NumVGPRsForWavesPerEU: 36
; Occupancy: 7
; WaveLimiterHint : 1
; COMPUTE_PGM_RSRC2:SCRATCH_EN: 1
; COMPUTE_PGM_RSRC2:USER_SGPR: 8
; COMPUTE_PGM_RSRC2:TRAP_HANDLER: 0
; COMPUTE_PGM_RSRC2:TGID_X_EN: 1
; COMPUTE_PGM_RSRC2:TGID_Y_EN: 0
; COMPUTE_PGM_RSRC2:TGID_Z_EN: 0
; COMPUTE_PGM_RSRC2:TIDIG_COMP_CNT: 0
	.text
	.p2align	2                               ; -- Begin function _ZN3c104guts5applyIRZZZN2at6native16asin_kernel_cudaERNS2_18TensorIteratorBaseEENKUlvE_clEvENKUlvE1_clEvEUlNS_7complexINS_4HalfEEEE_RSt5tupleIJSA_EEEEDaOT_OT0_
	.type	_ZN3c104guts5applyIRZZZN2at6native16asin_kernel_cudaERNS2_18TensorIteratorBaseEENKUlvE_clEvENKUlvE1_clEvEUlNS_7complexINS_4HalfEEEE_RSt5tupleIJSA_EEEEDaOT_OT0_,@function
_ZN3c104guts5applyIRZZZN2at6native16asin_kernel_cudaERNS2_18TensorIteratorBaseEENKUlvE_clEvENKUlvE1_clEvEUlNS_7complexINS_4HalfEEEE_RSt5tupleIJSA_EEEEDaOT_OT0_: ; @_ZN3c104guts5applyIRZZZN2at6native16asin_kernel_cudaERNS2_18TensorIteratorBaseEENKUlvE_clEvENKUlvE1_clEvEUlNS_7complexINS_4HalfEEEE_RSt5tupleIJSA_EEEEDaOT_OT0_
; %bb.0:
	s_waitcnt vmcnt(0) expcnt(0) lgkmcnt(0)
	v_cvt_f32_f16_e32 v2, v0
	v_cvt_f32_f16_sdwa v1, v0 dst_sel:DWORD dst_unused:UNUSED_PAD src0_sel:WORD_1
	v_cmp_o_f16_sdwa s[4:5], v0, v0 src0_sel:WORD_1 src1_sel:DWORD
	s_and_saveexec_b64 s[6:7], s[4:5]
	s_xor_b64 s[8:9], exec, s[6:7]
	s_cbranch_execz .LBB21_84
; %bb.1:
	v_max_f32_e64 v5, |v1|, |v1|
	v_max_f32_e64 v3, |v2|, |v2|
	v_max_f32_e32 v6, v3, v5
	s_mov_b32 s4, 0x4b000000
	v_cmp_nlt_f32_e32 vcc, s4, v6
	s_and_saveexec_b64 s[4:5], vcc
	s_xor_b64 s[6:7], exec, s[4:5]
	s_cbranch_execz .LBB21_61
; %bb.2:
	v_mov_b32_e32 v3, 0
	v_cmp_neq_f16_sdwa s[4:5], v0, v3 src0_sel:WORD_1 src1_sel:DWORD
	v_cmp_neq_f16_e32 vcc, 0, v0
	s_or_b64 s[4:5], vcc, s[4:5]
	s_and_saveexec_b64 s[10:11], s[4:5]
	s_cbranch_execz .LBB21_60
; %bb.3:
	s_mov_b64 s[4:5], src_private_base
	s_lshr_b32 s4, s32, 6
	v_mov_b32_e32 v3, s4
	v_mov_b32_e32 v0, 0xd800000
	;; [unrolled: 1-line block ×3, first 2 shown]
	flat_store_dword v[3:4], v0
	s_waitcnt vmcnt(0)
	flat_load_dword v0, v[3:4] glc
	s_waitcnt vmcnt(0)
	s_lshr_b32 s4, s32, 6
	s_add_i32 s4, s4, 4
	v_mov_b32_e32 v3, s4
	v_mov_b32_e32 v4, s5
	s_mov_b32 s12, 0x395db3d7
	v_cmp_nlt_f32_e64 s[4:5], |v1|, s12
	v_cmp_nlt_f32_e64 s[12:13], |v2|, s12
	s_or_b64 s[4:5], s[12:13], s[4:5]
	s_waitcnt lgkmcnt(0)
	v_add_f32_e32 v0, 1.0, v0
	flat_store_dword v[3:4], v0
	s_waitcnt vmcnt(0)
	flat_load_dword v0, v[3:4] glc
	s_waitcnt vmcnt(0)
	s_and_saveexec_b64 s[12:13], s[4:5]
	s_cbranch_execz .LBB21_59
; %bb.4:
	v_add_f32_e64 v4, |v2|, 1.0
	s_waitcnt lgkmcnt(0)
	v_max_f32_e32 v0, v5, v4
	v_add_f32_e64 v3, |v2|, -1.0
	v_cvt_f64_f32_e32 v[6:7], v0
	v_max_f32_e64 v5, v5, |v3|
	v_cvt_f64_f32_e32 v[8:9], v5
	s_mov_b32 s16, 0x7f800000
	v_frexp_exp_i32_f64_e32 v6, v[6:7]
	v_cmp_neq_f32_e32 vcc, s16, v0
	v_frexp_exp_i32_f64_e32 v8, v[8:9]
	v_mov_b32_e32 v9, 0x7f800000
	s_mov_b32 s4, 0x41200000
	v_sub_u32_e32 v7, 0, v6
	v_ldexp_f32 v11, |v1|, v7
	v_sub_u32_e32 v10, 0, v8
	v_ldexp_f32 v7, v4, v7
	v_ldexp_f32 v12, |v1|, v10
	v_ldexp_f32 v10, |v3|, v10
	v_mul_f32_e32 v7, v7, v7
	v_fmac_f32_e32 v7, v11, v11
	v_mul_f32_e32 v10, v10, v10
	v_sqrt_f32_e32 v7, v7
	v_fmac_f32_e32 v10, v12, v12
	v_sqrt_f32_e32 v10, v10
	v_ldexp_f32 v6, v7, v6
	v_cndmask_b32_e32 v7, v9, v6, vcc
	v_ldexp_f32 v0, v10, v8
	v_cmp_neq_f32_e32 vcc, s16, v5
	v_cndmask_b32_e32 v5, v9, v0, vcc
	v_add_f32_e32 v0, v7, v5
	v_mul_f32_e32 v0, 0.5, v0
	v_cmp_ngt_f32_e32 vcc, 1.0, v0
	v_cndmask_b32_e32 v0, 1.0, v0, vcc
	v_cmp_ngt_f32_e32 vcc, s4, v0
                                        ; implicit-def: $vgpr8
	s_and_saveexec_b64 s[4:5], vcc
	s_xor_b64 s[14:15], exec, s[4:5]
	s_cbranch_execz .LBB21_6
; %bb.5:
	v_fma_f32 v6, v0, v0, -1.0
	s_mov_b32 s4, 0xf800000
	v_mul_f32_e32 v8, 0x4f800000, v6
	v_cmp_gt_f32_e32 vcc, s4, v6
	v_cndmask_b32_e32 v6, v6, v8, vcc
	v_sqrt_f32_e32 v8, v6
	v_add_u32_e32 v9, -1, v8
	v_fma_f32 v10, -v9, v8, v6
	v_cmp_ge_f32_e64 s[4:5], 0, v10
	v_add_u32_e32 v10, 1, v8
	v_cndmask_b32_e64 v9, v8, v9, s[4:5]
	v_fma_f32 v8, -v10, v8, v6
	v_cmp_lt_f32_e64 s[4:5], 0, v8
	v_cndmask_b32_e64 v8, v9, v10, s[4:5]
	v_mul_f32_e32 v9, 0x37800000, v8
	v_cndmask_b32_e32 v8, v8, v9, vcc
	v_mov_b32_e32 v9, 0x260
	v_cmp_class_f32_e32 vcc, v6, v9
	v_cndmask_b32_e32 v6, v8, v6, vcc
	v_add_f32_e32 v6, v0, v6
	s_mov_b32 s4, 0x800000
	v_cmp_gt_f32_e32 vcc, s4, v6
	v_cndmask_b32_e64 v8, 0, 32, vcc
	v_ldexp_f32 v6, v6, v8
	v_log_f32_e32 v6, v6
	s_mov_b32 s4, 0x3f317217
	v_mul_f32_e32 v8, 0x3f317217, v6
	v_fma_f32 v8, v6, s4, -v8
	v_fmac_f32_e32 v8, 0x3377d1cf, v6
	v_fmac_f32_e32 v8, 0x3f317217, v6
	v_cmp_lt_f32_e64 s[4:5], |v6|, s16
	v_cndmask_b32_e64 v6, v6, v8, s[4:5]
	v_mov_b32_e32 v8, 0x41b17218
	v_cndmask_b32_e32 v8, 0, v8, vcc
	v_sub_f32_e32 v8, v6, v8
.LBB21_6:
	s_or_saveexec_b64 s[14:15], s[14:15]
	v_and_b32_e32 v6, 0x7fffffff, v1
	s_xor_b64 exec, exec, s[14:15]
	s_cbranch_execz .LBB21_28
; %bb.7:
	s_mov_b32 s16, 0x25000000
	v_cmp_neq_f32_e64 s[4:5], |v2|, 1.0
	v_cmp_nlt_f32_e64 s[16:17], |v1|, s16
	s_or_b64 s[4:5], s[4:5], s[16:17]
                                        ; implicit-def: $vgpr8
	s_and_saveexec_b64 s[16:17], s[4:5]
	s_xor_b64 s[16:17], exec, s[16:17]
	s_cbranch_execz .LBB21_25
; %bb.8:
	s_brev_b32 s4, 44
	v_mul_f32_e64 v8, |v3|, s4
	v_cmp_ge_f32_e64 s[4:5], |v1|, v8
                                        ; implicit-def: $vgpr8
	s_and_saveexec_b64 s[18:19], s[4:5]
	s_xor_b64 s[18:19], exec, s[18:19]
	s_cbranch_execz .LBB21_18
; %bb.9:
	v_cmp_neq_f32_e32 vcc, 0, v4
	v_mov_b32_e32 v8, v6
	s_and_saveexec_b64 s[4:5], vcc
	s_cbranch_execz .LBB21_11
; %bb.10:
	v_mul_f32_e32 v8, v1, v1
	v_add_f32_e32 v9, v4, v7
	v_div_scale_f32 v10, s[20:21], v9, v9, v8
	v_div_scale_f32 v11, vcc, v8, v9, v8
	v_rcp_f32_e32 v12, v10
	v_fma_f32 v13, -v10, v12, 1.0
	v_fmac_f32_e32 v12, v13, v12
	v_mul_f32_e32 v13, v11, v12
	v_fma_f32 v14, -v10, v13, v11
	v_fmac_f32_e32 v13, v14, v12
	v_fma_f32 v10, -v10, v13, v11
	v_div_fmas_f32 v10, v10, v12, v13
	v_div_fixup_f32 v8, v10, v9, v8
.LBB21_11:
	s_or_b64 exec, exec, s[4:5]
	v_sub_f32_e64 v10, 1.0, |v2|
	v_cmp_ngt_f32_e32 vcc, 0, v10
                                        ; implicit-def: $vgpr9
	s_and_saveexec_b64 s[4:5], vcc
	s_xor_b64 s[4:5], exec, s[4:5]
	s_cbranch_execz .LBB21_15
; %bb.12:
	v_cmp_neq_f32_e32 vcc, 0, v10
	v_mov_b32_e32 v9, v6
	s_and_saveexec_b64 s[20:21], vcc
	s_cbranch_execz .LBB21_14
; %bb.13:
	v_mul_f32_e32 v9, v1, v1
	v_add_f32_e32 v10, v10, v5
	v_div_scale_f32 v11, s[22:23], v10, v10, v9
	v_div_scale_f32 v12, vcc, v9, v10, v9
	v_rcp_f32_e32 v13, v11
	v_fma_f32 v14, -v11, v13, 1.0
	v_fmac_f32_e32 v13, v14, v13
	v_mul_f32_e32 v14, v12, v13
	v_fma_f32 v15, -v11, v14, v12
	v_fmac_f32_e32 v14, v15, v13
	v_fma_f32 v11, -v11, v14, v12
	v_div_fmas_f32 v11, v11, v13, v14
	v_div_fixup_f32 v9, v11, v10, v9
.LBB21_14:
	s_or_b64 exec, exec, s[20:21]
                                        ; implicit-def: $vgpr10
.LBB21_15:
	s_andn2_saveexec_b64 s[4:5], s[4:5]
; %bb.16:
	v_sub_f32_e32 v9, v5, v10
; %bb.17:
	s_or_b64 exec, exec, s[4:5]
	v_mul_f32_e32 v9, 0.5, v9
	v_fmac_f32_e32 v9, 0.5, v8
	v_add_f32_e32 v8, 1.0, v0
	v_mul_f32_e32 v8, v8, v9
	s_mov_b32 s4, 0xf800000
	v_mul_f32_e32 v10, 0x4f800000, v8
	v_cmp_gt_f32_e32 vcc, s4, v8
	v_cndmask_b32_e32 v8, v8, v10, vcc
	v_sqrt_f32_e32 v10, v8
	v_add_u32_e32 v11, -1, v10
	v_fma_f32 v12, -v11, v10, v8
	v_cmp_ge_f32_e64 s[4:5], 0, v12
	v_add_u32_e32 v12, 1, v10
	v_cndmask_b32_e64 v11, v10, v11, s[4:5]
	v_fma_f32 v10, -v12, v10, v8
	v_cmp_lt_f32_e64 s[4:5], 0, v10
	v_cndmask_b32_e64 v10, v11, v12, s[4:5]
	v_mul_f32_e32 v11, 0x37800000, v10
	v_cndmask_b32_e32 v10, v10, v11, vcc
	v_mov_b32_e32 v11, 0x260
	v_cmp_class_f32_e32 vcc, v8, v11
	v_cndmask_b32_e32 v8, v10, v8, vcc
	v_add_f32_e32 v10, v9, v8
	v_add_f32_e32 v11, 1.0, v10
	v_cvt_f64_f32_e32 v[8:9], v11
	v_add_f32_e32 v12, -1.0, v11
	v_sub_f32_e32 v13, v12, v11
	v_sub_f32_e32 v12, v10, v12
	v_frexp_exp_i32_f64_e32 v8, v[8:9]
	v_add_f32_e32 v9, 1.0, v13
	v_add_f32_e32 v9, v12, v9
	v_frexp_mant_f32_e32 v12, v11
	s_mov_b32 s4, 0x3f2aaaab
	v_cmp_gt_f32_e32 vcc, s4, v12
	s_mov_b32 s4, 0x3f317218
	v_subbrev_co_u32_e32 v8, vcc, 0, v8, vcc
	v_sub_u32_e32 v12, 0, v8
	v_ldexp_f32 v11, v11, v12
	v_ldexp_f32 v9, v9, v12
	v_add_f32_e32 v12, -1.0, v11
	v_add_f32_e32 v15, 1.0, v11
	v_add_f32_e32 v13, 1.0, v12
	v_add_f32_e32 v16, -1.0, v15
	v_sub_f32_e32 v13, v11, v13
	v_sub_f32_e32 v11, v11, v16
	v_add_f32_e32 v13, v9, v13
	v_add_f32_e32 v9, v9, v11
	;; [unrolled: 1-line block ×3, first 2 shown]
	v_rcp_f32_e32 v16, v11
	v_add_f32_e32 v14, v12, v13
	v_sub_f32_e32 v12, v14, v12
	v_sub_f32_e32 v12, v13, v12
	;; [unrolled: 1-line block ×4, first 2 shown]
	v_mul_f32_e32 v13, v14, v16
	v_mul_f32_e32 v15, v11, v13
	v_fma_f32 v17, v13, v11, -v15
	v_fmac_f32_e32 v17, v13, v9
	v_add_f32_e32 v18, v15, v17
	v_sub_f32_e32 v19, v14, v18
	v_sub_f32_e32 v14, v14, v19
	;; [unrolled: 1-line block ×4, first 2 shown]
	v_add_f32_e32 v12, v12, v14
	v_sub_f32_e32 v14, v15, v17
	v_add_f32_e32 v12, v14, v12
	v_add_f32_e32 v14, v19, v12
	v_mul_f32_e32 v15, v16, v14
	v_mul_f32_e32 v17, v11, v15
	v_fma_f32 v11, v15, v11, -v17
	v_fmac_f32_e32 v11, v15, v9
	v_sub_f32_e32 v9, v19, v14
	v_add_f32_e32 v9, v12, v9
	v_add_f32_e32 v12, v17, v11
	v_sub_f32_e32 v18, v14, v12
	v_sub_f32_e32 v14, v14, v18
	;; [unrolled: 1-line block ×4, first 2 shown]
	v_add_f32_e32 v9, v9, v12
	v_sub_f32_e32 v11, v17, v11
	v_add_f32_e32 v9, v11, v9
	v_add_f32_e32 v11, v13, v15
	;; [unrolled: 1-line block ×3, first 2 shown]
	v_sub_f32_e32 v12, v11, v13
	v_mul_f32_e32 v9, v16, v9
	v_sub_f32_e32 v12, v15, v12
	v_add_f32_e32 v9, v12, v9
	v_cvt_f32_i32_e32 v8, v8
	v_add_f32_e32 v12, v11, v9
	v_mul_f32_e32 v13, v12, v12
	v_mov_b32_e32 v14, 0x3ecc95a3
	v_fmac_f32_e32 v14, 0x3e9b6dac, v13
	v_mov_b32_e32 v15, 0x3f2aaada
	v_fmac_f32_e32 v15, v13, v14
	v_mul_f32_e32 v14, 0x3f317218, v8
	v_fma_f32 v16, v8, s4, -v14
	v_fmac_f32_e32 v16, 0xb102e308, v8
	v_sub_f32_e32 v8, v12, v11
	v_sub_f32_e32 v8, v9, v8
	v_add_f32_e32 v9, v14, v16
	v_sub_f32_e32 v11, v9, v14
	v_ldexp_f32 v14, v12, 1
	v_mul_f32_e32 v12, v12, v13
	v_mul_f32_e32 v12, v12, v15
	v_add_f32_e32 v13, v14, v12
	v_sub_f32_e32 v14, v13, v14
	v_ldexp_f32 v8, v8, 1
	v_sub_f32_e32 v12, v12, v14
	v_add_f32_e32 v8, v8, v12
	v_add_f32_e32 v12, v13, v8
	v_sub_f32_e32 v13, v12, v13
	v_sub_f32_e32 v8, v8, v13
	v_add_f32_e32 v13, v9, v12
	v_sub_f32_e32 v14, v13, v9
	v_sub_f32_e32 v15, v13, v14
	v_sub_f32_e32 v11, v16, v11
	v_sub_f32_e32 v9, v9, v15
	v_sub_f32_e32 v12, v12, v14
	v_add_f32_e32 v9, v12, v9
	v_add_f32_e32 v12, v11, v8
	v_sub_f32_e32 v14, v12, v11
	v_sub_f32_e32 v15, v12, v14
	;; [unrolled: 1-line block ×4, first 2 shown]
	v_add_f32_e32 v9, v12, v9
	v_add_f32_e32 v8, v8, v11
	v_add_f32_e32 v11, v13, v9
	v_sub_f32_e32 v12, v11, v13
	v_sub_f32_e32 v9, v9, v12
	v_add_f32_e32 v8, v8, v9
	s_mov_b32 s4, 0x7f800000
	v_add_f32_e32 v8, v11, v8
	v_mov_b32_e32 v9, 0x7f800000
	v_cmp_neq_f32_e32 vcc, s4, v10
	v_cndmask_b32_e32 v8, v9, v8, vcc
	v_mov_b32_e32 v9, 0x7fc00000
	v_cmp_ngt_f32_e32 vcc, -1.0, v10
	v_cndmask_b32_e32 v8, v9, v8, vcc
	v_mov_b32_e32 v9, 0xff800000
	v_cmp_neq_f32_e32 vcc, -1.0, v10
	s_mov_b32 s4, 0x33800000
	v_cndmask_b32_e32 v8, v9, v8, vcc
	v_cmp_lt_f32_e64 vcc, |v10|, s4
	v_cndmask_b32_e32 v8, v8, v10, vcc
.LBB21_18:
	s_andn2_saveexec_b64 s[18:19], s[18:19]
	s_cbranch_execz .LBB21_24
; %bb.19:
	v_cmp_nlt_f32_e64 s[4:5], |v2|, 1.0
                                        ; implicit-def: $vgpr8
	s_and_saveexec_b64 s[20:21], s[4:5]
	s_xor_b64 s[20:21], exec, s[20:21]
	s_cbranch_execz .LBB21_21
; %bb.20:
	v_mul_f32_e32 v8, v3, v4
	s_mov_b32 s4, 0xf800000
	v_mul_f32_e32 v9, 0x4f800000, v8
	v_cmp_gt_f32_e32 vcc, s4, v8
	v_cndmask_b32_e32 v8, v8, v9, vcc
	v_sqrt_f32_e32 v9, v8
	v_add_u32_e32 v10, -1, v9
	v_fma_f32 v11, -v10, v9, v8
	v_cmp_ge_f32_e64 s[4:5], 0, v11
	v_add_u32_e32 v11, 1, v9
	v_cndmask_b32_e64 v10, v9, v10, s[4:5]
	v_fma_f32 v9, -v11, v9, v8
	v_cmp_lt_f32_e64 s[4:5], 0, v9
	v_cndmask_b32_e64 v9, v10, v11, s[4:5]
	v_mul_f32_e32 v10, 0x37800000, v9
	v_cndmask_b32_e32 v9, v9, v10, vcc
	v_mov_b32_e32 v10, 0x260
	v_cmp_class_f32_e32 vcc, v8, v10
	v_cndmask_b32_e32 v8, v9, v8, vcc
	v_add_f32_e32 v10, v3, v8
	v_add_f32_e32 v11, 1.0, v10
	v_cvt_f64_f32_e32 v[8:9], v11
	v_add_f32_e32 v12, -1.0, v11
	v_sub_f32_e32 v13, v12, v11
	v_sub_f32_e32 v12, v10, v12
	v_frexp_exp_i32_f64_e32 v8, v[8:9]
	v_add_f32_e32 v9, 1.0, v13
	v_add_f32_e32 v9, v12, v9
	v_frexp_mant_f32_e32 v12, v11
	s_mov_b32 s4, 0x3f2aaaab
	v_cmp_gt_f32_e32 vcc, s4, v12
	s_mov_b32 s4, 0x3f317218
	v_subbrev_co_u32_e32 v8, vcc, 0, v8, vcc
	v_sub_u32_e32 v12, 0, v8
	v_ldexp_f32 v11, v11, v12
	v_ldexp_f32 v9, v9, v12
	v_add_f32_e32 v12, -1.0, v11
	v_add_f32_e32 v15, 1.0, v11
	v_add_f32_e32 v13, 1.0, v12
	v_add_f32_e32 v16, -1.0, v15
	v_sub_f32_e32 v13, v11, v13
	v_sub_f32_e32 v11, v11, v16
	v_add_f32_e32 v13, v9, v13
	v_add_f32_e32 v9, v9, v11
	v_add_f32_e32 v11, v15, v9
	v_rcp_f32_e32 v16, v11
	v_add_f32_e32 v14, v12, v13
	v_sub_f32_e32 v12, v14, v12
	v_sub_f32_e32 v12, v13, v12
	;; [unrolled: 1-line block ×4, first 2 shown]
	v_mul_f32_e32 v13, v14, v16
	v_mul_f32_e32 v15, v11, v13
	v_fma_f32 v17, v13, v11, -v15
	v_fmac_f32_e32 v17, v13, v9
	v_add_f32_e32 v18, v15, v17
	v_sub_f32_e32 v19, v14, v18
	v_sub_f32_e32 v14, v14, v19
	;; [unrolled: 1-line block ×4, first 2 shown]
	v_add_f32_e32 v12, v12, v14
	v_sub_f32_e32 v14, v15, v17
	v_add_f32_e32 v12, v14, v12
	v_add_f32_e32 v14, v19, v12
	v_mul_f32_e32 v15, v16, v14
	v_mul_f32_e32 v17, v11, v15
	v_fma_f32 v11, v15, v11, -v17
	v_fmac_f32_e32 v11, v15, v9
	v_sub_f32_e32 v9, v19, v14
	v_add_f32_e32 v9, v12, v9
	v_add_f32_e32 v12, v17, v11
	v_sub_f32_e32 v18, v14, v12
	v_sub_f32_e32 v14, v14, v18
	;; [unrolled: 1-line block ×4, first 2 shown]
	v_add_f32_e32 v9, v9, v12
	v_sub_f32_e32 v11, v17, v11
	v_add_f32_e32 v9, v11, v9
	v_add_f32_e32 v11, v13, v15
	;; [unrolled: 1-line block ×3, first 2 shown]
	v_sub_f32_e32 v12, v11, v13
	v_mul_f32_e32 v9, v16, v9
	v_sub_f32_e32 v12, v15, v12
	v_add_f32_e32 v9, v12, v9
	v_cvt_f32_i32_e32 v8, v8
	v_add_f32_e32 v12, v11, v9
	v_mul_f32_e32 v13, v12, v12
	v_mov_b32_e32 v14, 0x3ecc95a3
	v_fmac_f32_e32 v14, 0x3e9b6dac, v13
	v_mov_b32_e32 v15, 0x3f2aaada
	v_fmac_f32_e32 v15, v13, v14
	v_mul_f32_e32 v14, 0x3f317218, v8
	v_fma_f32 v16, v8, s4, -v14
	v_fmac_f32_e32 v16, 0xb102e308, v8
	v_sub_f32_e32 v8, v12, v11
	v_sub_f32_e32 v8, v9, v8
	v_add_f32_e32 v9, v14, v16
	v_sub_f32_e32 v11, v9, v14
	v_ldexp_f32 v14, v12, 1
	v_mul_f32_e32 v12, v12, v13
	v_mul_f32_e32 v12, v12, v15
	v_add_f32_e32 v13, v14, v12
	v_sub_f32_e32 v14, v13, v14
	v_ldexp_f32 v8, v8, 1
	v_sub_f32_e32 v12, v12, v14
	v_add_f32_e32 v8, v8, v12
	v_add_f32_e32 v12, v13, v8
	v_sub_f32_e32 v13, v12, v13
	v_sub_f32_e32 v8, v8, v13
	v_add_f32_e32 v13, v9, v12
	v_sub_f32_e32 v14, v13, v9
	v_sub_f32_e32 v15, v13, v14
	;; [unrolled: 1-line block ×5, first 2 shown]
	v_add_f32_e32 v9, v12, v9
	v_add_f32_e32 v12, v11, v8
	v_sub_f32_e32 v14, v12, v11
	v_sub_f32_e32 v15, v12, v14
	;; [unrolled: 1-line block ×4, first 2 shown]
	v_add_f32_e32 v9, v12, v9
	v_add_f32_e32 v8, v8, v11
	;; [unrolled: 1-line block ×3, first 2 shown]
	v_sub_f32_e32 v12, v11, v13
	v_sub_f32_e32 v9, v9, v12
	v_add_f32_e32 v8, v8, v9
	s_mov_b32 s4, 0x7f800000
	v_add_f32_e32 v8, v11, v8
	v_mov_b32_e32 v9, 0x7f800000
	v_cmp_neq_f32_e32 vcc, s4, v10
	v_cndmask_b32_e32 v8, v9, v8, vcc
	v_mov_b32_e32 v9, 0x7fc00000
	v_cmp_ngt_f32_e32 vcc, -1.0, v10
	v_cndmask_b32_e32 v8, v9, v8, vcc
	v_mov_b32_e32 v9, 0xff800000
	v_cmp_neq_f32_e32 vcc, -1.0, v10
	s_mov_b32 s4, 0x33800000
	v_cndmask_b32_e32 v8, v9, v8, vcc
	v_cmp_lt_f32_e64 vcc, |v10|, s4
	v_cndmask_b32_e32 v8, v8, v10, vcc
.LBB21_21:
	s_andn2_saveexec_b64 s[20:21], s[20:21]
	s_cbranch_execz .LBB21_23
; %bb.22:
	v_sub_f32_e64 v8, 1.0, |v2|
	v_mul_f32_e32 v8, v8, v4
	s_mov_b32 s4, 0xf800000
	v_mul_f32_e32 v9, 0x4f800000, v8
	v_cmp_gt_f32_e32 vcc, s4, v8
	v_cndmask_b32_e32 v8, v8, v9, vcc
	v_sqrt_f32_e32 v9, v8
	v_add_u32_e32 v10, -1, v9
	v_fma_f32 v11, -v10, v9, v8
	v_cmp_ge_f32_e64 s[4:5], 0, v11
	v_add_u32_e32 v11, 1, v9
	v_cndmask_b32_e64 v10, v9, v10, s[4:5]
	v_fma_f32 v9, -v11, v9, v8
	v_cmp_lt_f32_e64 s[4:5], 0, v9
	v_cndmask_b32_e64 v9, v10, v11, s[4:5]
	v_mul_f32_e32 v10, 0x37800000, v9
	v_cndmask_b32_e32 v9, v9, v10, vcc
	v_mov_b32_e32 v10, 0x260
	v_cmp_class_f32_e32 vcc, v8, v10
	v_cndmask_b32_e32 v8, v9, v8, vcc
	v_and_b32_e32 v9, 0x7fffffff, v1
	v_div_scale_f32 v10, s[4:5], v8, v8, v9
	v_div_scale_f32 v9, vcc, v9, v8, v9
	v_rcp_f32_e32 v11, v10
	v_fma_f32 v12, -v10, v11, 1.0
	v_fmac_f32_e32 v11, v12, v11
	v_mul_f32_e32 v12, v9, v11
	v_fma_f32 v13, -v10, v12, v9
	v_fmac_f32_e32 v12, v13, v11
	v_fma_f32 v9, -v10, v12, v9
	v_div_fmas_f32 v9, v9, v11, v12
	v_div_fixup_f32 v8, v9, v8, |v1|
.LBB21_23:
	s_or_b64 exec, exec, s[20:21]
.LBB21_24:
	s_or_b64 exec, exec, s[18:19]
.LBB21_25:
	s_andn2_saveexec_b64 s[16:17], s[16:17]
	s_cbranch_execz .LBB21_27
; %bb.26:
	s_mov_b32 s4, 0xf800000
	s_mov_b32 s5, 0x4f800000
	v_mul_f32_e64 v8, |v1|, s5
	v_cmp_lt_f32_e64 vcc, |v1|, s4
	v_cndmask_b32_e64 v8, |v1|, v8, vcc
	v_sqrt_f32_e32 v9, v8
	v_add_u32_e32 v10, -1, v9
	v_fma_f32 v11, -v10, v9, v8
	v_cmp_ge_f32_e64 s[4:5], 0, v11
	v_add_u32_e32 v11, 1, v9
	v_cndmask_b32_e64 v10, v9, v10, s[4:5]
	v_fma_f32 v9, -v11, v9, v8
	v_cmp_lt_f32_e64 s[4:5], 0, v9
	v_cndmask_b32_e64 v9, v10, v11, s[4:5]
	v_mul_f32_e32 v10, 0x37800000, v9
	v_cndmask_b32_e32 v9, v9, v10, vcc
	v_mov_b32_e32 v10, 0x260
	v_cmp_class_f32_e32 vcc, v8, v10
	v_cndmask_b32_e32 v8, v9, v8, vcc
.LBB21_27:
	s_or_b64 exec, exec, s[16:17]
.LBB21_28:
	s_or_b64 exec, exec, s[14:15]
	s_mov_b32 s4, 0x21000000
	v_cmp_nlt_f32_e64 s[14:15], |v2|, s4
                                        ; implicit-def: $sgpr4_sgpr5
                                        ; implicit-def: $vgpr9
                                        ; implicit-def: $vgpr11
                                        ; implicit-def: $vgpr10
	s_and_saveexec_b64 s[16:17], s[14:15]
	s_xor_b64 s[14:15], exec, s[16:17]
	s_cbranch_execz .LBB21_52
; %bb.29:
	v_and_b32_e32 v10, 0x7fffffff, v2
	v_div_scale_f32 v9, s[4:5], v0, v0, v10
	v_div_scale_f32 v11, vcc, v10, v0, v10
	s_mov_b32 s4, 0x3f244674
	v_rcp_f32_e32 v12, v9
	v_fma_f32 v13, -v9, v12, 1.0
	v_fmac_f32_e32 v12, v13, v12
	v_mul_f32_e32 v13, v11, v12
	v_fma_f32 v14, -v9, v13, v11
	v_fmac_f32_e32 v13, v14, v12
	v_fma_f32 v9, -v9, v13, v11
	v_div_fmas_f32 v9, v9, v12, v13
                                        ; implicit-def: $vgpr11
	v_div_fixup_f32 v9, v9, v0, |v2|
	v_cmp_lt_f32_e32 vcc, s4, v9
	s_mov_b64 s[4:5], 0
	s_and_saveexec_b64 s[16:17], vcc
	s_cbranch_execz .LBB21_51
; %bb.30:
	s_mov_b32 s18, 0x30800000
	v_cmp_neq_f32_e64 s[4:5], |v2|, 1.0
	v_cmp_nlt_f32_e64 s[18:19], |v1|, s18
	s_or_b64 s[4:5], s[4:5], s[18:19]
                                        ; implicit-def: $vgpr11
	s_and_saveexec_b64 s[18:19], s[4:5]
	s_xor_b64 s[18:19], exec, s[18:19]
	s_cbranch_execz .LBB21_48
; %bb.31:
	s_brev_b32 s4, 44
	v_mul_f32_e64 v11, |v3|, s4
	v_cmp_ge_f32_e64 s[4:5], |v1|, v11
                                        ; implicit-def: $vgpr11
	s_and_saveexec_b64 s[20:21], s[4:5]
	s_xor_b64 s[20:21], exec, s[20:21]
	s_cbranch_execz .LBB21_41
; %bb.32:
	v_cmp_neq_f32_e32 vcc, 0, v4
	v_mov_b32_e32 v11, v6
	s_and_saveexec_b64 s[4:5], vcc
	s_cbranch_execz .LBB21_34
; %bb.33:
	v_mul_f32_e32 v11, v1, v1
	v_add_f32_e32 v4, v4, v7
	v_div_scale_f32 v7, s[22:23], v4, v4, v11
	v_div_scale_f32 v12, vcc, v11, v4, v11
	v_rcp_f32_e32 v13, v7
	v_fma_f32 v14, -v7, v13, 1.0
	v_fmac_f32_e32 v13, v14, v13
	v_mul_f32_e32 v14, v12, v13
	v_fma_f32 v15, -v7, v14, v12
	v_fmac_f32_e32 v14, v15, v13
	v_fma_f32 v7, -v7, v14, v12
	v_div_fmas_f32 v7, v7, v13, v14
	v_div_fixup_f32 v11, v7, v4, v11
.LBB21_34:
	s_or_b64 exec, exec, s[4:5]
	v_cmp_ngt_f32_e32 vcc, 0, v3
	s_and_saveexec_b64 s[4:5], vcc
	s_xor_b64 s[4:5], exec, s[4:5]
	s_cbranch_execz .LBB21_38
; %bb.35:
	v_cmp_neq_f32_e32 vcc, 0, v3
	s_and_saveexec_b64 s[22:23], vcc
	s_cbranch_execz .LBB21_37
; %bb.36:
	v_mul_f32_e32 v4, v1, v1
	v_add_f32_e32 v3, v3, v5
	v_div_scale_f32 v5, s[24:25], v3, v3, v4
	v_div_scale_f32 v6, vcc, v4, v3, v4
	v_rcp_f32_e32 v7, v5
	v_fma_f32 v12, -v5, v7, 1.0
	v_fmac_f32_e32 v7, v12, v7
	v_mul_f32_e32 v12, v6, v7
	v_fma_f32 v13, -v5, v12, v6
	v_fmac_f32_e32 v12, v13, v7
	v_fma_f32 v5, -v5, v12, v6
	v_div_fmas_f32 v5, v5, v7, v12
	v_div_fixup_f32 v6, v5, v3, v4
.LBB21_37:
	s_or_b64 exec, exec, s[22:23]
                                        ; implicit-def: $vgpr5
                                        ; implicit-def: $vgpr3
.LBB21_38:
	s_andn2_saveexec_b64 s[4:5], s[4:5]
; %bb.39:
	v_sub_f32_e32 v6, v5, v3
; %bb.40:
	s_or_b64 exec, exec, s[4:5]
	v_mul_f32_e32 v3, 0.5, v6
	v_fmac_f32_e32 v3, 0.5, v11
	v_add_f32_e64 v0, |v2|, v0
	v_mul_f32_e32 v0, v0, v3
	s_mov_b32 s4, 0xf800000
	v_mul_f32_e32 v3, 0x4f800000, v0
	v_cmp_gt_f32_e32 vcc, s4, v0
	v_cndmask_b32_e32 v0, v0, v3, vcc
	v_sqrt_f32_e32 v3, v0
	v_add_u32_e32 v4, -1, v3
	v_fma_f32 v5, -v4, v3, v0
	v_cmp_ge_f32_e64 s[4:5], 0, v5
	v_add_u32_e32 v5, 1, v3
	v_cndmask_b32_e64 v4, v3, v4, s[4:5]
	v_fma_f32 v3, -v5, v3, v0
	v_cmp_lt_f32_e64 s[4:5], 0, v3
	v_cndmask_b32_e64 v3, v4, v5, s[4:5]
	v_mul_f32_e32 v4, 0x37800000, v3
	v_cndmask_b32_e32 v3, v3, v4, vcc
	v_mov_b32_e32 v4, 0x260
	v_cmp_class_f32_e32 vcc, v0, v4
	v_cndmask_b32_e32 v11, v3, v0, vcc
                                        ; implicit-def: $vgpr4
                                        ; implicit-def: $vgpr3
.LBB21_41:
	s_andn2_saveexec_b64 s[20:21], s[20:21]
	s_cbranch_execz .LBB21_47
; %bb.42:
	v_cmp_ngt_f32_e64 s[4:5], |v2|, 1.0
                                        ; implicit-def: $vgpr11
	s_and_saveexec_b64 s[22:23], s[4:5]
	s_xor_b64 s[22:23], exec, s[22:23]
	s_cbranch_execz .LBB21_44
; %bb.43:
	v_sub_f32_e64 v0, 1.0, |v2|
	v_mul_f32_e32 v0, v0, v4
	s_mov_b32 s4, 0xf800000
	v_mul_f32_e32 v3, 0x4f800000, v0
	v_cmp_gt_f32_e32 vcc, s4, v0
	v_cndmask_b32_e32 v0, v0, v3, vcc
	v_sqrt_f32_e32 v3, v0
	v_add_u32_e32 v4, -1, v3
	v_fma_f32 v5, -v4, v3, v0
	v_cmp_ge_f32_e64 s[4:5], 0, v5
	v_add_u32_e32 v5, 1, v3
	v_cndmask_b32_e64 v4, v3, v4, s[4:5]
	v_fma_f32 v3, -v5, v3, v0
	v_cmp_lt_f32_e64 s[4:5], 0, v3
	v_cndmask_b32_e64 v3, v4, v5, s[4:5]
	v_mul_f32_e32 v4, 0x37800000, v3
	v_cndmask_b32_e32 v3, v3, v4, vcc
	v_mov_b32_e32 v4, 0x260
	v_cmp_class_f32_e32 vcc, v0, v4
	v_cndmask_b32_e32 v11, v3, v0, vcc
                                        ; implicit-def: $vgpr4
                                        ; implicit-def: $vgpr3
.LBB21_44:
	s_andn2_saveexec_b64 s[22:23], s[22:23]
	s_cbranch_execz .LBB21_46
; %bb.45:
	v_mul_f32_e32 v0, v4, v3
	s_mov_b32 s4, 0xf800000
	v_mul_f32_e32 v3, 0x4f800000, v0
	v_cmp_gt_f32_e32 vcc, s4, v0
	v_cndmask_b32_e32 v0, v0, v3, vcc
	v_sqrt_f32_e32 v3, v0
	s_mov_b32 s24, 0x57800000
	v_mul_f32_e64 v4, |v1|, s24
	v_mul_f32_e64 v4, |v2|, v4
	v_add_u32_e32 v5, -1, v3
	v_fma_f32 v6, -v5, v3, v0
	v_cmp_ge_f32_e64 s[4:5], 0, v6
	v_add_u32_e32 v6, 1, v3
	v_cndmask_b32_e64 v5, v3, v5, s[4:5]
	v_fma_f32 v3, -v6, v3, v0
	v_cmp_lt_f32_e64 s[4:5], 0, v3
	v_cndmask_b32_e64 v3, v5, v6, s[4:5]
	v_mul_f32_e32 v5, 0x37800000, v3
	v_cndmask_b32_e32 v3, v3, v5, vcc
	v_mov_b32_e32 v5, 0x260
	v_cmp_class_f32_e32 vcc, v0, v5
	v_cndmask_b32_e32 v0, v3, v0, vcc
	v_div_scale_f32 v3, s[4:5], v0, v0, v4
	v_div_scale_f32 v5, vcc, v4, v0, v4
	v_rcp_f32_e32 v6, v3
	v_fma_f32 v7, -v3, v6, 1.0
	v_fmac_f32_e32 v6, v7, v6
	v_mul_f32_e32 v7, v5, v6
	v_fma_f32 v10, -v3, v7, v5
	v_fmac_f32_e32 v7, v10, v6
	v_fma_f32 v3, -v3, v7, v5
	v_div_fmas_f32 v3, v3, v6, v7
	v_mul_f32_e64 v10, |v2|, s24
	v_div_fixup_f32 v11, v3, v0, v4
.LBB21_46:
	s_or_b64 exec, exec, s[22:23]
.LBB21_47:
	s_or_b64 exec, exec, s[20:21]
                                        ; implicit-def: $vgpr0
.LBB21_48:
	s_andn2_saveexec_b64 s[18:19], s[18:19]
	s_cbranch_execz .LBB21_50
; %bb.49:
	s_mov_b32 s20, 0xf800000
	s_mov_b32 s4, 0x4f800000
	v_mul_f32_e64 v3, |v1|, s4
	v_cmp_lt_f32_e64 vcc, |v1|, s20
	v_cndmask_b32_e64 v3, |v1|, v3, vcc
	v_sqrt_f32_e32 v4, v3
	v_add_f32_e32 v0, 1.0, v0
	v_mul_f32_e32 v0, 0.5, v0
	v_mov_b32_e32 v10, 1.0
	v_add_u32_e32 v5, -1, v4
	v_fma_f32 v6, -v5, v4, v3
	v_cmp_ge_f32_e64 s[4:5], 0, v6
	v_add_u32_e32 v6, 1, v4
	v_cndmask_b32_e64 v5, v4, v5, s[4:5]
	v_fma_f32 v4, -v6, v4, v3
	v_cmp_lt_f32_e64 s[4:5], 0, v4
	v_cndmask_b32_e64 v4, v5, v6, s[4:5]
	v_mul_f32_e32 v5, 0x37800000, v4
	v_cndmask_b32_e32 v4, v4, v5, vcc
	v_mul_f32_e32 v6, 0x4f800000, v0
	v_cmp_gt_f32_e32 vcc, s20, v0
	v_cndmask_b32_e32 v0, v0, v6, vcc
	v_sqrt_f32_e32 v6, v0
	v_mov_b32_e32 v5, 0x260
	v_cmp_class_f32_e64 s[4:5], v3, v5
	v_cndmask_b32_e64 v3, v4, v3, s[4:5]
	v_add_u32_e32 v4, -1, v6
	v_fma_f32 v7, -v4, v6, v0
	v_cmp_ge_f32_e64 s[4:5], 0, v7
	v_add_u32_e32 v7, 1, v6
	v_cndmask_b32_e64 v4, v6, v4, s[4:5]
	v_fma_f32 v6, -v7, v6, v0
	v_cmp_lt_f32_e64 s[4:5], 0, v6
	v_cndmask_b32_e64 v4, v4, v7, s[4:5]
	v_mul_f32_e32 v6, 0x37800000, v4
	v_cndmask_b32_e32 v4, v4, v6, vcc
	v_cmp_class_f32_e32 vcc, v0, v5
	v_cndmask_b32_e32 v0, v4, v0, vcc
	v_mul_f32_e32 v11, v3, v0
.LBB21_50:
	s_or_b64 exec, exec, s[18:19]
	s_mov_b64 s[4:5], exec
.LBB21_51:
	s_or_b64 exec, exec, s[16:17]
                                        ; implicit-def: $vgpr0
.LBB21_52:
	s_andn2_saveexec_b64 s[14:15], s[14:15]
; %bb.53:
	s_mov_b32 s16, 0x4b800000
	v_mul_f32_e32 v11, 0x4b800000, v0
	v_mul_f32_e64 v10, |v2|, s16
	s_or_b64 s[4:5], s[4:5], exec
                                        ; implicit-def: $vgpr9
; %bb.54:
	s_or_b64 exec, exec, s[14:15]
	s_xor_b64 s[4:5], s[4:5], -1
                                        ; implicit-def: $vgpr0
	s_and_saveexec_b64 s[14:15], s[4:5]
	s_xor_b64 s[4:5], exec, s[14:15]
	s_cbranch_execz .LBB21_56
; %bb.55:
	v_fma_f32 v0, |v9|, -0.5, 0.5
	v_mul_f32_e32 v3, v9, v9
	v_cmp_ge_f32_e64 vcc, |v9|, 0.5
	v_cndmask_b32_e32 v0, v3, v0, vcc
	v_mov_b32_e32 v3, 0x3c5fc5da
	v_fmac_f32_e32 v3, 0x3d1c21a7, v0
	v_mov_b32_e32 v4, 0x3d034c3c
	v_fmac_f32_e32 v4, v0, v3
	v_mov_b32_e32 v3, 0x3d3641b1
	v_fmac_f32_e32 v3, v0, v4
	v_mov_b32_e32 v4, 0x3d999bc8
	v_fmac_f32_e32 v4, v0, v3
	v_sqrt_f32_e32 v3, v0
	v_mov_b32_e32 v5, 0x3e2aaaac
	v_fmac_f32_e32 v5, v0, v4
	v_mul_f32_e32 v0, v0, v5
	v_fmac_f32_e32 v3, v3, v0
	v_add_f32_e32 v3, v3, v3
	v_sub_f32_e32 v3, 0x3fc90fdb, v3
	v_fma_f32 v0, |v9|, v0, |v9|
	v_cmp_lt_f32_e64 vcc, |v9|, 0.5
	v_cndmask_b32_e32 v0, v3, v0, vcc
	s_brev_b32 s14, -2
	v_bfi_b32 v0, s14, v0, v9
                                        ; implicit-def: $vgpr10
                                        ; implicit-def: $vgpr11
.LBB21_56:
	s_andn2_saveexec_b64 s[14:15], s[4:5]
	s_cbranch_execz .LBB21_58
; %bb.57:
	v_max_f32_e32 v0, v10, v10
	v_max_f32_e64 v3, |v11|, |v11|
	v_min_f32_e32 v4, v3, v0
	v_max_f32_e32 v0, v3, v0
	v_frexp_mant_f32_e32 v3, v0
	v_rcp_f32_e32 v3, v3
	v_frexp_exp_i32_f32_e32 v0, v0
	v_frexp_exp_i32_f32_e32 v5, v4
	v_frexp_mant_f32_e32 v4, v4
	v_mul_f32_e32 v3, v4, v3
	v_sub_u32_e32 v0, v5, v0
	v_ldexp_f32 v0, v3, v0
	v_mul_f32_e32 v3, v0, v0
	v_mov_b32_e32 v4, 0xbc7a590c
	v_fmac_f32_e32 v4, 0x3b2d2a58, v3
	v_mov_b32_e32 v5, 0x3d29fb3f
	v_fmac_f32_e32 v5, v3, v4
	;; [unrolled: 2-line block ×7, first 2 shown]
	v_mul_f32_e32 v3, v3, v4
	v_fmac_f32_e32 v0, v0, v3
	v_sub_f32_e32 v3, 0x3fc90fdb, v0
	v_cmp_gt_f32_e64 vcc, v10, |v11|
	v_cndmask_b32_e32 v0, v0, v3, vcc
	v_sub_f32_e32 v3, 0x40490fdb, v0
	v_cmp_gt_f32_e32 vcc, 0, v11
	v_cndmask_b32_e32 v0, v0, v3, vcc
	v_mov_b32_e32 v3, 0x40490fdb
	v_cmp_gt_i32_e64 s[4:5], 0, v11
	v_cndmask_b32_e64 v3, 0, v3, s[4:5]
	s_movk_i32 s4, 0x204
	v_mov_b32_e32 v4, 0x3f490fdb
	v_mov_b32_e32 v5, 0x4016cbe4
	v_cmp_class_f32_e64 s[16:17], v11, s4
	s_mov_b32 s4, 0x7f800000
	v_cndmask_b32_e32 v4, v4, v5, vcc
	v_cmp_eq_f32_e32 vcc, s4, v10
	v_cmp_eq_f32_e64 s[4:5], 0, v10
	v_cndmask_b32_e64 v0, |v0|, v3, s[4:5]
	s_and_b64 vcc, vcc, s[16:17]
	v_cndmask_b32_e32 v0, v0, v4, vcc
	v_mov_b32_e32 v3, 0x7fc00000
	v_cmp_o_f32_e32 vcc, v11, v11
	v_cndmask_b32_e32 v0, v3, v0, vcc
.LBB21_58:
	s_or_b64 exec, exec, s[14:15]
	s_brev_b32 s4, -2
	v_bfi_b32 v1, s4, v8, v1
	v_bfi_b32 v2, s4, v0, v2
.LBB21_59:
	s_or_b64 exec, exec, s[12:13]
.LBB21_60:
	s_or_b64 exec, exec, s[10:11]
                                        ; implicit-def: $vgpr0
                                        ; implicit-def: $vgpr3
                                        ; implicit-def: $vgpr5
                                        ; implicit-def: $vgpr6
.LBB21_61:
	s_andn2_saveexec_b64 s[10:11], s[6:7]
	s_cbranch_execz .LBB21_83
; %bb.62:
	s_waitcnt lgkmcnt(0)
	v_cmp_lt_i32_e32 vcc, -1, v0
                                        ; implicit-def: $vgpr7
                                        ; implicit-def: $vgpr4
	s_and_saveexec_b64 s[4:5], vcc
	s_xor_b64 s[12:13], exec, s[4:5]
	s_cbranch_execz .LBB21_72
; %bb.63:
	v_cmp_lt_f32_e64 s[4:5], |v1|, |v2|
	v_cndmask_b32_e64 v8, |v1|, |v2|, s[4:5]
	s_mov_b32 s6, 0x7effffff
	v_cmp_nlt_f32_e32 vcc, s6, v8
                                        ; implicit-def: $vgpr4
                                        ; implicit-def: $vgpr7
	s_and_saveexec_b64 s[6:7], vcc
	s_xor_b64 s[14:15], exec, s[6:7]
	s_cbranch_execz .LBB21_69
; %bb.64:
	s_mov_b32 s6, 0x5e000000
	v_cndmask_b32_e64 v9, |v2|, |v1|, s[4:5]
	v_cmp_nlt_f32_e32 vcc, s6, v8
	s_brev_b32 s6, 4
	v_cmp_ngt_f32_e64 s[6:7], s6, v9
	s_and_b64 s[6:7], vcc, s[6:7]
                                        ; implicit-def: $vgpr4
                                        ; implicit-def: $vgpr7
	s_and_saveexec_b64 s[16:17], s[6:7]
	s_xor_b64 s[16:17], exec, s[16:17]
	s_cbranch_execz .LBB21_66
; %bb.65:
	v_mul_f32_e32 v4, v9, v9
	v_fmac_f32_e32 v4, v8, v8
	s_mov_b32 s6, 0x800000
	v_cmp_gt_f32_e32 vcc, s6, v4
	v_cndmask_b32_e64 v7, 0, 32, vcc
	v_ldexp_f32 v4, v4, v7
	v_log_f32_e32 v4, v4
	s_mov_b32 s6, 0x3f317217
	v_min_f32_e32 v3, v5, v3
	v_frexp_mant_f32_e32 v5, v6
	v_mul_f32_e32 v7, 0x3f317217, v4
	v_fma_f32 v7, v4, s6, -v7
	v_fmac_f32_e32 v7, 0x3377d1cf, v4
	s_mov_b32 s6, 0x7f800000
	v_fmac_f32_e32 v7, 0x3f317217, v4
	v_cmp_lt_f32_e64 s[6:7], |v4|, s6
	v_rcp_f32_e32 v5, v5
	v_cndmask_b32_e64 v4, v4, v7, s[6:7]
	v_mov_b32_e32 v7, 0x41b17218
	v_cndmask_b32_e32 v7, 0, v7, vcc
	v_sub_f32_e32 v4, v4, v7
	v_frexp_exp_i32_f32_e32 v6, v6
	v_frexp_exp_i32_f32_e32 v7, v3
	v_frexp_mant_f32_e32 v3, v3
	v_mul_f32_e32 v3, v3, v5
	v_sub_u32_e32 v5, v7, v6
	v_ldexp_f32 v7, v3, v5
	v_mul_f32_e32 v3, v7, v7
	v_mov_b32_e32 v5, 0xbc7a590c
	v_fmac_f32_e32 v5, 0x3b2d2a58, v3
	v_mov_b32_e32 v6, 0x3d29fb3f
	v_fmac_f32_e32 v6, v3, v5
	;; [unrolled: 2-line block ×7, first 2 shown]
	v_mul_f32_e32 v3, v3, v5
	v_mul_f32_e32 v4, 0.5, v4
	v_fmac_f32_e32 v7, v7, v3
                                        ; implicit-def: $vgpr6
                                        ; implicit-def: $vgpr5
                                        ; implicit-def: $vgpr3
.LBB21_66:
	s_andn2_saveexec_b64 s[6:7], s[16:17]
	s_cbranch_execz .LBB21_68
; %bb.67:
	v_cvt_f64_f32_e32 v[7:8], v6
	v_min_f32_e32 v3, v5, v3
	s_mov_b32 s16, 0x7f800000
	v_cmp_neq_f32_e32 vcc, s16, v6
	v_frexp_exp_i32_f64_e32 v4, v[7:8]
	v_mov_b32_e32 v7, 0x7f800000
	s_mov_b32 s17, 0x800000
	v_frexp_mant_f32_e32 v10, v6
	v_rcp_f32_e32 v10, v10
	s_mov_b32 s18, 0x3f317217
	v_mov_b32_e32 v8, 0x41b17218
	v_sub_u32_e32 v5, 0, v4
	v_ldexp_f32 v9, |v1|, v5
	v_ldexp_f32 v5, |v2|, v5
	v_mul_f32_e32 v5, v5, v5
	v_fmac_f32_e32 v5, v9, v9
	v_sqrt_f32_e32 v5, v5
	v_frexp_exp_i32_f32_e32 v9, v6
	v_ldexp_f32 v4, v5, v4
	v_cndmask_b32_e32 v4, v7, v4, vcc
	v_cmp_gt_f32_e32 vcc, s17, v4
	v_cndmask_b32_e64 v5, 0, 32, vcc
	v_ldexp_f32 v4, v4, v5
	v_log_f32_e32 v4, v4
	v_frexp_exp_i32_f32_e32 v5, v3
	v_frexp_mant_f32_e32 v3, v3
	v_cndmask_b32_e32 v6, 0, v8, vcc
	v_mul_f32_e32 v7, 0x3f317217, v4
	v_fma_f32 v7, v4, s18, -v7
	v_fmac_f32_e32 v7, 0x3377d1cf, v4
	v_fmac_f32_e32 v7, 0x3f317217, v4
	v_cmp_lt_f32_e64 vcc, |v4|, s16
	v_mul_f32_e32 v3, v3, v10
	v_sub_u32_e32 v5, v5, v9
	v_cndmask_b32_e32 v4, v4, v7, vcc
	v_ldexp_f32 v7, v3, v5
	v_mul_f32_e32 v3, v7, v7
	v_mov_b32_e32 v5, 0xbc7a590c
	v_sub_f32_e32 v4, v4, v6
	v_fmac_f32_e32 v5, 0x3b2d2a58, v3
	v_mov_b32_e32 v6, 0x3d29fb3f
	v_fmac_f32_e32 v6, v3, v5
	v_mov_b32_e32 v5, 0xbd97d4d7
	;; [unrolled: 2-line block ×6, first 2 shown]
	v_fmac_f32_e32 v5, v3, v6
	v_mul_f32_e32 v3, v3, v5
	v_fmac_f32_e32 v7, v7, v3
.LBB21_68:
	s_or_b64 exec, exec, s[6:7]
                                        ; implicit-def: $vgpr5
                                        ; implicit-def: $vgpr3
                                        ; implicit-def: $vgpr6
.LBB21_69:
	s_andn2_saveexec_b64 s[14:15], s[14:15]
	s_cbranch_execz .LBB21_71
; %bb.70:
	s_mov_b32 s16, 0x402df854
	v_div_scale_f32 v4, s[6:7], s16, s16, v1
	v_div_scale_f32 v7, s[6:7], s16, s16, v2
	v_div_scale_f32 v8, vcc, v1, s16, v1
	v_div_scale_f32 v9, s[6:7], v2, s16, v2
	v_min_f32_e32 v5, v5, v3
	s_mov_b32 s17, 0x3f317217
	v_mov_b32_e32 v18, 0xbe1160e6
	v_mov_b32_e32 v19, 0x3e4cb8bf
	v_rcp_f32_e32 v10, v4
	v_rcp_f32_e32 v11, v7
	v_fma_f32 v12, -v4, v10, 1.0
	v_fmac_f32_e32 v10, v12, v10
	v_fma_f32 v13, -v7, v11, 1.0
	v_fmac_f32_e32 v11, v13, v11
	v_mul_f32_e32 v12, v8, v10
	v_mul_f32_e32 v13, v9, v11
	v_fma_f32 v14, -v4, v12, v8
	v_fma_f32 v15, -v7, v13, v9
	v_fmac_f32_e32 v12, v14, v10
	v_fmac_f32_e32 v13, v15, v11
	v_fma_f32 v4, -v4, v12, v8
	v_fma_f32 v7, -v7, v13, v9
	v_div_fmas_f32 v4, v4, v10, v12
	s_mov_b64 vcc, s[6:7]
	v_div_fmas_f32 v7, v7, v11, v13
	v_frexp_exp_i32_f32_e32 v10, v6
	v_frexp_mant_f32_e32 v6, v6
	v_rcp_f32_e32 v6, v6
	s_mov_b32 s6, 0x7f800000
	v_mov_b32_e32 v8, 0x7f800000
	s_mov_b32 s7, 0x800000
	v_mov_b32_e32 v11, 0xbc7a590c
	v_mov_b32_e32 v12, 0x3d29fb3f
	v_mov_b32_e32 v9, 0x41b17218
	v_mov_b32_e32 v13, 0xbd97d4d7
	v_mov_b32_e32 v14, 0x3dd931b2
	v_div_fixup_f32 v15, v4, s16, v1
	v_div_fixup_f32 v16, v7, s16, v2
	v_max_f32_e64 v17, v15, |v16|
	v_cvt_f64_f32_e32 v[3:4], v17
	v_cmp_neq_f32_e32 vcc, s6, v17
	v_frexp_exp_i32_f64_e32 v3, v[3:4]
	v_frexp_exp_i32_f32_e32 v4, v5
	v_frexp_mant_f32_e32 v5, v5
	v_sub_u32_e32 v4, v4, v10
	v_mul_f32_e32 v5, v5, v6
	v_ldexp_f32 v7, v5, v4
	v_mul_f32_e32 v5, v7, v7
	v_fmac_f32_e32 v11, 0x3b2d2a58, v5
	v_sub_u32_e32 v4, 0, v3
	v_ldexp_f32 v6, v15, v4
	v_ldexp_f32 v4, |v16|, v4
	v_mul_f32_e32 v4, v4, v4
	v_fmac_f32_e32 v4, v6, v6
	v_sqrt_f32_e32 v4, v4
	v_fmac_f32_e32 v12, v5, v11
	v_fmac_f32_e32 v13, v5, v12
	;; [unrolled: 1-line block ×3, first 2 shown]
	v_ldexp_f32 v3, v4, v3
	v_cndmask_b32_e32 v3, v8, v3, vcc
	v_cmp_gt_f32_e32 vcc, s7, v3
	v_cndmask_b32_e64 v4, 0, 32, vcc
	v_ldexp_f32 v3, v3, v4
	v_log_f32_e32 v3, v3
	v_cndmask_b32_e32 v4, 0, v9, vcc
	v_fmac_f32_e32 v18, v5, v14
	v_fmac_f32_e32 v19, v5, v18
	v_mul_f32_e32 v6, 0x3f317217, v3
	v_fma_f32 v6, v3, s17, -v6
	v_fmac_f32_e32 v6, 0x3377d1cf, v3
	v_fmac_f32_e32 v6, 0x3f317217, v3
	v_cmp_lt_f32_e64 vcc, |v3|, s6
	v_cndmask_b32_e32 v3, v3, v6, vcc
	v_sub_f32_e32 v3, v3, v4
	v_add_f32_e32 v4, 1.0, v3
	v_mov_b32_e32 v3, 0xbeaaaa62
	v_fmac_f32_e32 v3, v5, v19
	v_mul_f32_e32 v3, v5, v3
	v_fmac_f32_e32 v7, v7, v3
.LBB21_71:
	s_or_b64 exec, exec, s[14:15]
	v_sub_f32_e32 v3, 0x3fc90fdb, v7
	s_movk_i32 s6, 0x204
	v_cndmask_b32_e64 v3, v7, v3, s[4:5]
	v_cmp_neq_f16_e32 vcc, 0, v0
	v_cmp_class_f32_e64 s[4:5], v1, s6
	v_cmp_class_f32_e64 s[6:7], v2, s6
	v_cndmask_b32_e32 v0, 0, v3, vcc
	v_mov_b32_e32 v3, 0x3f490fdb
	s_and_b64 vcc, s[6:7], s[4:5]
	v_cndmask_b32_e32 v0, v0, v3, vcc
	s_brev_b32 s4, -2
	v_bfi_b32 v7, s4, v0, v2
                                        ; implicit-def: $vgpr0
                                        ; implicit-def: $vgpr3
.LBB21_72:
	s_andn2_saveexec_b64 s[12:13], s[12:13]
	s_cbranch_execz .LBB21_82
; %bb.73:
	v_cmp_gt_f32_e64 s[4:5], |v2|, -v1
	v_cndmask_b32_e64 v6, -v1, |v2|, s[4:5]
	s_mov_b32 s6, 0x7effffff
	v_cmp_nlt_f32_e32 vcc, s6, v6
                                        ; implicit-def: $vgpr4
                                        ; implicit-def: $vgpr5
	s_and_saveexec_b64 s[6:7], vcc
	s_xor_b64 s[14:15], exec, s[6:7]
	s_cbranch_execz .LBB21_79
; %bb.74:
	v_xor_b32_e32 v4, 0x80000000, v1
	s_mov_b32 s6, 0x5e000000
	v_cndmask_b32_e64 v7, |v2|, v4, s[4:5]
	v_cmp_nlt_f32_e32 vcc, s6, v6
	s_brev_b32 s6, 4
	v_cmp_ngt_f32_e64 s[6:7], s6, v7
	s_and_b64 s[6:7], vcc, s[6:7]
                                        ; implicit-def: $vgpr4
                                        ; implicit-def: $vgpr5
	s_and_saveexec_b64 s[16:17], s[6:7]
	s_xor_b64 s[16:17], exec, s[16:17]
	s_cbranch_execz .LBB21_76
; %bb.75:
	v_mul_f32_e32 v4, v7, v7
	v_fmac_f32_e32 v4, v6, v6
	s_mov_b32 s6, 0x800000
	v_cmp_gt_f32_e32 vcc, s6, v4
	v_cndmask_b32_e64 v5, 0, 32, vcc
	v_ldexp_f32 v4, v4, v5
	v_log_f32_e32 v4, v4
	s_mov_b32 s6, 0x3f317217
	v_mul_f32_e32 v5, 0x3f317217, v4
	v_fma_f32 v5, v4, s6, -v5
	v_fmac_f32_e32 v5, 0x3377d1cf, v4
	s_mov_b32 s6, 0x7f800000
	v_fmac_f32_e32 v5, 0x3f317217, v4
	v_cmp_lt_f32_e64 s[6:7], |v4|, s6
	v_cndmask_b32_e64 v4, v4, v5, s[6:7]
	v_mov_b32_e32 v5, 0x41b17218
	v_cndmask_b32_e32 v5, 0, v5, vcc
	v_sub_f32_e32 v4, v4, v5
	v_max_f32_e64 v5, -v1, -v1
	v_min_f32_e32 v6, v5, v3
	v_max_f32_e32 v3, v5, v3
	v_frexp_mant_f32_e32 v5, v3
	v_rcp_f32_e32 v5, v5
	v_frexp_exp_i32_f32_e32 v3, v3
	v_frexp_exp_i32_f32_e32 v7, v6
	v_frexp_mant_f32_e32 v6, v6
	v_mul_f32_e32 v5, v6, v5
	v_sub_u32_e32 v3, v7, v3
	v_ldexp_f32 v5, v5, v3
	v_mul_f32_e32 v3, v5, v5
	v_mov_b32_e32 v6, 0xbc7a590c
	v_fmac_f32_e32 v6, 0x3b2d2a58, v3
	v_mov_b32_e32 v7, 0x3d29fb3f
	v_fmac_f32_e32 v7, v3, v6
	;; [unrolled: 2-line block ×7, first 2 shown]
	v_mul_f32_e32 v3, v3, v6
	v_mul_f32_e32 v4, 0.5, v4
	v_fmac_f32_e32 v5, v5, v3
                                        ; implicit-def: $vgpr3
.LBB21_76:
	s_andn2_saveexec_b64 s[6:7], s[16:17]
	s_cbranch_execz .LBB21_78
; %bb.77:
	v_max_f32_e64 v6, -v1, -v1
	v_max_f32_e32 v7, v6, v3
	v_cvt_f64_f32_e32 v[4:5], v7
	v_min_f32_e32 v3, v6, v3
	s_mov_b32 s16, 0x7f800000
	v_cmp_neq_f32_e32 vcc, s16, v7
	v_frexp_exp_i32_f64_e32 v4, v[4:5]
	v_mov_b32_e32 v5, 0x7f800000
	s_mov_b32 s17, 0x800000
	v_frexp_mant_f32_e32 v10, v7
	s_mov_b32 s18, 0x3f317217
	v_mov_b32_e32 v8, 0x41b17218
	v_frexp_exp_i32_f32_e32 v11, v3
	v_frexp_mant_f32_e32 v3, v3
	v_sub_u32_e32 v6, 0, v4
	v_ldexp_f32 v9, -v1, v6
	v_ldexp_f32 v6, |v2|, v6
	v_mul_f32_e32 v6, v6, v6
	v_fmac_f32_e32 v6, v9, v9
	v_sqrt_f32_e32 v6, v6
	v_frexp_exp_i32_f32_e32 v9, v7
	v_ldexp_f32 v4, v6, v4
	v_cndmask_b32_e32 v4, v5, v4, vcc
	v_cmp_gt_f32_e32 vcc, s17, v4
	v_cndmask_b32_e64 v5, 0, 32, vcc
	v_ldexp_f32 v4, v4, v5
	v_log_f32_e32 v4, v4
	v_rcp_f32_e32 v5, v10
	v_cndmask_b32_e32 v6, 0, v8, vcc
	v_mul_f32_e32 v7, 0x3f317217, v4
	v_fma_f32 v7, v4, s18, -v7
	v_fmac_f32_e32 v7, 0x3377d1cf, v4
	v_fmac_f32_e32 v7, 0x3f317217, v4
	v_cmp_lt_f32_e64 vcc, |v4|, s16
	v_mul_f32_e32 v3, v3, v5
	v_sub_u32_e32 v5, v11, v9
	v_cndmask_b32_e32 v4, v4, v7, vcc
	v_ldexp_f32 v5, v3, v5
	v_sub_f32_e32 v4, v4, v6
	v_mul_f32_e32 v3, v5, v5
	v_mov_b32_e32 v6, 0xbc7a590c
	v_fmac_f32_e32 v6, 0x3b2d2a58, v3
	v_mov_b32_e32 v7, 0x3d29fb3f
	v_fmac_f32_e32 v7, v3, v6
	;; [unrolled: 2-line block ×7, first 2 shown]
	v_mul_f32_e32 v3, v3, v6
	v_fmac_f32_e32 v5, v5, v3
.LBB21_78:
	s_or_b64 exec, exec, s[6:7]
                                        ; implicit-def: $vgpr3
.LBB21_79:
	s_andn2_saveexec_b64 s[14:15], s[14:15]
	s_cbranch_execz .LBB21_81
; %bb.80:
	s_mov_b32 s16, 0xc02df854
	v_div_scale_f32 v4, s[6:7], s16, s16, v1
	v_div_scale_f32 v5, s[6:7], s16, s16, v2
	v_div_scale_f32 v6, vcc, v1, s16, v1
	v_div_scale_f32 v7, s[6:7], v2, s16, v2
	s_mov_b32 s17, 0x3f317217
	v_rcp_f32_e32 v8, v4
	v_rcp_f32_e32 v9, v5
	v_fma_f32 v10, -v4, v8, 1.0
	v_fmac_f32_e32 v8, v10, v8
	v_fma_f32 v11, -v5, v9, 1.0
	v_fmac_f32_e32 v9, v11, v9
	v_mul_f32_e32 v10, v6, v8
	v_mul_f32_e32 v11, v7, v9
	v_fma_f32 v12, -v4, v10, v6
	v_fma_f32 v13, -v5, v11, v7
	v_fmac_f32_e32 v10, v12, v8
	v_fmac_f32_e32 v11, v13, v9
	v_fma_f32 v4, -v4, v10, v6
	v_fma_f32 v5, -v5, v11, v7
	v_div_fmas_f32 v4, v4, v8, v10
	s_mov_b64 vcc, s[6:7]
	v_div_fmas_f32 v5, v5, v9, v11
	v_max_f32_e64 v8, -v1, -v1
	v_min_f32_e32 v14, v8, v3
	v_max_f32_e32 v3, v8, v3
	v_frexp_exp_i32_f32_e32 v8, v3
	v_frexp_mant_f32_e32 v3, v3
	v_rcp_f32_e32 v3, v3
	s_mov_b32 s6, 0x7f800000
	v_mov_b32_e32 v6, 0x7f800000
	s_mov_b32 s7, 0x800000
	v_mov_b32_e32 v7, 0x41b17218
	v_mov_b32_e32 v9, 0xbc7a590c
	;; [unrolled: 1-line block ×4, first 2 shown]
	v_div_fixup_f32 v15, v4, s16, v1
	v_mov_b32_e32 v12, 0x3dd931b2
	v_div_fixup_f32 v16, v5, s16, v2
	v_max_f32_e64 v17, |v15|, |v16|
	v_cvt_f64_f32_e32 v[4:5], v17
	v_cmp_neq_f32_e32 vcc, s6, v17
	v_mov_b32_e32 v13, 0xbe1160e6
	v_frexp_exp_i32_f64_e32 v4, v[4:5]
	v_frexp_exp_i32_f32_e32 v5, v14
	v_frexp_mant_f32_e32 v14, v14
	v_sub_u32_e32 v5, v5, v8
	v_mul_f32_e32 v3, v14, v3
	v_ldexp_f32 v5, v3, v5
	v_mul_f32_e32 v3, v5, v5
	v_fmac_f32_e32 v9, 0x3b2d2a58, v3
	v_sub_u32_e32 v8, 0, v4
	v_ldexp_f32 v14, |v15|, v8
	v_ldexp_f32 v8, |v16|, v8
	v_mul_f32_e32 v8, v8, v8
	v_fmac_f32_e32 v8, v14, v14
	v_sqrt_f32_e32 v8, v8
	v_fmac_f32_e32 v10, v3, v9
	v_fmac_f32_e32 v11, v3, v10
	;; [unrolled: 1-line block ×3, first 2 shown]
	v_ldexp_f32 v4, v8, v4
	v_cndmask_b32_e32 v4, v6, v4, vcc
	v_cmp_gt_f32_e32 vcc, s7, v4
	v_cndmask_b32_e64 v6, 0, 32, vcc
	v_ldexp_f32 v4, v4, v6
	v_log_f32_e32 v4, v4
	v_cndmask_b32_e32 v6, 0, v7, vcc
	v_fmac_f32_e32 v13, v3, v12
	v_mul_f32_e32 v7, 0x3f317217, v4
	v_fma_f32 v7, v4, s17, -v7
	v_fmac_f32_e32 v7, 0x3377d1cf, v4
	v_fmac_f32_e32 v7, 0x3f317217, v4
	v_cmp_lt_f32_e64 vcc, |v4|, s6
	v_cndmask_b32_e32 v4, v4, v7, vcc
	v_sub_f32_e32 v4, v4, v6
	v_mov_b32_e32 v6, 0x3e4cb8bf
	v_fmac_f32_e32 v6, v3, v13
	v_mov_b32_e32 v7, 0xbeaaaa62
	v_fmac_f32_e32 v7, v3, v6
	v_mul_f32_e32 v3, v3, v7
	v_add_f32_e32 v4, 1.0, v4
	v_fmac_f32_e32 v5, v5, v3
.LBB21_81:
	s_or_b64 exec, exec, s[14:15]
	v_sub_f32_e32 v3, 0x3fc90fdb, v5
	v_cndmask_b32_e64 v3, v5, v3, s[4:5]
	s_mov_b32 s4, 0xfc00
	s_movk_i32 s6, 0x204
	v_cmp_neq_f16_e32 vcc, 0, v0
	v_cmp_eq_f16_sdwa s[4:5], v0, s4 src0_sel:WORD_1 src1_sel:DWORD
	v_cmp_class_f32_e64 s[6:7], v2, s6
	v_cndmask_b32_e32 v3, 0, v3, vcc
	v_mov_b32_e32 v0, 0x3f490fdb
	s_and_b64 vcc, s[4:5], s[6:7]
	v_cndmask_b32_e32 v0, v3, v0, vcc
	v_xor_b32_e32 v3, 0x80000000, v2
	s_brev_b32 s4, -2
	v_bfi_b32 v7, s4, v0, v3
.LBB21_82:
	s_or_b64 exec, exec, s[12:13]
	v_add_f32_e32 v0, 0x3f317218, v4
	s_brev_b32 s4, -2
	v_bfi_b32 v1, s4, v0, v1
	v_bfi_b32 v2, s4, v7, v2
.LBB21_83:
	s_or_b64 exec, exec, s[10:11]
                                        ; implicit-def: $vgpr0
.LBB21_84:
	s_andn2_saveexec_b64 s[4:5], s[8:9]
	s_cbranch_execz .LBB21_98
; %bb.85:
	s_mov_b32 s8, 0x7f800000
	v_cmp_neq_f32_e64 s[6:7], |v1|, s8
                                        ; implicit-def: $vgpr3
                                        ; implicit-def: $vgpr4
	s_and_saveexec_b64 s[10:11], s[6:7]
	s_xor_b64 s[6:7], exec, s[10:11]
	s_cbranch_execz .LBB21_95
; %bb.86:
	v_cmp_neq_f32_e64 s[8:9], |v2|, s8
                                        ; implicit-def: $vgpr3
                                        ; implicit-def: $vgpr4
	s_and_saveexec_b64 s[10:11], s[8:9]
	s_xor_b64 s[8:9], exec, s[10:11]
	s_cbranch_execz .LBB21_92
; %bb.87:
	s_waitcnt lgkmcnt(0)
	v_cmp_neq_f16_e32 vcc, 0, v0
                                        ; implicit-def: $vgpr3
	s_and_saveexec_b64 s[10:11], vcc
	s_xor_b64 s[10:11], exec, s[10:11]
; %bb.88:
	v_add_f32_e32 v0, 0, v1
	v_add_f32_e32 v3, v0, v2
                                        ; implicit-def: $vgpr1
                                        ; implicit-def: $vgpr2
; %bb.89:
	s_or_saveexec_b64 s[10:11], s[10:11]
	v_mov_b32_e32 v4, v3
	s_xor_b64 exec, exec, s[10:11]
; %bb.90:
	v_add_f32_e32 v4, v1, v1
	v_mov_b32_e32 v3, v2
; %bb.91:
	s_or_b64 exec, exec, s[10:11]
                                        ; implicit-def: $vgpr1
                                        ; implicit-def: $vgpr2
.LBB21_92:
	s_andn2_saveexec_b64 s[8:9], s[8:9]
; %bb.93:
	v_add_f32_e32 v3, v1, v1
	v_mov_b32_e32 v4, v2
; %bb.94:
	s_or_b64 exec, exec, s[8:9]
                                        ; implicit-def: $vgpr2
                                        ; implicit-def: $vgpr1
.LBB21_95:
	s_andn2_saveexec_b64 s[6:7], s[6:7]
; %bb.96:
	v_add_f32_e32 v3, v2, v2
	v_mov_b32_e32 v4, v1
; %bb.97:
	s_or_b64 exec, exec, s[6:7]
	v_mov_b32_e32 v1, v4
	v_mov_b32_e32 v2, v3
.LBB21_98:
	s_or_b64 exec, exec, s[4:5]
	s_waitcnt lgkmcnt(0)
	v_cvt_f16_f32_e32 v0, v2
	v_cvt_f16_f32_sdwa v1, v1 dst_sel:WORD_1 dst_unused:UNUSED_PAD src0_sel:DWORD
	v_or_b32_e32 v0, v1, v0
	s_setpc_b64 s[30:31]
.Lfunc_end21:
	.size	_ZN3c104guts5applyIRZZZN2at6native16asin_kernel_cudaERNS2_18TensorIteratorBaseEENKUlvE_clEvENKUlvE1_clEvEUlNS_7complexINS_4HalfEEEE_RSt5tupleIJSA_EEEEDaOT_OT0_, .Lfunc_end21-_ZN3c104guts5applyIRZZZN2at6native16asin_kernel_cudaERNS2_18TensorIteratorBaseEENKUlvE_clEvENKUlvE1_clEvEUlNS_7complexINS_4HalfEEEE_RSt5tupleIJSA_EEEEDaOT_OT0_
                                        ; -- End function
	.set .L_ZN3c104guts5applyIRZZZN2at6native16asin_kernel_cudaERNS2_18TensorIteratorBaseEENKUlvE_clEvENKUlvE1_clEvEUlNS_7complexINS_4HalfEEEE_RSt5tupleIJSA_EEEEDaOT_OT0_.num_vgpr, 20
	.set .L_ZN3c104guts5applyIRZZZN2at6native16asin_kernel_cudaERNS2_18TensorIteratorBaseEENKUlvE_clEvENKUlvE1_clEvEUlNS_7complexINS_4HalfEEEE_RSt5tupleIJSA_EEEEDaOT_OT0_.num_agpr, 0
	.set .L_ZN3c104guts5applyIRZZZN2at6native16asin_kernel_cudaERNS2_18TensorIteratorBaseEENKUlvE_clEvENKUlvE1_clEvEUlNS_7complexINS_4HalfEEEE_RSt5tupleIJSA_EEEEDaOT_OT0_.numbered_sgpr, 33
	.set .L_ZN3c104guts5applyIRZZZN2at6native16asin_kernel_cudaERNS2_18TensorIteratorBaseEENKUlvE_clEvENKUlvE1_clEvEUlNS_7complexINS_4HalfEEEE_RSt5tupleIJSA_EEEEDaOT_OT0_.num_named_barrier, 0
	.set .L_ZN3c104guts5applyIRZZZN2at6native16asin_kernel_cudaERNS2_18TensorIteratorBaseEENKUlvE_clEvENKUlvE1_clEvEUlNS_7complexINS_4HalfEEEE_RSt5tupleIJSA_EEEEDaOT_OT0_.private_seg_size, 12
	.set .L_ZN3c104guts5applyIRZZZN2at6native16asin_kernel_cudaERNS2_18TensorIteratorBaseEENKUlvE_clEvENKUlvE1_clEvEUlNS_7complexINS_4HalfEEEE_RSt5tupleIJSA_EEEEDaOT_OT0_.uses_vcc, 1
	.set .L_ZN3c104guts5applyIRZZZN2at6native16asin_kernel_cudaERNS2_18TensorIteratorBaseEENKUlvE_clEvENKUlvE1_clEvEUlNS_7complexINS_4HalfEEEE_RSt5tupleIJSA_EEEEDaOT_OT0_.uses_flat_scratch, 0
	.set .L_ZN3c104guts5applyIRZZZN2at6native16asin_kernel_cudaERNS2_18TensorIteratorBaseEENKUlvE_clEvENKUlvE1_clEvEUlNS_7complexINS_4HalfEEEE_RSt5tupleIJSA_EEEEDaOT_OT0_.has_dyn_sized_stack, 0
	.set .L_ZN3c104guts5applyIRZZZN2at6native16asin_kernel_cudaERNS2_18TensorIteratorBaseEENKUlvE_clEvENKUlvE1_clEvEUlNS_7complexINS_4HalfEEEE_RSt5tupleIJSA_EEEEDaOT_OT0_.has_recursion, 0
	.set .L_ZN3c104guts5applyIRZZZN2at6native16asin_kernel_cudaERNS2_18TensorIteratorBaseEENKUlvE_clEvENKUlvE1_clEvEUlNS_7complexINS_4HalfEEEE_RSt5tupleIJSA_EEEEDaOT_OT0_.has_indirect_call, 0
	.section	.AMDGPU.csdata,"",@progbits
; Function info:
; codeLenInByte = 7304
; TotalNumSgprs: 37
; NumVgprs: 20
; ScratchSize: 12
; MemoryBound: 0
	.section	.text._ZN2at6native29vectorized_elementwise_kernelILi16EZZZNS0_16asin_kernel_cudaERNS_18TensorIteratorBaseEENKUlvE_clEvENKUlvE1_clEvEUlN3c107complexINS6_4HalfEEEE_St5arrayIPcLm2EEEEviT0_T1_,"axG",@progbits,_ZN2at6native29vectorized_elementwise_kernelILi16EZZZNS0_16asin_kernel_cudaERNS_18TensorIteratorBaseEENKUlvE_clEvENKUlvE1_clEvEUlN3c107complexINS6_4HalfEEEE_St5arrayIPcLm2EEEEviT0_T1_,comdat
	.globl	_ZN2at6native29vectorized_elementwise_kernelILi16EZZZNS0_16asin_kernel_cudaERNS_18TensorIteratorBaseEENKUlvE_clEvENKUlvE1_clEvEUlN3c107complexINS6_4HalfEEEE_St5arrayIPcLm2EEEEviT0_T1_ ; -- Begin function _ZN2at6native29vectorized_elementwise_kernelILi16EZZZNS0_16asin_kernel_cudaERNS_18TensorIteratorBaseEENKUlvE_clEvENKUlvE1_clEvEUlN3c107complexINS6_4HalfEEEE_St5arrayIPcLm2EEEEviT0_T1_
	.p2align	8
	.type	_ZN2at6native29vectorized_elementwise_kernelILi16EZZZNS0_16asin_kernel_cudaERNS_18TensorIteratorBaseEENKUlvE_clEvENKUlvE1_clEvEUlN3c107complexINS6_4HalfEEEE_St5arrayIPcLm2EEEEviT0_T1_,@function
_ZN2at6native29vectorized_elementwise_kernelILi16EZZZNS0_16asin_kernel_cudaERNS_18TensorIteratorBaseEENKUlvE_clEvENKUlvE1_clEvEUlN3c107complexINS6_4HalfEEEE_St5arrayIPcLm2EEEEviT0_T1_: ; @_ZN2at6native29vectorized_elementwise_kernelILi16EZZZNS0_16asin_kernel_cudaERNS_18TensorIteratorBaseEENKUlvE_clEvENKUlvE1_clEvEUlN3c107complexINS6_4HalfEEEE_St5arrayIPcLm2EEEEviT0_T1_
; %bb.0:
	s_add_u32 flat_scratch_lo, s6, s9
	s_load_dword s6, s[4:5], 0x0
	s_load_dwordx4 s[36:39], s[4:5], 0x8
	s_addc_u32 flat_scratch_hi, s7, 0
	s_add_u32 s0, s0, s9
	s_addc_u32 s1, s1, 0
	s_lshl_b32 s28, s8, 10
	s_waitcnt lgkmcnt(0)
	s_sub_i32 s33, s6, s28
	v_mov_b32_e32 v20, v0
	s_cmpk_gt_i32 s33, 0x3ff
	s_mov_b64 s[4:5], -1
	s_mov_b32 s32, 0
	s_cbranch_scc0 .LBB22_2
; %bb.1:
	s_ashr_i32 s29, s28, 31
	s_lshl_b64 s[26:27], s[28:29], 2
	s_add_u32 s4, s38, s26
	s_addc_u32 s5, s39, s27
	v_lshlrev_b32_e32 v25, 4, v20
	global_load_dwordx4 v[21:24], v25, s[4:5]
	s_getpc_b64 s[34:35]
	s_add_u32 s34, s34, _ZN3c104guts5applyIRZZZN2at6native16asin_kernel_cudaERNS2_18TensorIteratorBaseEENKUlvE_clEvENKUlvE1_clEvEUlNS_7complexINS_4HalfEEEE_RSt5tupleIJSA_EEEEDaOT_OT0_@rel32@lo+4
	s_addc_u32 s35, s35, _ZN3c104guts5applyIRZZZN2at6native16asin_kernel_cudaERNS2_18TensorIteratorBaseEENKUlvE_clEvENKUlvE1_clEvEUlNS_7complexINS_4HalfEEEE_RSt5tupleIJSA_EEEEDaOT_OT0_@rel32@hi+12
	s_waitcnt vmcnt(0)
	v_mov_b32_e32 v0, v21
	s_swappc_b64 s[30:31], s[34:35]
	v_mov_b32_e32 v21, v0
	v_mov_b32_e32 v0, v22
	s_swappc_b64 s[30:31], s[34:35]
	v_mov_b32_e32 v22, v0
	;; [unrolled: 3-line block ×3, first 2 shown]
	v_mov_b32_e32 v0, v24
	s_swappc_b64 s[30:31], s[34:35]
	s_add_u32 s4, s36, s26
	v_mov_b32_e32 v24, v0
	s_addc_u32 s5, s37, s27
	global_store_dwordx4 v25, v[21:24], s[4:5]
	s_mov_b64 s[4:5], 0
.LBB22_2:
	s_andn2_b64 vcc, exec, s[4:5]
	s_cbranch_vccnz .LBB22_23
; %bb.3:
	v_cmp_gt_i32_e64 s[26:27], s33, v20
	v_mov_b32_e32 v21, 0
	v_or_b32_e32 v25, s28, v20
	v_mov_b32_e32 v27, 0
	v_mov_b32_e32 v26, 0
	v_mov_b32_e32 v0, 0
	s_and_saveexec_b64 s[4:5], s[26:27]
	s_cbranch_execz .LBB22_11
; %bb.4:
	v_mov_b32_e32 v26, 0
	v_lshlrev_b64 v[0:1], 2, v[25:26]
	v_mov_b32_e32 v2, s39
	v_add_co_u32_e32 v0, vcc, s38, v0
	v_addc_co_u32_e32 v1, vcc, v2, v1, vcc
	global_load_dword v0, v[0:1], off
	v_or_b32_e32 v1, 0x100, v20
	v_cmp_gt_u32_e32 vcc, s33, v1
	v_mov_b32_e32 v27, v26
	v_mov_b32_e32 v21, v26
	s_and_saveexec_b64 s[6:7], vcc
	s_cbranch_execz .LBB22_10
; %bb.5:
	v_add_u32_e32 v26, s28, v20
	v_mov_b32_e32 v27, 0
	v_lshlrev_b64 v[1:2], 2, v[26:27]
	v_mov_b32_e32 v3, s39
	v_add_co_u32_e32 v1, vcc, s38, v1
	v_addc_co_u32_e32 v2, vcc, v3, v2, vcc
	global_load_dword v26, v[1:2], off offset:1024
	v_or_b32_e32 v3, 0x200, v20
	v_cmp_gt_u32_e32 vcc, s33, v3
	v_mov_b32_e32 v21, v27
	s_and_saveexec_b64 s[8:9], vcc
	s_cbranch_execz .LBB22_9
; %bb.6:
	global_load_dword v27, v[1:2], off offset:2048
	v_or_b32_e32 v3, 0x300, v20
	v_cmp_gt_u32_e32 vcc, s33, v3
	v_mov_b32_e32 v21, 0
	s_and_saveexec_b64 s[10:11], vcc
	s_cbranch_execz .LBB22_8
; %bb.7:
	global_load_dword v21, v[1:2], off offset:3072
.LBB22_8:
	s_or_b64 exec, exec, s[10:11]
.LBB22_9:
	s_or_b64 exec, exec, s[8:9]
.LBB22_10:
	s_or_b64 exec, exec, s[6:7]
.LBB22_11:
	s_or_b64 exec, exec, s[4:5]
                                        ; implicit-def: $vgpr24
	s_and_saveexec_b64 s[34:35], s[26:27]
	s_cbranch_execz .LBB22_13
; %bb.12:
	s_getpc_b64 s[4:5]
	s_add_u32 s4, s4, _ZN3c104guts5applyIRZZZN2at6native16asin_kernel_cudaERNS2_18TensorIteratorBaseEENKUlvE_clEvENKUlvE1_clEvEUlNS_7complexINS_4HalfEEEE_RSt5tupleIJSA_EEEEDaOT_OT0_@rel32@lo+4
	s_addc_u32 s5, s5, _ZN3c104guts5applyIRZZZN2at6native16asin_kernel_cudaERNS2_18TensorIteratorBaseEENKUlvE_clEvENKUlvE1_clEvEUlNS_7complexINS_4HalfEEEE_RSt5tupleIJSA_EEEEDaOT_OT0_@rel32@hi+12
	s_swappc_b64 s[30:31], s[4:5]
	v_mov_b32_e32 v24, v0
.LBB22_13:
	s_or_b64 exec, exec, s[34:35]
	v_or_b32_e32 v28, 0x100, v20
	v_cmp_gt_i32_e32 vcc, s33, v28
                                        ; implicit-def: $vgpr23
	s_and_saveexec_b64 s[34:35], vcc
	s_cbranch_execz .LBB22_15
; %bb.14:
	s_getpc_b64 s[4:5]
	s_add_u32 s4, s4, _ZN3c104guts5applyIRZZZN2at6native16asin_kernel_cudaERNS2_18TensorIteratorBaseEENKUlvE_clEvENKUlvE1_clEvEUlNS_7complexINS_4HalfEEEE_RSt5tupleIJSA_EEEEDaOT_OT0_@rel32@lo+4
	s_addc_u32 s5, s5, _ZN3c104guts5applyIRZZZN2at6native16asin_kernel_cudaERNS2_18TensorIteratorBaseEENKUlvE_clEvENKUlvE1_clEvEUlNS_7complexINS_4HalfEEEE_RSt5tupleIJSA_EEEEDaOT_OT0_@rel32@hi+12
	s_waitcnt vmcnt(0)
	v_mov_b32_e32 v0, v26
	s_swappc_b64 s[30:31], s[4:5]
	v_mov_b32_e32 v23, v0
.LBB22_15:
	s_or_b64 exec, exec, s[34:35]
	s_waitcnt vmcnt(0)
	v_or_b32_e32 v0, 0x200, v20
	v_cmp_gt_i32_e32 vcc, s33, v0
                                        ; implicit-def: $vgpr22
	s_and_saveexec_b64 s[34:35], vcc
	s_cbranch_execz .LBB22_17
; %bb.16:
	s_getpc_b64 s[4:5]
	s_add_u32 s4, s4, _ZN3c104guts5applyIRZZZN2at6native16asin_kernel_cudaERNS2_18TensorIteratorBaseEENKUlvE_clEvENKUlvE1_clEvEUlNS_7complexINS_4HalfEEEE_RSt5tupleIJSA_EEEEDaOT_OT0_@rel32@lo+4
	s_addc_u32 s5, s5, _ZN3c104guts5applyIRZZZN2at6native16asin_kernel_cudaERNS2_18TensorIteratorBaseEENKUlvE_clEvENKUlvE1_clEvEUlNS_7complexINS_4HalfEEEE_RSt5tupleIJSA_EEEEDaOT_OT0_@rel32@hi+12
	v_mov_b32_e32 v0, v27
	s_swappc_b64 s[30:31], s[4:5]
	v_mov_b32_e32 v22, v0
.LBB22_17:
	s_or_b64 exec, exec, s[34:35]
	v_or_b32_e32 v0, 0x300, v20
	v_cmp_gt_i32_e32 vcc, s33, v0
                                        ; implicit-def: $vgpr0
	s_and_saveexec_b64 s[34:35], vcc
	s_cbranch_execnz .LBB22_24
; %bb.18:
	s_or_b64 exec, exec, s[34:35]
	s_and_saveexec_b64 s[4:5], s[26:27]
	s_xor_b64 s[4:5], exec, s[4:5]
	s_cbranch_execnz .LBB22_25
.LBB22_19:
	s_or_b64 exec, exec, s[4:5]
	v_cmp_gt_i32_e32 vcc, s33, v20
	s_and_saveexec_b64 s[4:5], vcc
	s_cbranch_execnz .LBB22_26
.LBB22_20:
	s_or_b64 exec, exec, s[4:5]
	v_cmp_gt_i32_e32 vcc, s33, v20
	s_and_saveexec_b64 s[4:5], vcc
	s_cbranch_execnz .LBB22_27
.LBB22_21:
	s_or_b64 exec, exec, s[4:5]
	v_cmp_gt_i32_e32 vcc, s33, v20
	s_and_saveexec_b64 s[4:5], vcc
	s_cbranch_execz .LBB22_23
.LBB22_22:
	v_add_u32_e32 v1, s28, v20
	v_mov_b32_e32 v2, 0
	v_lshlrev_b64 v[1:2], 2, v[1:2]
	v_mov_b32_e32 v3, s37
	v_add_co_u32_e32 v1, vcc, s36, v1
	v_addc_co_u32_e32 v2, vcc, v3, v2, vcc
	global_store_dword v[1:2], v0, off
.LBB22_23:
	s_endpgm
.LBB22_24:
	s_getpc_b64 s[4:5]
	s_add_u32 s4, s4, _ZN3c104guts5applyIRZZZN2at6native16asin_kernel_cudaERNS2_18TensorIteratorBaseEENKUlvE_clEvENKUlvE1_clEvEUlNS_7complexINS_4HalfEEEE_RSt5tupleIJSA_EEEEDaOT_OT0_@rel32@lo+4
	s_addc_u32 s5, s5, _ZN3c104guts5applyIRZZZN2at6native16asin_kernel_cudaERNS2_18TensorIteratorBaseEENKUlvE_clEvENKUlvE1_clEvEUlNS_7complexINS_4HalfEEEE_RSt5tupleIJSA_EEEEDaOT_OT0_@rel32@hi+12
	v_mov_b32_e32 v0, v21
	s_swappc_b64 s[30:31], s[4:5]
	s_or_b64 exec, exec, s[34:35]
	s_and_saveexec_b64 s[4:5], s[26:27]
	s_xor_b64 s[4:5], exec, s[4:5]
	s_cbranch_execz .LBB22_19
.LBB22_25:
	v_mov_b32_e32 v26, 0
	v_lshlrev_b64 v[1:2], 2, v[25:26]
	v_mov_b32_e32 v3, s37
	v_add_co_u32_e32 v1, vcc, s36, v1
	v_addc_co_u32_e32 v2, vcc, v3, v2, vcc
	v_mov_b32_e32 v20, v28
	global_store_dword v[1:2], v24, off
	s_or_b64 exec, exec, s[4:5]
	v_cmp_gt_i32_e32 vcc, s33, v20
	s_and_saveexec_b64 s[4:5], vcc
	s_cbranch_execz .LBB22_20
.LBB22_26:
	v_add_u32_e32 v1, s28, v20
	v_mov_b32_e32 v2, 0
	v_lshlrev_b64 v[1:2], 2, v[1:2]
	v_mov_b32_e32 v3, s37
	v_add_co_u32_e32 v1, vcc, s36, v1
	v_addc_co_u32_e32 v2, vcc, v3, v2, vcc
	v_add_u32_e32 v20, 0x100, v20
	global_store_dword v[1:2], v23, off
	s_or_b64 exec, exec, s[4:5]
	v_cmp_gt_i32_e32 vcc, s33, v20
	s_and_saveexec_b64 s[4:5], vcc
	s_cbranch_execz .LBB22_21
.LBB22_27:
	v_add_u32_e32 v1, s28, v20
	v_mov_b32_e32 v2, 0
	v_lshlrev_b64 v[1:2], 2, v[1:2]
	v_mov_b32_e32 v3, s37
	v_add_co_u32_e32 v1, vcc, s36, v1
	v_addc_co_u32_e32 v2, vcc, v3, v2, vcc
	v_add_u32_e32 v20, 0x100, v20
	global_store_dword v[1:2], v22, off
	s_or_b64 exec, exec, s[4:5]
	v_cmp_gt_i32_e32 vcc, s33, v20
	s_and_saveexec_b64 s[4:5], vcc
	s_cbranch_execnz .LBB22_22
	s_branch .LBB22_23
	.section	.rodata,"a",@progbits
	.p2align	6, 0x0
	.amdhsa_kernel _ZN2at6native29vectorized_elementwise_kernelILi16EZZZNS0_16asin_kernel_cudaERNS_18TensorIteratorBaseEENKUlvE_clEvENKUlvE1_clEvEUlN3c107complexINS6_4HalfEEEE_St5arrayIPcLm2EEEEviT0_T1_
		.amdhsa_group_segment_fixed_size 0
		.amdhsa_private_segment_fixed_size 12
		.amdhsa_kernarg_size 24
		.amdhsa_user_sgpr_count 8
		.amdhsa_user_sgpr_private_segment_buffer 1
		.amdhsa_user_sgpr_dispatch_ptr 0
		.amdhsa_user_sgpr_queue_ptr 0
		.amdhsa_user_sgpr_kernarg_segment_ptr 1
		.amdhsa_user_sgpr_dispatch_id 0
		.amdhsa_user_sgpr_flat_scratch_init 1
		.amdhsa_user_sgpr_private_segment_size 0
		.amdhsa_uses_dynamic_stack 0
		.amdhsa_system_sgpr_private_segment_wavefront_offset 1
		.amdhsa_system_sgpr_workgroup_id_x 1
		.amdhsa_system_sgpr_workgroup_id_y 0
		.amdhsa_system_sgpr_workgroup_id_z 0
		.amdhsa_system_sgpr_workgroup_info 0
		.amdhsa_system_vgpr_workitem_id 0
		.amdhsa_next_free_vgpr 29
		.amdhsa_next_free_sgpr 40
		.amdhsa_reserve_vcc 1
		.amdhsa_reserve_flat_scratch 1
		.amdhsa_float_round_mode_32 0
		.amdhsa_float_round_mode_16_64 0
		.amdhsa_float_denorm_mode_32 3
		.amdhsa_float_denorm_mode_16_64 3
		.amdhsa_dx10_clamp 1
		.amdhsa_ieee_mode 1
		.amdhsa_fp16_overflow 0
		.amdhsa_exception_fp_ieee_invalid_op 0
		.amdhsa_exception_fp_denorm_src 0
		.amdhsa_exception_fp_ieee_div_zero 0
		.amdhsa_exception_fp_ieee_overflow 0
		.amdhsa_exception_fp_ieee_underflow 0
		.amdhsa_exception_fp_ieee_inexact 0
		.amdhsa_exception_int_div_zero 0
	.end_amdhsa_kernel
	.section	.text._ZN2at6native29vectorized_elementwise_kernelILi16EZZZNS0_16asin_kernel_cudaERNS_18TensorIteratorBaseEENKUlvE_clEvENKUlvE1_clEvEUlN3c107complexINS6_4HalfEEEE_St5arrayIPcLm2EEEEviT0_T1_,"axG",@progbits,_ZN2at6native29vectorized_elementwise_kernelILi16EZZZNS0_16asin_kernel_cudaERNS_18TensorIteratorBaseEENKUlvE_clEvENKUlvE1_clEvEUlN3c107complexINS6_4HalfEEEE_St5arrayIPcLm2EEEEviT0_T1_,comdat
.Lfunc_end22:
	.size	_ZN2at6native29vectorized_elementwise_kernelILi16EZZZNS0_16asin_kernel_cudaERNS_18TensorIteratorBaseEENKUlvE_clEvENKUlvE1_clEvEUlN3c107complexINS6_4HalfEEEE_St5arrayIPcLm2EEEEviT0_T1_, .Lfunc_end22-_ZN2at6native29vectorized_elementwise_kernelILi16EZZZNS0_16asin_kernel_cudaERNS_18TensorIteratorBaseEENKUlvE_clEvENKUlvE1_clEvEUlN3c107complexINS6_4HalfEEEE_St5arrayIPcLm2EEEEviT0_T1_
                                        ; -- End function
	.set _ZN2at6native29vectorized_elementwise_kernelILi16EZZZNS0_16asin_kernel_cudaERNS_18TensorIteratorBaseEENKUlvE_clEvENKUlvE1_clEvEUlN3c107complexINS6_4HalfEEEE_St5arrayIPcLm2EEEEviT0_T1_.num_vgpr, max(29, .L_ZN3c104guts5applyIRZZZN2at6native16asin_kernel_cudaERNS2_18TensorIteratorBaseEENKUlvE_clEvENKUlvE1_clEvEUlNS_7complexINS_4HalfEEEE_RSt5tupleIJSA_EEEEDaOT_OT0_.num_vgpr)
	.set _ZN2at6native29vectorized_elementwise_kernelILi16EZZZNS0_16asin_kernel_cudaERNS_18TensorIteratorBaseEENKUlvE_clEvENKUlvE1_clEvEUlN3c107complexINS6_4HalfEEEE_St5arrayIPcLm2EEEEviT0_T1_.num_agpr, max(0, .L_ZN3c104guts5applyIRZZZN2at6native16asin_kernel_cudaERNS2_18TensorIteratorBaseEENKUlvE_clEvENKUlvE1_clEvEUlNS_7complexINS_4HalfEEEE_RSt5tupleIJSA_EEEEDaOT_OT0_.num_agpr)
	.set _ZN2at6native29vectorized_elementwise_kernelILi16EZZZNS0_16asin_kernel_cudaERNS_18TensorIteratorBaseEENKUlvE_clEvENKUlvE1_clEvEUlN3c107complexINS6_4HalfEEEE_St5arrayIPcLm2EEEEviT0_T1_.numbered_sgpr, max(40, .L_ZN3c104guts5applyIRZZZN2at6native16asin_kernel_cudaERNS2_18TensorIteratorBaseEENKUlvE_clEvENKUlvE1_clEvEUlNS_7complexINS_4HalfEEEE_RSt5tupleIJSA_EEEEDaOT_OT0_.numbered_sgpr)
	.set _ZN2at6native29vectorized_elementwise_kernelILi16EZZZNS0_16asin_kernel_cudaERNS_18TensorIteratorBaseEENKUlvE_clEvENKUlvE1_clEvEUlN3c107complexINS6_4HalfEEEE_St5arrayIPcLm2EEEEviT0_T1_.num_named_barrier, max(0, .L_ZN3c104guts5applyIRZZZN2at6native16asin_kernel_cudaERNS2_18TensorIteratorBaseEENKUlvE_clEvENKUlvE1_clEvEUlNS_7complexINS_4HalfEEEE_RSt5tupleIJSA_EEEEDaOT_OT0_.num_named_barrier)
	.set _ZN2at6native29vectorized_elementwise_kernelILi16EZZZNS0_16asin_kernel_cudaERNS_18TensorIteratorBaseEENKUlvE_clEvENKUlvE1_clEvEUlN3c107complexINS6_4HalfEEEE_St5arrayIPcLm2EEEEviT0_T1_.private_seg_size, 0+max(.L_ZN3c104guts5applyIRZZZN2at6native16asin_kernel_cudaERNS2_18TensorIteratorBaseEENKUlvE_clEvENKUlvE1_clEvEUlNS_7complexINS_4HalfEEEE_RSt5tupleIJSA_EEEEDaOT_OT0_.private_seg_size)
	.set _ZN2at6native29vectorized_elementwise_kernelILi16EZZZNS0_16asin_kernel_cudaERNS_18TensorIteratorBaseEENKUlvE_clEvENKUlvE1_clEvEUlN3c107complexINS6_4HalfEEEE_St5arrayIPcLm2EEEEviT0_T1_.uses_vcc, or(1, .L_ZN3c104guts5applyIRZZZN2at6native16asin_kernel_cudaERNS2_18TensorIteratorBaseEENKUlvE_clEvENKUlvE1_clEvEUlNS_7complexINS_4HalfEEEE_RSt5tupleIJSA_EEEEDaOT_OT0_.uses_vcc)
	.set _ZN2at6native29vectorized_elementwise_kernelILi16EZZZNS0_16asin_kernel_cudaERNS_18TensorIteratorBaseEENKUlvE_clEvENKUlvE1_clEvEUlN3c107complexINS6_4HalfEEEE_St5arrayIPcLm2EEEEviT0_T1_.uses_flat_scratch, or(1, .L_ZN3c104guts5applyIRZZZN2at6native16asin_kernel_cudaERNS2_18TensorIteratorBaseEENKUlvE_clEvENKUlvE1_clEvEUlNS_7complexINS_4HalfEEEE_RSt5tupleIJSA_EEEEDaOT_OT0_.uses_flat_scratch)
	.set _ZN2at6native29vectorized_elementwise_kernelILi16EZZZNS0_16asin_kernel_cudaERNS_18TensorIteratorBaseEENKUlvE_clEvENKUlvE1_clEvEUlN3c107complexINS6_4HalfEEEE_St5arrayIPcLm2EEEEviT0_T1_.has_dyn_sized_stack, or(0, .L_ZN3c104guts5applyIRZZZN2at6native16asin_kernel_cudaERNS2_18TensorIteratorBaseEENKUlvE_clEvENKUlvE1_clEvEUlNS_7complexINS_4HalfEEEE_RSt5tupleIJSA_EEEEDaOT_OT0_.has_dyn_sized_stack)
	.set _ZN2at6native29vectorized_elementwise_kernelILi16EZZZNS0_16asin_kernel_cudaERNS_18TensorIteratorBaseEENKUlvE_clEvENKUlvE1_clEvEUlN3c107complexINS6_4HalfEEEE_St5arrayIPcLm2EEEEviT0_T1_.has_recursion, or(0, .L_ZN3c104guts5applyIRZZZN2at6native16asin_kernel_cudaERNS2_18TensorIteratorBaseEENKUlvE_clEvENKUlvE1_clEvEUlNS_7complexINS_4HalfEEEE_RSt5tupleIJSA_EEEEDaOT_OT0_.has_recursion)
	.set _ZN2at6native29vectorized_elementwise_kernelILi16EZZZNS0_16asin_kernel_cudaERNS_18TensorIteratorBaseEENKUlvE_clEvENKUlvE1_clEvEUlN3c107complexINS6_4HalfEEEE_St5arrayIPcLm2EEEEviT0_T1_.has_indirect_call, or(0, .L_ZN3c104guts5applyIRZZZN2at6native16asin_kernel_cudaERNS2_18TensorIteratorBaseEENKUlvE_clEvENKUlvE1_clEvEUlNS_7complexINS_4HalfEEEE_RSt5tupleIJSA_EEEEDaOT_OT0_.has_indirect_call)
	.section	.AMDGPU.csdata,"",@progbits
; Kernel info:
; codeLenInByte = 908
; TotalNumSgprs: 46
; NumVgprs: 29
; ScratchSize: 12
; MemoryBound: 0
; FloatMode: 240
; IeeeMode: 1
; LDSByteSize: 0 bytes/workgroup (compile time only)
; SGPRBlocks: 5
; VGPRBlocks: 7
; NumSGPRsForWavesPerEU: 46
; NumVGPRsForWavesPerEU: 29
; Occupancy: 8
; WaveLimiterHint : 0
; COMPUTE_PGM_RSRC2:SCRATCH_EN: 1
; COMPUTE_PGM_RSRC2:USER_SGPR: 8
; COMPUTE_PGM_RSRC2:TRAP_HANDLER: 0
; COMPUTE_PGM_RSRC2:TGID_X_EN: 1
; COMPUTE_PGM_RSRC2:TGID_Y_EN: 0
; COMPUTE_PGM_RSRC2:TGID_Z_EN: 0
; COMPUTE_PGM_RSRC2:TIDIG_COMP_CNT: 0
	.section	.text._ZN2at6native29vectorized_elementwise_kernelILi8EZZZNS0_16asin_kernel_cudaERNS_18TensorIteratorBaseEENKUlvE_clEvENKUlvE1_clEvEUlN3c107complexINS6_4HalfEEEE_St5arrayIPcLm2EEEEviT0_T1_,"axG",@progbits,_ZN2at6native29vectorized_elementwise_kernelILi8EZZZNS0_16asin_kernel_cudaERNS_18TensorIteratorBaseEENKUlvE_clEvENKUlvE1_clEvEUlN3c107complexINS6_4HalfEEEE_St5arrayIPcLm2EEEEviT0_T1_,comdat
	.globl	_ZN2at6native29vectorized_elementwise_kernelILi8EZZZNS0_16asin_kernel_cudaERNS_18TensorIteratorBaseEENKUlvE_clEvENKUlvE1_clEvEUlN3c107complexINS6_4HalfEEEE_St5arrayIPcLm2EEEEviT0_T1_ ; -- Begin function _ZN2at6native29vectorized_elementwise_kernelILi8EZZZNS0_16asin_kernel_cudaERNS_18TensorIteratorBaseEENKUlvE_clEvENKUlvE1_clEvEUlN3c107complexINS6_4HalfEEEE_St5arrayIPcLm2EEEEviT0_T1_
	.p2align	8
	.type	_ZN2at6native29vectorized_elementwise_kernelILi8EZZZNS0_16asin_kernel_cudaERNS_18TensorIteratorBaseEENKUlvE_clEvENKUlvE1_clEvEUlN3c107complexINS6_4HalfEEEE_St5arrayIPcLm2EEEEviT0_T1_,@function
_ZN2at6native29vectorized_elementwise_kernelILi8EZZZNS0_16asin_kernel_cudaERNS_18TensorIteratorBaseEENKUlvE_clEvENKUlvE1_clEvEUlN3c107complexINS6_4HalfEEEE_St5arrayIPcLm2EEEEviT0_T1_: ; @_ZN2at6native29vectorized_elementwise_kernelILi8EZZZNS0_16asin_kernel_cudaERNS_18TensorIteratorBaseEENKUlvE_clEvENKUlvE1_clEvEUlN3c107complexINS6_4HalfEEEE_St5arrayIPcLm2EEEEviT0_T1_
; %bb.0:
	s_add_u32 flat_scratch_lo, s6, s9
	s_load_dword s6, s[4:5], 0x0
	s_load_dwordx4 s[36:39], s[4:5], 0x8
	s_addc_u32 flat_scratch_hi, s7, 0
	s_add_u32 s0, s0, s9
	s_addc_u32 s1, s1, 0
	s_lshl_b32 s28, s8, 10
	s_waitcnt lgkmcnt(0)
	s_sub_i32 s33, s6, s28
	v_mov_b32_e32 v20, v0
	s_cmpk_gt_i32 s33, 0x3ff
	s_mov_b64 s[4:5], -1
	s_mov_b32 s32, 0
	s_cbranch_scc0 .LBB23_2
; %bb.1:
	s_ashr_i32 s29, s28, 31
	s_lshl_b64 s[26:27], s[28:29], 2
	s_add_u32 s4, s38, s26
	s_addc_u32 s5, s39, s27
	v_lshlrev_b32_e32 v25, 4, v20
	global_load_dwordx4 v[21:24], v25, s[4:5]
	s_getpc_b64 s[34:35]
	s_add_u32 s34, s34, _ZN3c104guts5applyIRZZZN2at6native16asin_kernel_cudaERNS2_18TensorIteratorBaseEENKUlvE_clEvENKUlvE1_clEvEUlNS_7complexINS_4HalfEEEE_RSt5tupleIJSA_EEEEDaOT_OT0_@rel32@lo+4
	s_addc_u32 s35, s35, _ZN3c104guts5applyIRZZZN2at6native16asin_kernel_cudaERNS2_18TensorIteratorBaseEENKUlvE_clEvENKUlvE1_clEvEUlNS_7complexINS_4HalfEEEE_RSt5tupleIJSA_EEEEDaOT_OT0_@rel32@hi+12
	s_waitcnt vmcnt(0)
	v_mov_b32_e32 v0, v21
	s_swappc_b64 s[30:31], s[34:35]
	v_mov_b32_e32 v21, v0
	v_mov_b32_e32 v0, v22
	s_swappc_b64 s[30:31], s[34:35]
	v_mov_b32_e32 v22, v0
	v_mov_b32_e32 v0, v23
	s_swappc_b64 s[30:31], s[34:35]
	v_mov_b32_e32 v23, v0
	v_mov_b32_e32 v0, v24
	s_swappc_b64 s[30:31], s[34:35]
	s_add_u32 s4, s36, s26
	v_mov_b32_e32 v24, v0
	s_addc_u32 s5, s37, s27
	global_store_dwordx4 v25, v[21:24], s[4:5]
	s_mov_b64 s[4:5], 0
.LBB23_2:
	s_andn2_b64 vcc, exec, s[4:5]
	s_cbranch_vccnz .LBB23_23
; %bb.3:
	v_cmp_gt_i32_e64 s[26:27], s33, v20
	v_mov_b32_e32 v21, 0
	v_or_b32_e32 v25, s28, v20
	v_mov_b32_e32 v27, 0
	v_mov_b32_e32 v26, 0
	;; [unrolled: 1-line block ×3, first 2 shown]
	s_and_saveexec_b64 s[4:5], s[26:27]
	s_cbranch_execz .LBB23_11
; %bb.4:
	v_mov_b32_e32 v26, 0
	v_lshlrev_b64 v[0:1], 2, v[25:26]
	v_mov_b32_e32 v2, s39
	v_add_co_u32_e32 v0, vcc, s38, v0
	v_addc_co_u32_e32 v1, vcc, v2, v1, vcc
	global_load_dword v0, v[0:1], off
	v_or_b32_e32 v1, 0x100, v20
	v_cmp_gt_u32_e32 vcc, s33, v1
	v_mov_b32_e32 v27, v26
	v_mov_b32_e32 v21, v26
	s_and_saveexec_b64 s[6:7], vcc
	s_cbranch_execz .LBB23_10
; %bb.5:
	v_add_u32_e32 v26, s28, v20
	v_mov_b32_e32 v27, 0
	v_lshlrev_b64 v[1:2], 2, v[26:27]
	v_mov_b32_e32 v3, s39
	v_add_co_u32_e32 v1, vcc, s38, v1
	v_addc_co_u32_e32 v2, vcc, v3, v2, vcc
	global_load_dword v26, v[1:2], off offset:1024
	v_or_b32_e32 v3, 0x200, v20
	v_cmp_gt_u32_e32 vcc, s33, v3
	v_mov_b32_e32 v21, v27
	s_and_saveexec_b64 s[8:9], vcc
	s_cbranch_execz .LBB23_9
; %bb.6:
	global_load_dword v27, v[1:2], off offset:2048
	v_or_b32_e32 v3, 0x300, v20
	v_cmp_gt_u32_e32 vcc, s33, v3
	v_mov_b32_e32 v21, 0
	s_and_saveexec_b64 s[10:11], vcc
	s_cbranch_execz .LBB23_8
; %bb.7:
	global_load_dword v21, v[1:2], off offset:3072
.LBB23_8:
	s_or_b64 exec, exec, s[10:11]
.LBB23_9:
	s_or_b64 exec, exec, s[8:9]
.LBB23_10:
	s_or_b64 exec, exec, s[6:7]
.LBB23_11:
	s_or_b64 exec, exec, s[4:5]
                                        ; implicit-def: $vgpr24
	s_and_saveexec_b64 s[34:35], s[26:27]
	s_cbranch_execz .LBB23_13
; %bb.12:
	s_getpc_b64 s[4:5]
	s_add_u32 s4, s4, _ZN3c104guts5applyIRZZZN2at6native16asin_kernel_cudaERNS2_18TensorIteratorBaseEENKUlvE_clEvENKUlvE1_clEvEUlNS_7complexINS_4HalfEEEE_RSt5tupleIJSA_EEEEDaOT_OT0_@rel32@lo+4
	s_addc_u32 s5, s5, _ZN3c104guts5applyIRZZZN2at6native16asin_kernel_cudaERNS2_18TensorIteratorBaseEENKUlvE_clEvENKUlvE1_clEvEUlNS_7complexINS_4HalfEEEE_RSt5tupleIJSA_EEEEDaOT_OT0_@rel32@hi+12
	s_swappc_b64 s[30:31], s[4:5]
	v_mov_b32_e32 v24, v0
.LBB23_13:
	s_or_b64 exec, exec, s[34:35]
	v_or_b32_e32 v28, 0x100, v20
	v_cmp_gt_i32_e32 vcc, s33, v28
                                        ; implicit-def: $vgpr23
	s_and_saveexec_b64 s[34:35], vcc
	s_cbranch_execz .LBB23_15
; %bb.14:
	s_getpc_b64 s[4:5]
	s_add_u32 s4, s4, _ZN3c104guts5applyIRZZZN2at6native16asin_kernel_cudaERNS2_18TensorIteratorBaseEENKUlvE_clEvENKUlvE1_clEvEUlNS_7complexINS_4HalfEEEE_RSt5tupleIJSA_EEEEDaOT_OT0_@rel32@lo+4
	s_addc_u32 s5, s5, _ZN3c104guts5applyIRZZZN2at6native16asin_kernel_cudaERNS2_18TensorIteratorBaseEENKUlvE_clEvENKUlvE1_clEvEUlNS_7complexINS_4HalfEEEE_RSt5tupleIJSA_EEEEDaOT_OT0_@rel32@hi+12
	s_waitcnt vmcnt(0)
	v_mov_b32_e32 v0, v26
	s_swappc_b64 s[30:31], s[4:5]
	v_mov_b32_e32 v23, v0
.LBB23_15:
	s_or_b64 exec, exec, s[34:35]
	s_waitcnt vmcnt(0)
	v_or_b32_e32 v0, 0x200, v20
	v_cmp_gt_i32_e32 vcc, s33, v0
                                        ; implicit-def: $vgpr22
	s_and_saveexec_b64 s[34:35], vcc
	s_cbranch_execz .LBB23_17
; %bb.16:
	s_getpc_b64 s[4:5]
	s_add_u32 s4, s4, _ZN3c104guts5applyIRZZZN2at6native16asin_kernel_cudaERNS2_18TensorIteratorBaseEENKUlvE_clEvENKUlvE1_clEvEUlNS_7complexINS_4HalfEEEE_RSt5tupleIJSA_EEEEDaOT_OT0_@rel32@lo+4
	s_addc_u32 s5, s5, _ZN3c104guts5applyIRZZZN2at6native16asin_kernel_cudaERNS2_18TensorIteratorBaseEENKUlvE_clEvENKUlvE1_clEvEUlNS_7complexINS_4HalfEEEE_RSt5tupleIJSA_EEEEDaOT_OT0_@rel32@hi+12
	v_mov_b32_e32 v0, v27
	s_swappc_b64 s[30:31], s[4:5]
	v_mov_b32_e32 v22, v0
.LBB23_17:
	s_or_b64 exec, exec, s[34:35]
	v_or_b32_e32 v0, 0x300, v20
	v_cmp_gt_i32_e32 vcc, s33, v0
                                        ; implicit-def: $vgpr0
	s_and_saveexec_b64 s[34:35], vcc
	s_cbranch_execnz .LBB23_24
; %bb.18:
	s_or_b64 exec, exec, s[34:35]
	s_and_saveexec_b64 s[4:5], s[26:27]
	s_xor_b64 s[4:5], exec, s[4:5]
	s_cbranch_execnz .LBB23_25
.LBB23_19:
	s_or_b64 exec, exec, s[4:5]
	v_cmp_gt_i32_e32 vcc, s33, v20
	s_and_saveexec_b64 s[4:5], vcc
	s_cbranch_execnz .LBB23_26
.LBB23_20:
	s_or_b64 exec, exec, s[4:5]
	v_cmp_gt_i32_e32 vcc, s33, v20
	s_and_saveexec_b64 s[4:5], vcc
	s_cbranch_execnz .LBB23_27
.LBB23_21:
	s_or_b64 exec, exec, s[4:5]
	v_cmp_gt_i32_e32 vcc, s33, v20
	s_and_saveexec_b64 s[4:5], vcc
	s_cbranch_execz .LBB23_23
.LBB23_22:
	v_add_u32_e32 v1, s28, v20
	v_mov_b32_e32 v2, 0
	v_lshlrev_b64 v[1:2], 2, v[1:2]
	v_mov_b32_e32 v3, s37
	v_add_co_u32_e32 v1, vcc, s36, v1
	v_addc_co_u32_e32 v2, vcc, v3, v2, vcc
	global_store_dword v[1:2], v0, off
.LBB23_23:
	s_endpgm
.LBB23_24:
	s_getpc_b64 s[4:5]
	s_add_u32 s4, s4, _ZN3c104guts5applyIRZZZN2at6native16asin_kernel_cudaERNS2_18TensorIteratorBaseEENKUlvE_clEvENKUlvE1_clEvEUlNS_7complexINS_4HalfEEEE_RSt5tupleIJSA_EEEEDaOT_OT0_@rel32@lo+4
	s_addc_u32 s5, s5, _ZN3c104guts5applyIRZZZN2at6native16asin_kernel_cudaERNS2_18TensorIteratorBaseEENKUlvE_clEvENKUlvE1_clEvEUlNS_7complexINS_4HalfEEEE_RSt5tupleIJSA_EEEEDaOT_OT0_@rel32@hi+12
	v_mov_b32_e32 v0, v21
	s_swappc_b64 s[30:31], s[4:5]
	s_or_b64 exec, exec, s[34:35]
	s_and_saveexec_b64 s[4:5], s[26:27]
	s_xor_b64 s[4:5], exec, s[4:5]
	s_cbranch_execz .LBB23_19
.LBB23_25:
	v_mov_b32_e32 v26, 0
	v_lshlrev_b64 v[1:2], 2, v[25:26]
	v_mov_b32_e32 v3, s37
	v_add_co_u32_e32 v1, vcc, s36, v1
	v_addc_co_u32_e32 v2, vcc, v3, v2, vcc
	v_mov_b32_e32 v20, v28
	global_store_dword v[1:2], v24, off
	s_or_b64 exec, exec, s[4:5]
	v_cmp_gt_i32_e32 vcc, s33, v20
	s_and_saveexec_b64 s[4:5], vcc
	s_cbranch_execz .LBB23_20
.LBB23_26:
	v_add_u32_e32 v1, s28, v20
	v_mov_b32_e32 v2, 0
	v_lshlrev_b64 v[1:2], 2, v[1:2]
	v_mov_b32_e32 v3, s37
	v_add_co_u32_e32 v1, vcc, s36, v1
	v_addc_co_u32_e32 v2, vcc, v3, v2, vcc
	v_add_u32_e32 v20, 0x100, v20
	global_store_dword v[1:2], v23, off
	s_or_b64 exec, exec, s[4:5]
	v_cmp_gt_i32_e32 vcc, s33, v20
	s_and_saveexec_b64 s[4:5], vcc
	s_cbranch_execz .LBB23_21
.LBB23_27:
	v_add_u32_e32 v1, s28, v20
	v_mov_b32_e32 v2, 0
	v_lshlrev_b64 v[1:2], 2, v[1:2]
	v_mov_b32_e32 v3, s37
	v_add_co_u32_e32 v1, vcc, s36, v1
	v_addc_co_u32_e32 v2, vcc, v3, v2, vcc
	v_add_u32_e32 v20, 0x100, v20
	global_store_dword v[1:2], v22, off
	s_or_b64 exec, exec, s[4:5]
	v_cmp_gt_i32_e32 vcc, s33, v20
	s_and_saveexec_b64 s[4:5], vcc
	s_cbranch_execnz .LBB23_22
	s_branch .LBB23_23
	.section	.rodata,"a",@progbits
	.p2align	6, 0x0
	.amdhsa_kernel _ZN2at6native29vectorized_elementwise_kernelILi8EZZZNS0_16asin_kernel_cudaERNS_18TensorIteratorBaseEENKUlvE_clEvENKUlvE1_clEvEUlN3c107complexINS6_4HalfEEEE_St5arrayIPcLm2EEEEviT0_T1_
		.amdhsa_group_segment_fixed_size 0
		.amdhsa_private_segment_fixed_size 12
		.amdhsa_kernarg_size 24
		.amdhsa_user_sgpr_count 8
		.amdhsa_user_sgpr_private_segment_buffer 1
		.amdhsa_user_sgpr_dispatch_ptr 0
		.amdhsa_user_sgpr_queue_ptr 0
		.amdhsa_user_sgpr_kernarg_segment_ptr 1
		.amdhsa_user_sgpr_dispatch_id 0
		.amdhsa_user_sgpr_flat_scratch_init 1
		.amdhsa_user_sgpr_private_segment_size 0
		.amdhsa_uses_dynamic_stack 0
		.amdhsa_system_sgpr_private_segment_wavefront_offset 1
		.amdhsa_system_sgpr_workgroup_id_x 1
		.amdhsa_system_sgpr_workgroup_id_y 0
		.amdhsa_system_sgpr_workgroup_id_z 0
		.amdhsa_system_sgpr_workgroup_info 0
		.amdhsa_system_vgpr_workitem_id 0
		.amdhsa_next_free_vgpr 29
		.amdhsa_next_free_sgpr 40
		.amdhsa_reserve_vcc 1
		.amdhsa_reserve_flat_scratch 1
		.amdhsa_float_round_mode_32 0
		.amdhsa_float_round_mode_16_64 0
		.amdhsa_float_denorm_mode_32 3
		.amdhsa_float_denorm_mode_16_64 3
		.amdhsa_dx10_clamp 1
		.amdhsa_ieee_mode 1
		.amdhsa_fp16_overflow 0
		.amdhsa_exception_fp_ieee_invalid_op 0
		.amdhsa_exception_fp_denorm_src 0
		.amdhsa_exception_fp_ieee_div_zero 0
		.amdhsa_exception_fp_ieee_overflow 0
		.amdhsa_exception_fp_ieee_underflow 0
		.amdhsa_exception_fp_ieee_inexact 0
		.amdhsa_exception_int_div_zero 0
	.end_amdhsa_kernel
	.section	.text._ZN2at6native29vectorized_elementwise_kernelILi8EZZZNS0_16asin_kernel_cudaERNS_18TensorIteratorBaseEENKUlvE_clEvENKUlvE1_clEvEUlN3c107complexINS6_4HalfEEEE_St5arrayIPcLm2EEEEviT0_T1_,"axG",@progbits,_ZN2at6native29vectorized_elementwise_kernelILi8EZZZNS0_16asin_kernel_cudaERNS_18TensorIteratorBaseEENKUlvE_clEvENKUlvE1_clEvEUlN3c107complexINS6_4HalfEEEE_St5arrayIPcLm2EEEEviT0_T1_,comdat
.Lfunc_end23:
	.size	_ZN2at6native29vectorized_elementwise_kernelILi8EZZZNS0_16asin_kernel_cudaERNS_18TensorIteratorBaseEENKUlvE_clEvENKUlvE1_clEvEUlN3c107complexINS6_4HalfEEEE_St5arrayIPcLm2EEEEviT0_T1_, .Lfunc_end23-_ZN2at6native29vectorized_elementwise_kernelILi8EZZZNS0_16asin_kernel_cudaERNS_18TensorIteratorBaseEENKUlvE_clEvENKUlvE1_clEvEUlN3c107complexINS6_4HalfEEEE_St5arrayIPcLm2EEEEviT0_T1_
                                        ; -- End function
	.set _ZN2at6native29vectorized_elementwise_kernelILi8EZZZNS0_16asin_kernel_cudaERNS_18TensorIteratorBaseEENKUlvE_clEvENKUlvE1_clEvEUlN3c107complexINS6_4HalfEEEE_St5arrayIPcLm2EEEEviT0_T1_.num_vgpr, max(29, .L_ZN3c104guts5applyIRZZZN2at6native16asin_kernel_cudaERNS2_18TensorIteratorBaseEENKUlvE_clEvENKUlvE1_clEvEUlNS_7complexINS_4HalfEEEE_RSt5tupleIJSA_EEEEDaOT_OT0_.num_vgpr)
	.set _ZN2at6native29vectorized_elementwise_kernelILi8EZZZNS0_16asin_kernel_cudaERNS_18TensorIteratorBaseEENKUlvE_clEvENKUlvE1_clEvEUlN3c107complexINS6_4HalfEEEE_St5arrayIPcLm2EEEEviT0_T1_.num_agpr, max(0, .L_ZN3c104guts5applyIRZZZN2at6native16asin_kernel_cudaERNS2_18TensorIteratorBaseEENKUlvE_clEvENKUlvE1_clEvEUlNS_7complexINS_4HalfEEEE_RSt5tupleIJSA_EEEEDaOT_OT0_.num_agpr)
	.set _ZN2at6native29vectorized_elementwise_kernelILi8EZZZNS0_16asin_kernel_cudaERNS_18TensorIteratorBaseEENKUlvE_clEvENKUlvE1_clEvEUlN3c107complexINS6_4HalfEEEE_St5arrayIPcLm2EEEEviT0_T1_.numbered_sgpr, max(40, .L_ZN3c104guts5applyIRZZZN2at6native16asin_kernel_cudaERNS2_18TensorIteratorBaseEENKUlvE_clEvENKUlvE1_clEvEUlNS_7complexINS_4HalfEEEE_RSt5tupleIJSA_EEEEDaOT_OT0_.numbered_sgpr)
	.set _ZN2at6native29vectorized_elementwise_kernelILi8EZZZNS0_16asin_kernel_cudaERNS_18TensorIteratorBaseEENKUlvE_clEvENKUlvE1_clEvEUlN3c107complexINS6_4HalfEEEE_St5arrayIPcLm2EEEEviT0_T1_.num_named_barrier, max(0, .L_ZN3c104guts5applyIRZZZN2at6native16asin_kernel_cudaERNS2_18TensorIteratorBaseEENKUlvE_clEvENKUlvE1_clEvEUlNS_7complexINS_4HalfEEEE_RSt5tupleIJSA_EEEEDaOT_OT0_.num_named_barrier)
	.set _ZN2at6native29vectorized_elementwise_kernelILi8EZZZNS0_16asin_kernel_cudaERNS_18TensorIteratorBaseEENKUlvE_clEvENKUlvE1_clEvEUlN3c107complexINS6_4HalfEEEE_St5arrayIPcLm2EEEEviT0_T1_.private_seg_size, 0+max(.L_ZN3c104guts5applyIRZZZN2at6native16asin_kernel_cudaERNS2_18TensorIteratorBaseEENKUlvE_clEvENKUlvE1_clEvEUlNS_7complexINS_4HalfEEEE_RSt5tupleIJSA_EEEEDaOT_OT0_.private_seg_size)
	.set _ZN2at6native29vectorized_elementwise_kernelILi8EZZZNS0_16asin_kernel_cudaERNS_18TensorIteratorBaseEENKUlvE_clEvENKUlvE1_clEvEUlN3c107complexINS6_4HalfEEEE_St5arrayIPcLm2EEEEviT0_T1_.uses_vcc, or(1, .L_ZN3c104guts5applyIRZZZN2at6native16asin_kernel_cudaERNS2_18TensorIteratorBaseEENKUlvE_clEvENKUlvE1_clEvEUlNS_7complexINS_4HalfEEEE_RSt5tupleIJSA_EEEEDaOT_OT0_.uses_vcc)
	.set _ZN2at6native29vectorized_elementwise_kernelILi8EZZZNS0_16asin_kernel_cudaERNS_18TensorIteratorBaseEENKUlvE_clEvENKUlvE1_clEvEUlN3c107complexINS6_4HalfEEEE_St5arrayIPcLm2EEEEviT0_T1_.uses_flat_scratch, or(1, .L_ZN3c104guts5applyIRZZZN2at6native16asin_kernel_cudaERNS2_18TensorIteratorBaseEENKUlvE_clEvENKUlvE1_clEvEUlNS_7complexINS_4HalfEEEE_RSt5tupleIJSA_EEEEDaOT_OT0_.uses_flat_scratch)
	.set _ZN2at6native29vectorized_elementwise_kernelILi8EZZZNS0_16asin_kernel_cudaERNS_18TensorIteratorBaseEENKUlvE_clEvENKUlvE1_clEvEUlN3c107complexINS6_4HalfEEEE_St5arrayIPcLm2EEEEviT0_T1_.has_dyn_sized_stack, or(0, .L_ZN3c104guts5applyIRZZZN2at6native16asin_kernel_cudaERNS2_18TensorIteratorBaseEENKUlvE_clEvENKUlvE1_clEvEUlNS_7complexINS_4HalfEEEE_RSt5tupleIJSA_EEEEDaOT_OT0_.has_dyn_sized_stack)
	.set _ZN2at6native29vectorized_elementwise_kernelILi8EZZZNS0_16asin_kernel_cudaERNS_18TensorIteratorBaseEENKUlvE_clEvENKUlvE1_clEvEUlN3c107complexINS6_4HalfEEEE_St5arrayIPcLm2EEEEviT0_T1_.has_recursion, or(0, .L_ZN3c104guts5applyIRZZZN2at6native16asin_kernel_cudaERNS2_18TensorIteratorBaseEENKUlvE_clEvENKUlvE1_clEvEUlNS_7complexINS_4HalfEEEE_RSt5tupleIJSA_EEEEDaOT_OT0_.has_recursion)
	.set _ZN2at6native29vectorized_elementwise_kernelILi8EZZZNS0_16asin_kernel_cudaERNS_18TensorIteratorBaseEENKUlvE_clEvENKUlvE1_clEvEUlN3c107complexINS6_4HalfEEEE_St5arrayIPcLm2EEEEviT0_T1_.has_indirect_call, or(0, .L_ZN3c104guts5applyIRZZZN2at6native16asin_kernel_cudaERNS2_18TensorIteratorBaseEENKUlvE_clEvENKUlvE1_clEvEUlNS_7complexINS_4HalfEEEE_RSt5tupleIJSA_EEEEDaOT_OT0_.has_indirect_call)
	.section	.AMDGPU.csdata,"",@progbits
; Kernel info:
; codeLenInByte = 908
; TotalNumSgprs: 46
; NumVgprs: 29
; ScratchSize: 12
; MemoryBound: 0
; FloatMode: 240
; IeeeMode: 1
; LDSByteSize: 0 bytes/workgroup (compile time only)
; SGPRBlocks: 5
; VGPRBlocks: 7
; NumSGPRsForWavesPerEU: 46
; NumVGPRsForWavesPerEU: 29
; Occupancy: 8
; WaveLimiterHint : 0
; COMPUTE_PGM_RSRC2:SCRATCH_EN: 1
; COMPUTE_PGM_RSRC2:USER_SGPR: 8
; COMPUTE_PGM_RSRC2:TRAP_HANDLER: 0
; COMPUTE_PGM_RSRC2:TGID_X_EN: 1
; COMPUTE_PGM_RSRC2:TGID_Y_EN: 0
; COMPUTE_PGM_RSRC2:TGID_Z_EN: 0
; COMPUTE_PGM_RSRC2:TIDIG_COMP_CNT: 0
	.section	.text._ZN2at6native29vectorized_elementwise_kernelILi4EZZZNS0_16asin_kernel_cudaERNS_18TensorIteratorBaseEENKUlvE_clEvENKUlvE1_clEvEUlN3c107complexINS6_4HalfEEEE_St5arrayIPcLm2EEEEviT0_T1_,"axG",@progbits,_ZN2at6native29vectorized_elementwise_kernelILi4EZZZNS0_16asin_kernel_cudaERNS_18TensorIteratorBaseEENKUlvE_clEvENKUlvE1_clEvEUlN3c107complexINS6_4HalfEEEE_St5arrayIPcLm2EEEEviT0_T1_,comdat
	.globl	_ZN2at6native29vectorized_elementwise_kernelILi4EZZZNS0_16asin_kernel_cudaERNS_18TensorIteratorBaseEENKUlvE_clEvENKUlvE1_clEvEUlN3c107complexINS6_4HalfEEEE_St5arrayIPcLm2EEEEviT0_T1_ ; -- Begin function _ZN2at6native29vectorized_elementwise_kernelILi4EZZZNS0_16asin_kernel_cudaERNS_18TensorIteratorBaseEENKUlvE_clEvENKUlvE1_clEvEUlN3c107complexINS6_4HalfEEEE_St5arrayIPcLm2EEEEviT0_T1_
	.p2align	8
	.type	_ZN2at6native29vectorized_elementwise_kernelILi4EZZZNS0_16asin_kernel_cudaERNS_18TensorIteratorBaseEENKUlvE_clEvENKUlvE1_clEvEUlN3c107complexINS6_4HalfEEEE_St5arrayIPcLm2EEEEviT0_T1_,@function
_ZN2at6native29vectorized_elementwise_kernelILi4EZZZNS0_16asin_kernel_cudaERNS_18TensorIteratorBaseEENKUlvE_clEvENKUlvE1_clEvEUlN3c107complexINS6_4HalfEEEE_St5arrayIPcLm2EEEEviT0_T1_: ; @_ZN2at6native29vectorized_elementwise_kernelILi4EZZZNS0_16asin_kernel_cudaERNS_18TensorIteratorBaseEENKUlvE_clEvENKUlvE1_clEvEUlN3c107complexINS6_4HalfEEEE_St5arrayIPcLm2EEEEviT0_T1_
; %bb.0:
	s_add_u32 flat_scratch_lo, s6, s9
	s_load_dword s6, s[4:5], 0x0
	s_load_dwordx4 s[36:39], s[4:5], 0x8
	s_addc_u32 flat_scratch_hi, s7, 0
	s_add_u32 s0, s0, s9
	s_addc_u32 s1, s1, 0
	s_lshl_b32 s28, s8, 10
	s_waitcnt lgkmcnt(0)
	s_sub_i32 s33, s6, s28
	v_mov_b32_e32 v20, v0
	s_cmpk_gt_i32 s33, 0x3ff
	s_mov_b64 s[4:5], -1
	s_mov_b32 s32, 0
	s_cbranch_scc0 .LBB24_2
; %bb.1:
	s_ashr_i32 s29, s28, 31
	s_lshl_b64 s[26:27], s[28:29], 2
	s_add_u32 s4, s38, s26
	s_addc_u32 s5, s39, s27
	v_lshlrev_b32_e32 v25, 4, v20
	global_load_dwordx4 v[21:24], v25, s[4:5]
	s_getpc_b64 s[34:35]
	s_add_u32 s34, s34, _ZN3c104guts5applyIRZZZN2at6native16asin_kernel_cudaERNS2_18TensorIteratorBaseEENKUlvE_clEvENKUlvE1_clEvEUlNS_7complexINS_4HalfEEEE_RSt5tupleIJSA_EEEEDaOT_OT0_@rel32@lo+4
	s_addc_u32 s35, s35, _ZN3c104guts5applyIRZZZN2at6native16asin_kernel_cudaERNS2_18TensorIteratorBaseEENKUlvE_clEvENKUlvE1_clEvEUlNS_7complexINS_4HalfEEEE_RSt5tupleIJSA_EEEEDaOT_OT0_@rel32@hi+12
	s_waitcnt vmcnt(0)
	v_mov_b32_e32 v0, v21
	s_swappc_b64 s[30:31], s[34:35]
	v_mov_b32_e32 v21, v0
	v_mov_b32_e32 v0, v22
	s_swappc_b64 s[30:31], s[34:35]
	v_mov_b32_e32 v22, v0
	;; [unrolled: 3-line block ×3, first 2 shown]
	v_mov_b32_e32 v0, v24
	s_swappc_b64 s[30:31], s[34:35]
	s_add_u32 s4, s36, s26
	v_mov_b32_e32 v24, v0
	s_addc_u32 s5, s37, s27
	global_store_dwordx4 v25, v[21:24], s[4:5]
	s_mov_b64 s[4:5], 0
.LBB24_2:
	s_andn2_b64 vcc, exec, s[4:5]
	s_cbranch_vccnz .LBB24_23
; %bb.3:
	v_cmp_gt_i32_e64 s[26:27], s33, v20
	v_mov_b32_e32 v21, 0
	v_or_b32_e32 v25, s28, v20
	v_mov_b32_e32 v27, 0
	v_mov_b32_e32 v26, 0
	;; [unrolled: 1-line block ×3, first 2 shown]
	s_and_saveexec_b64 s[4:5], s[26:27]
	s_cbranch_execz .LBB24_11
; %bb.4:
	v_mov_b32_e32 v26, 0
	v_lshlrev_b64 v[0:1], 2, v[25:26]
	v_mov_b32_e32 v2, s39
	v_add_co_u32_e32 v0, vcc, s38, v0
	v_addc_co_u32_e32 v1, vcc, v2, v1, vcc
	global_load_dword v0, v[0:1], off
	v_or_b32_e32 v1, 0x100, v20
	v_cmp_gt_u32_e32 vcc, s33, v1
	v_mov_b32_e32 v27, v26
	v_mov_b32_e32 v21, v26
	s_and_saveexec_b64 s[6:7], vcc
	s_cbranch_execz .LBB24_10
; %bb.5:
	v_add_u32_e32 v26, s28, v20
	v_mov_b32_e32 v27, 0
	v_lshlrev_b64 v[1:2], 2, v[26:27]
	v_mov_b32_e32 v3, s39
	v_add_co_u32_e32 v1, vcc, s38, v1
	v_addc_co_u32_e32 v2, vcc, v3, v2, vcc
	global_load_dword v26, v[1:2], off offset:1024
	v_or_b32_e32 v3, 0x200, v20
	v_cmp_gt_u32_e32 vcc, s33, v3
	v_mov_b32_e32 v21, v27
	s_and_saveexec_b64 s[8:9], vcc
	s_cbranch_execz .LBB24_9
; %bb.6:
	global_load_dword v27, v[1:2], off offset:2048
	v_or_b32_e32 v3, 0x300, v20
	v_cmp_gt_u32_e32 vcc, s33, v3
	v_mov_b32_e32 v21, 0
	s_and_saveexec_b64 s[10:11], vcc
	s_cbranch_execz .LBB24_8
; %bb.7:
	global_load_dword v21, v[1:2], off offset:3072
.LBB24_8:
	s_or_b64 exec, exec, s[10:11]
.LBB24_9:
	s_or_b64 exec, exec, s[8:9]
.LBB24_10:
	s_or_b64 exec, exec, s[6:7]
.LBB24_11:
	s_or_b64 exec, exec, s[4:5]
                                        ; implicit-def: $vgpr24
	s_and_saveexec_b64 s[34:35], s[26:27]
	s_cbranch_execz .LBB24_13
; %bb.12:
	s_getpc_b64 s[4:5]
	s_add_u32 s4, s4, _ZN3c104guts5applyIRZZZN2at6native16asin_kernel_cudaERNS2_18TensorIteratorBaseEENKUlvE_clEvENKUlvE1_clEvEUlNS_7complexINS_4HalfEEEE_RSt5tupleIJSA_EEEEDaOT_OT0_@rel32@lo+4
	s_addc_u32 s5, s5, _ZN3c104guts5applyIRZZZN2at6native16asin_kernel_cudaERNS2_18TensorIteratorBaseEENKUlvE_clEvENKUlvE1_clEvEUlNS_7complexINS_4HalfEEEE_RSt5tupleIJSA_EEEEDaOT_OT0_@rel32@hi+12
	s_swappc_b64 s[30:31], s[4:5]
	v_mov_b32_e32 v24, v0
.LBB24_13:
	s_or_b64 exec, exec, s[34:35]
	v_or_b32_e32 v28, 0x100, v20
	v_cmp_gt_i32_e32 vcc, s33, v28
                                        ; implicit-def: $vgpr23
	s_and_saveexec_b64 s[34:35], vcc
	s_cbranch_execz .LBB24_15
; %bb.14:
	s_getpc_b64 s[4:5]
	s_add_u32 s4, s4, _ZN3c104guts5applyIRZZZN2at6native16asin_kernel_cudaERNS2_18TensorIteratorBaseEENKUlvE_clEvENKUlvE1_clEvEUlNS_7complexINS_4HalfEEEE_RSt5tupleIJSA_EEEEDaOT_OT0_@rel32@lo+4
	s_addc_u32 s5, s5, _ZN3c104guts5applyIRZZZN2at6native16asin_kernel_cudaERNS2_18TensorIteratorBaseEENKUlvE_clEvENKUlvE1_clEvEUlNS_7complexINS_4HalfEEEE_RSt5tupleIJSA_EEEEDaOT_OT0_@rel32@hi+12
	s_waitcnt vmcnt(0)
	v_mov_b32_e32 v0, v26
	s_swappc_b64 s[30:31], s[4:5]
	v_mov_b32_e32 v23, v0
.LBB24_15:
	s_or_b64 exec, exec, s[34:35]
	s_waitcnt vmcnt(0)
	v_or_b32_e32 v0, 0x200, v20
	v_cmp_gt_i32_e32 vcc, s33, v0
                                        ; implicit-def: $vgpr22
	s_and_saveexec_b64 s[34:35], vcc
	s_cbranch_execz .LBB24_17
; %bb.16:
	s_getpc_b64 s[4:5]
	s_add_u32 s4, s4, _ZN3c104guts5applyIRZZZN2at6native16asin_kernel_cudaERNS2_18TensorIteratorBaseEENKUlvE_clEvENKUlvE1_clEvEUlNS_7complexINS_4HalfEEEE_RSt5tupleIJSA_EEEEDaOT_OT0_@rel32@lo+4
	s_addc_u32 s5, s5, _ZN3c104guts5applyIRZZZN2at6native16asin_kernel_cudaERNS2_18TensorIteratorBaseEENKUlvE_clEvENKUlvE1_clEvEUlNS_7complexINS_4HalfEEEE_RSt5tupleIJSA_EEEEDaOT_OT0_@rel32@hi+12
	v_mov_b32_e32 v0, v27
	s_swappc_b64 s[30:31], s[4:5]
	v_mov_b32_e32 v22, v0
.LBB24_17:
	s_or_b64 exec, exec, s[34:35]
	v_or_b32_e32 v0, 0x300, v20
	v_cmp_gt_i32_e32 vcc, s33, v0
                                        ; implicit-def: $vgpr0
	s_and_saveexec_b64 s[34:35], vcc
	s_cbranch_execnz .LBB24_24
; %bb.18:
	s_or_b64 exec, exec, s[34:35]
	s_and_saveexec_b64 s[4:5], s[26:27]
	s_xor_b64 s[4:5], exec, s[4:5]
	s_cbranch_execnz .LBB24_25
.LBB24_19:
	s_or_b64 exec, exec, s[4:5]
	v_cmp_gt_i32_e32 vcc, s33, v20
	s_and_saveexec_b64 s[4:5], vcc
	s_cbranch_execnz .LBB24_26
.LBB24_20:
	s_or_b64 exec, exec, s[4:5]
	v_cmp_gt_i32_e32 vcc, s33, v20
	s_and_saveexec_b64 s[4:5], vcc
	s_cbranch_execnz .LBB24_27
.LBB24_21:
	s_or_b64 exec, exec, s[4:5]
	v_cmp_gt_i32_e32 vcc, s33, v20
	s_and_saveexec_b64 s[4:5], vcc
	s_cbranch_execz .LBB24_23
.LBB24_22:
	v_add_u32_e32 v1, s28, v20
	v_mov_b32_e32 v2, 0
	v_lshlrev_b64 v[1:2], 2, v[1:2]
	v_mov_b32_e32 v3, s37
	v_add_co_u32_e32 v1, vcc, s36, v1
	v_addc_co_u32_e32 v2, vcc, v3, v2, vcc
	global_store_dword v[1:2], v0, off
.LBB24_23:
	s_endpgm
.LBB24_24:
	s_getpc_b64 s[4:5]
	s_add_u32 s4, s4, _ZN3c104guts5applyIRZZZN2at6native16asin_kernel_cudaERNS2_18TensorIteratorBaseEENKUlvE_clEvENKUlvE1_clEvEUlNS_7complexINS_4HalfEEEE_RSt5tupleIJSA_EEEEDaOT_OT0_@rel32@lo+4
	s_addc_u32 s5, s5, _ZN3c104guts5applyIRZZZN2at6native16asin_kernel_cudaERNS2_18TensorIteratorBaseEENKUlvE_clEvENKUlvE1_clEvEUlNS_7complexINS_4HalfEEEE_RSt5tupleIJSA_EEEEDaOT_OT0_@rel32@hi+12
	v_mov_b32_e32 v0, v21
	s_swappc_b64 s[30:31], s[4:5]
	s_or_b64 exec, exec, s[34:35]
	s_and_saveexec_b64 s[4:5], s[26:27]
	s_xor_b64 s[4:5], exec, s[4:5]
	s_cbranch_execz .LBB24_19
.LBB24_25:
	v_mov_b32_e32 v26, 0
	v_lshlrev_b64 v[1:2], 2, v[25:26]
	v_mov_b32_e32 v3, s37
	v_add_co_u32_e32 v1, vcc, s36, v1
	v_addc_co_u32_e32 v2, vcc, v3, v2, vcc
	v_mov_b32_e32 v20, v28
	global_store_dword v[1:2], v24, off
	s_or_b64 exec, exec, s[4:5]
	v_cmp_gt_i32_e32 vcc, s33, v20
	s_and_saveexec_b64 s[4:5], vcc
	s_cbranch_execz .LBB24_20
.LBB24_26:
	v_add_u32_e32 v1, s28, v20
	v_mov_b32_e32 v2, 0
	v_lshlrev_b64 v[1:2], 2, v[1:2]
	v_mov_b32_e32 v3, s37
	v_add_co_u32_e32 v1, vcc, s36, v1
	v_addc_co_u32_e32 v2, vcc, v3, v2, vcc
	v_add_u32_e32 v20, 0x100, v20
	global_store_dword v[1:2], v23, off
	s_or_b64 exec, exec, s[4:5]
	v_cmp_gt_i32_e32 vcc, s33, v20
	s_and_saveexec_b64 s[4:5], vcc
	s_cbranch_execz .LBB24_21
.LBB24_27:
	v_add_u32_e32 v1, s28, v20
	v_mov_b32_e32 v2, 0
	v_lshlrev_b64 v[1:2], 2, v[1:2]
	v_mov_b32_e32 v3, s37
	v_add_co_u32_e32 v1, vcc, s36, v1
	v_addc_co_u32_e32 v2, vcc, v3, v2, vcc
	v_add_u32_e32 v20, 0x100, v20
	global_store_dword v[1:2], v22, off
	s_or_b64 exec, exec, s[4:5]
	v_cmp_gt_i32_e32 vcc, s33, v20
	s_and_saveexec_b64 s[4:5], vcc
	s_cbranch_execnz .LBB24_22
	s_branch .LBB24_23
	.section	.rodata,"a",@progbits
	.p2align	6, 0x0
	.amdhsa_kernel _ZN2at6native29vectorized_elementwise_kernelILi4EZZZNS0_16asin_kernel_cudaERNS_18TensorIteratorBaseEENKUlvE_clEvENKUlvE1_clEvEUlN3c107complexINS6_4HalfEEEE_St5arrayIPcLm2EEEEviT0_T1_
		.amdhsa_group_segment_fixed_size 0
		.amdhsa_private_segment_fixed_size 12
		.amdhsa_kernarg_size 24
		.amdhsa_user_sgpr_count 8
		.amdhsa_user_sgpr_private_segment_buffer 1
		.amdhsa_user_sgpr_dispatch_ptr 0
		.amdhsa_user_sgpr_queue_ptr 0
		.amdhsa_user_sgpr_kernarg_segment_ptr 1
		.amdhsa_user_sgpr_dispatch_id 0
		.amdhsa_user_sgpr_flat_scratch_init 1
		.amdhsa_user_sgpr_private_segment_size 0
		.amdhsa_uses_dynamic_stack 0
		.amdhsa_system_sgpr_private_segment_wavefront_offset 1
		.amdhsa_system_sgpr_workgroup_id_x 1
		.amdhsa_system_sgpr_workgroup_id_y 0
		.amdhsa_system_sgpr_workgroup_id_z 0
		.amdhsa_system_sgpr_workgroup_info 0
		.amdhsa_system_vgpr_workitem_id 0
		.amdhsa_next_free_vgpr 29
		.amdhsa_next_free_sgpr 40
		.amdhsa_reserve_vcc 1
		.amdhsa_reserve_flat_scratch 1
		.amdhsa_float_round_mode_32 0
		.amdhsa_float_round_mode_16_64 0
		.amdhsa_float_denorm_mode_32 3
		.amdhsa_float_denorm_mode_16_64 3
		.amdhsa_dx10_clamp 1
		.amdhsa_ieee_mode 1
		.amdhsa_fp16_overflow 0
		.amdhsa_exception_fp_ieee_invalid_op 0
		.amdhsa_exception_fp_denorm_src 0
		.amdhsa_exception_fp_ieee_div_zero 0
		.amdhsa_exception_fp_ieee_overflow 0
		.amdhsa_exception_fp_ieee_underflow 0
		.amdhsa_exception_fp_ieee_inexact 0
		.amdhsa_exception_int_div_zero 0
	.end_amdhsa_kernel
	.section	.text._ZN2at6native29vectorized_elementwise_kernelILi4EZZZNS0_16asin_kernel_cudaERNS_18TensorIteratorBaseEENKUlvE_clEvENKUlvE1_clEvEUlN3c107complexINS6_4HalfEEEE_St5arrayIPcLm2EEEEviT0_T1_,"axG",@progbits,_ZN2at6native29vectorized_elementwise_kernelILi4EZZZNS0_16asin_kernel_cudaERNS_18TensorIteratorBaseEENKUlvE_clEvENKUlvE1_clEvEUlN3c107complexINS6_4HalfEEEE_St5arrayIPcLm2EEEEviT0_T1_,comdat
.Lfunc_end24:
	.size	_ZN2at6native29vectorized_elementwise_kernelILi4EZZZNS0_16asin_kernel_cudaERNS_18TensorIteratorBaseEENKUlvE_clEvENKUlvE1_clEvEUlN3c107complexINS6_4HalfEEEE_St5arrayIPcLm2EEEEviT0_T1_, .Lfunc_end24-_ZN2at6native29vectorized_elementwise_kernelILi4EZZZNS0_16asin_kernel_cudaERNS_18TensorIteratorBaseEENKUlvE_clEvENKUlvE1_clEvEUlN3c107complexINS6_4HalfEEEE_St5arrayIPcLm2EEEEviT0_T1_
                                        ; -- End function
	.set _ZN2at6native29vectorized_elementwise_kernelILi4EZZZNS0_16asin_kernel_cudaERNS_18TensorIteratorBaseEENKUlvE_clEvENKUlvE1_clEvEUlN3c107complexINS6_4HalfEEEE_St5arrayIPcLm2EEEEviT0_T1_.num_vgpr, max(29, .L_ZN3c104guts5applyIRZZZN2at6native16asin_kernel_cudaERNS2_18TensorIteratorBaseEENKUlvE_clEvENKUlvE1_clEvEUlNS_7complexINS_4HalfEEEE_RSt5tupleIJSA_EEEEDaOT_OT0_.num_vgpr)
	.set _ZN2at6native29vectorized_elementwise_kernelILi4EZZZNS0_16asin_kernel_cudaERNS_18TensorIteratorBaseEENKUlvE_clEvENKUlvE1_clEvEUlN3c107complexINS6_4HalfEEEE_St5arrayIPcLm2EEEEviT0_T1_.num_agpr, max(0, .L_ZN3c104guts5applyIRZZZN2at6native16asin_kernel_cudaERNS2_18TensorIteratorBaseEENKUlvE_clEvENKUlvE1_clEvEUlNS_7complexINS_4HalfEEEE_RSt5tupleIJSA_EEEEDaOT_OT0_.num_agpr)
	.set _ZN2at6native29vectorized_elementwise_kernelILi4EZZZNS0_16asin_kernel_cudaERNS_18TensorIteratorBaseEENKUlvE_clEvENKUlvE1_clEvEUlN3c107complexINS6_4HalfEEEE_St5arrayIPcLm2EEEEviT0_T1_.numbered_sgpr, max(40, .L_ZN3c104guts5applyIRZZZN2at6native16asin_kernel_cudaERNS2_18TensorIteratorBaseEENKUlvE_clEvENKUlvE1_clEvEUlNS_7complexINS_4HalfEEEE_RSt5tupleIJSA_EEEEDaOT_OT0_.numbered_sgpr)
	.set _ZN2at6native29vectorized_elementwise_kernelILi4EZZZNS0_16asin_kernel_cudaERNS_18TensorIteratorBaseEENKUlvE_clEvENKUlvE1_clEvEUlN3c107complexINS6_4HalfEEEE_St5arrayIPcLm2EEEEviT0_T1_.num_named_barrier, max(0, .L_ZN3c104guts5applyIRZZZN2at6native16asin_kernel_cudaERNS2_18TensorIteratorBaseEENKUlvE_clEvENKUlvE1_clEvEUlNS_7complexINS_4HalfEEEE_RSt5tupleIJSA_EEEEDaOT_OT0_.num_named_barrier)
	.set _ZN2at6native29vectorized_elementwise_kernelILi4EZZZNS0_16asin_kernel_cudaERNS_18TensorIteratorBaseEENKUlvE_clEvENKUlvE1_clEvEUlN3c107complexINS6_4HalfEEEE_St5arrayIPcLm2EEEEviT0_T1_.private_seg_size, 0+max(.L_ZN3c104guts5applyIRZZZN2at6native16asin_kernel_cudaERNS2_18TensorIteratorBaseEENKUlvE_clEvENKUlvE1_clEvEUlNS_7complexINS_4HalfEEEE_RSt5tupleIJSA_EEEEDaOT_OT0_.private_seg_size)
	.set _ZN2at6native29vectorized_elementwise_kernelILi4EZZZNS0_16asin_kernel_cudaERNS_18TensorIteratorBaseEENKUlvE_clEvENKUlvE1_clEvEUlN3c107complexINS6_4HalfEEEE_St5arrayIPcLm2EEEEviT0_T1_.uses_vcc, or(1, .L_ZN3c104guts5applyIRZZZN2at6native16asin_kernel_cudaERNS2_18TensorIteratorBaseEENKUlvE_clEvENKUlvE1_clEvEUlNS_7complexINS_4HalfEEEE_RSt5tupleIJSA_EEEEDaOT_OT0_.uses_vcc)
	.set _ZN2at6native29vectorized_elementwise_kernelILi4EZZZNS0_16asin_kernel_cudaERNS_18TensorIteratorBaseEENKUlvE_clEvENKUlvE1_clEvEUlN3c107complexINS6_4HalfEEEE_St5arrayIPcLm2EEEEviT0_T1_.uses_flat_scratch, or(1, .L_ZN3c104guts5applyIRZZZN2at6native16asin_kernel_cudaERNS2_18TensorIteratorBaseEENKUlvE_clEvENKUlvE1_clEvEUlNS_7complexINS_4HalfEEEE_RSt5tupleIJSA_EEEEDaOT_OT0_.uses_flat_scratch)
	.set _ZN2at6native29vectorized_elementwise_kernelILi4EZZZNS0_16asin_kernel_cudaERNS_18TensorIteratorBaseEENKUlvE_clEvENKUlvE1_clEvEUlN3c107complexINS6_4HalfEEEE_St5arrayIPcLm2EEEEviT0_T1_.has_dyn_sized_stack, or(0, .L_ZN3c104guts5applyIRZZZN2at6native16asin_kernel_cudaERNS2_18TensorIteratorBaseEENKUlvE_clEvENKUlvE1_clEvEUlNS_7complexINS_4HalfEEEE_RSt5tupleIJSA_EEEEDaOT_OT0_.has_dyn_sized_stack)
	.set _ZN2at6native29vectorized_elementwise_kernelILi4EZZZNS0_16asin_kernel_cudaERNS_18TensorIteratorBaseEENKUlvE_clEvENKUlvE1_clEvEUlN3c107complexINS6_4HalfEEEE_St5arrayIPcLm2EEEEviT0_T1_.has_recursion, or(0, .L_ZN3c104guts5applyIRZZZN2at6native16asin_kernel_cudaERNS2_18TensorIteratorBaseEENKUlvE_clEvENKUlvE1_clEvEUlNS_7complexINS_4HalfEEEE_RSt5tupleIJSA_EEEEDaOT_OT0_.has_recursion)
	.set _ZN2at6native29vectorized_elementwise_kernelILi4EZZZNS0_16asin_kernel_cudaERNS_18TensorIteratorBaseEENKUlvE_clEvENKUlvE1_clEvEUlN3c107complexINS6_4HalfEEEE_St5arrayIPcLm2EEEEviT0_T1_.has_indirect_call, or(0, .L_ZN3c104guts5applyIRZZZN2at6native16asin_kernel_cudaERNS2_18TensorIteratorBaseEENKUlvE_clEvENKUlvE1_clEvEUlNS_7complexINS_4HalfEEEE_RSt5tupleIJSA_EEEEDaOT_OT0_.has_indirect_call)
	.section	.AMDGPU.csdata,"",@progbits
; Kernel info:
; codeLenInByte = 908
; TotalNumSgprs: 46
; NumVgprs: 29
; ScratchSize: 12
; MemoryBound: 0
; FloatMode: 240
; IeeeMode: 1
; LDSByteSize: 0 bytes/workgroup (compile time only)
; SGPRBlocks: 5
; VGPRBlocks: 7
; NumSGPRsForWavesPerEU: 46
; NumVGPRsForWavesPerEU: 29
; Occupancy: 8
; WaveLimiterHint : 0
; COMPUTE_PGM_RSRC2:SCRATCH_EN: 1
; COMPUTE_PGM_RSRC2:USER_SGPR: 8
; COMPUTE_PGM_RSRC2:TRAP_HANDLER: 0
; COMPUTE_PGM_RSRC2:TGID_X_EN: 1
; COMPUTE_PGM_RSRC2:TGID_Y_EN: 0
; COMPUTE_PGM_RSRC2:TGID_Z_EN: 0
; COMPUTE_PGM_RSRC2:TIDIG_COMP_CNT: 0
	.section	.text._ZN2at6native29vectorized_elementwise_kernelILi2EZZZNS0_16asin_kernel_cudaERNS_18TensorIteratorBaseEENKUlvE_clEvENKUlvE1_clEvEUlN3c107complexINS6_4HalfEEEE_St5arrayIPcLm2EEEEviT0_T1_,"axG",@progbits,_ZN2at6native29vectorized_elementwise_kernelILi2EZZZNS0_16asin_kernel_cudaERNS_18TensorIteratorBaseEENKUlvE_clEvENKUlvE1_clEvEUlN3c107complexINS6_4HalfEEEE_St5arrayIPcLm2EEEEviT0_T1_,comdat
	.globl	_ZN2at6native29vectorized_elementwise_kernelILi2EZZZNS0_16asin_kernel_cudaERNS_18TensorIteratorBaseEENKUlvE_clEvENKUlvE1_clEvEUlN3c107complexINS6_4HalfEEEE_St5arrayIPcLm2EEEEviT0_T1_ ; -- Begin function _ZN2at6native29vectorized_elementwise_kernelILi2EZZZNS0_16asin_kernel_cudaERNS_18TensorIteratorBaseEENKUlvE_clEvENKUlvE1_clEvEUlN3c107complexINS6_4HalfEEEE_St5arrayIPcLm2EEEEviT0_T1_
	.p2align	8
	.type	_ZN2at6native29vectorized_elementwise_kernelILi2EZZZNS0_16asin_kernel_cudaERNS_18TensorIteratorBaseEENKUlvE_clEvENKUlvE1_clEvEUlN3c107complexINS6_4HalfEEEE_St5arrayIPcLm2EEEEviT0_T1_,@function
_ZN2at6native29vectorized_elementwise_kernelILi2EZZZNS0_16asin_kernel_cudaERNS_18TensorIteratorBaseEENKUlvE_clEvENKUlvE1_clEvEUlN3c107complexINS6_4HalfEEEE_St5arrayIPcLm2EEEEviT0_T1_: ; @_ZN2at6native29vectorized_elementwise_kernelILi2EZZZNS0_16asin_kernel_cudaERNS_18TensorIteratorBaseEENKUlvE_clEvENKUlvE1_clEvEUlN3c107complexINS6_4HalfEEEE_St5arrayIPcLm2EEEEviT0_T1_
; %bb.0:
	s_add_u32 flat_scratch_lo, s6, s9
	s_load_dword s6, s[4:5], 0x0
	s_load_dwordx4 s[36:39], s[4:5], 0x8
	s_addc_u32 flat_scratch_hi, s7, 0
	s_add_u32 s0, s0, s9
	s_addc_u32 s1, s1, 0
	s_lshl_b32 s28, s8, 10
	s_waitcnt lgkmcnt(0)
	s_sub_i32 s33, s6, s28
	v_mov_b32_e32 v20, v0
	s_cmpk_gt_i32 s33, 0x3ff
	s_mov_b64 s[4:5], -1
	s_mov_b32 s32, 0
	s_cbranch_scc0 .LBB25_2
; %bb.1:
	s_ashr_i32 s29, s28, 31
	s_lshl_b64 s[26:27], s[28:29], 2
	s_add_u32 s4, s38, s26
	s_addc_u32 s5, s39, s27
	v_lshlrev_b32_e32 v25, 3, v20
	global_load_dwordx2 v[21:22], v25, s[4:5]
	global_load_dwordx2 v[23:24], v25, s[4:5] offset:2048
	s_getpc_b64 s[34:35]
	s_add_u32 s34, s34, _ZN3c104guts5applyIRZZZN2at6native16asin_kernel_cudaERNS2_18TensorIteratorBaseEENKUlvE_clEvENKUlvE1_clEvEUlNS_7complexINS_4HalfEEEE_RSt5tupleIJSA_EEEEDaOT_OT0_@rel32@lo+4
	s_addc_u32 s35, s35, _ZN3c104guts5applyIRZZZN2at6native16asin_kernel_cudaERNS2_18TensorIteratorBaseEENKUlvE_clEvENKUlvE1_clEvEUlNS_7complexINS_4HalfEEEE_RSt5tupleIJSA_EEEEDaOT_OT0_@rel32@hi+12
	s_waitcnt vmcnt(1)
	v_mov_b32_e32 v0, v21
	s_swappc_b64 s[30:31], s[34:35]
	v_mov_b32_e32 v21, v0
	v_mov_b32_e32 v0, v22
	s_swappc_b64 s[30:31], s[34:35]
	v_mov_b32_e32 v22, v0
	;; [unrolled: 3-line block ×3, first 2 shown]
	v_mov_b32_e32 v0, v24
	s_swappc_b64 s[30:31], s[34:35]
	s_add_u32 s4, s36, s26
	s_addc_u32 s5, s37, s27
	v_mov_b32_e32 v24, v0
	global_store_dwordx2 v25, v[21:22], s[4:5]
	global_store_dwordx2 v25, v[23:24], s[4:5] offset:2048
	s_mov_b64 s[4:5], 0
.LBB25_2:
	s_andn2_b64 vcc, exec, s[4:5]
	s_cbranch_vccnz .LBB25_23
; %bb.3:
	v_cmp_gt_i32_e64 s[26:27], s33, v20
	v_mov_b32_e32 v21, 0
	v_or_b32_e32 v25, s28, v20
	v_mov_b32_e32 v27, 0
	v_mov_b32_e32 v26, 0
	;; [unrolled: 1-line block ×3, first 2 shown]
	s_and_saveexec_b64 s[4:5], s[26:27]
	s_cbranch_execz .LBB25_11
; %bb.4:
	v_mov_b32_e32 v26, 0
	v_lshlrev_b64 v[0:1], 2, v[25:26]
	v_mov_b32_e32 v2, s39
	v_add_co_u32_e32 v0, vcc, s38, v0
	v_addc_co_u32_e32 v1, vcc, v2, v1, vcc
	global_load_dword v0, v[0:1], off
	v_or_b32_e32 v1, 0x100, v20
	v_cmp_gt_u32_e32 vcc, s33, v1
	v_mov_b32_e32 v27, v26
	v_mov_b32_e32 v21, v26
	s_and_saveexec_b64 s[6:7], vcc
	s_cbranch_execz .LBB25_10
; %bb.5:
	v_add_u32_e32 v26, s28, v20
	v_mov_b32_e32 v27, 0
	v_lshlrev_b64 v[1:2], 2, v[26:27]
	v_mov_b32_e32 v3, s39
	v_add_co_u32_e32 v1, vcc, s38, v1
	v_addc_co_u32_e32 v2, vcc, v3, v2, vcc
	global_load_dword v26, v[1:2], off offset:1024
	v_or_b32_e32 v3, 0x200, v20
	v_cmp_gt_u32_e32 vcc, s33, v3
	v_mov_b32_e32 v21, v27
	s_and_saveexec_b64 s[8:9], vcc
	s_cbranch_execz .LBB25_9
; %bb.6:
	global_load_dword v27, v[1:2], off offset:2048
	v_or_b32_e32 v3, 0x300, v20
	v_cmp_gt_u32_e32 vcc, s33, v3
	v_mov_b32_e32 v21, 0
	s_and_saveexec_b64 s[10:11], vcc
	s_cbranch_execz .LBB25_8
; %bb.7:
	global_load_dword v21, v[1:2], off offset:3072
.LBB25_8:
	s_or_b64 exec, exec, s[10:11]
.LBB25_9:
	s_or_b64 exec, exec, s[8:9]
.LBB25_10:
	s_or_b64 exec, exec, s[6:7]
.LBB25_11:
	s_or_b64 exec, exec, s[4:5]
                                        ; implicit-def: $vgpr24
	s_and_saveexec_b64 s[34:35], s[26:27]
	s_cbranch_execz .LBB25_13
; %bb.12:
	s_getpc_b64 s[4:5]
	s_add_u32 s4, s4, _ZN3c104guts5applyIRZZZN2at6native16asin_kernel_cudaERNS2_18TensorIteratorBaseEENKUlvE_clEvENKUlvE1_clEvEUlNS_7complexINS_4HalfEEEE_RSt5tupleIJSA_EEEEDaOT_OT0_@rel32@lo+4
	s_addc_u32 s5, s5, _ZN3c104guts5applyIRZZZN2at6native16asin_kernel_cudaERNS2_18TensorIteratorBaseEENKUlvE_clEvENKUlvE1_clEvEUlNS_7complexINS_4HalfEEEE_RSt5tupleIJSA_EEEEDaOT_OT0_@rel32@hi+12
	s_swappc_b64 s[30:31], s[4:5]
	v_mov_b32_e32 v24, v0
.LBB25_13:
	s_or_b64 exec, exec, s[34:35]
	v_or_b32_e32 v28, 0x100, v20
	v_cmp_gt_i32_e32 vcc, s33, v28
                                        ; implicit-def: $vgpr23
	s_and_saveexec_b64 s[34:35], vcc
	s_cbranch_execz .LBB25_15
; %bb.14:
	s_getpc_b64 s[4:5]
	s_add_u32 s4, s4, _ZN3c104guts5applyIRZZZN2at6native16asin_kernel_cudaERNS2_18TensorIteratorBaseEENKUlvE_clEvENKUlvE1_clEvEUlNS_7complexINS_4HalfEEEE_RSt5tupleIJSA_EEEEDaOT_OT0_@rel32@lo+4
	s_addc_u32 s5, s5, _ZN3c104guts5applyIRZZZN2at6native16asin_kernel_cudaERNS2_18TensorIteratorBaseEENKUlvE_clEvENKUlvE1_clEvEUlNS_7complexINS_4HalfEEEE_RSt5tupleIJSA_EEEEDaOT_OT0_@rel32@hi+12
	s_waitcnt vmcnt(0)
	v_mov_b32_e32 v0, v26
	s_swappc_b64 s[30:31], s[4:5]
	v_mov_b32_e32 v23, v0
.LBB25_15:
	s_or_b64 exec, exec, s[34:35]
	s_waitcnt vmcnt(0)
	v_or_b32_e32 v0, 0x200, v20
	v_cmp_gt_i32_e32 vcc, s33, v0
                                        ; implicit-def: $vgpr22
	s_and_saveexec_b64 s[34:35], vcc
	s_cbranch_execz .LBB25_17
; %bb.16:
	s_getpc_b64 s[4:5]
	s_add_u32 s4, s4, _ZN3c104guts5applyIRZZZN2at6native16asin_kernel_cudaERNS2_18TensorIteratorBaseEENKUlvE_clEvENKUlvE1_clEvEUlNS_7complexINS_4HalfEEEE_RSt5tupleIJSA_EEEEDaOT_OT0_@rel32@lo+4
	s_addc_u32 s5, s5, _ZN3c104guts5applyIRZZZN2at6native16asin_kernel_cudaERNS2_18TensorIteratorBaseEENKUlvE_clEvENKUlvE1_clEvEUlNS_7complexINS_4HalfEEEE_RSt5tupleIJSA_EEEEDaOT_OT0_@rel32@hi+12
	v_mov_b32_e32 v0, v27
	s_swappc_b64 s[30:31], s[4:5]
	v_mov_b32_e32 v22, v0
.LBB25_17:
	s_or_b64 exec, exec, s[34:35]
	v_or_b32_e32 v0, 0x300, v20
	v_cmp_gt_i32_e32 vcc, s33, v0
                                        ; implicit-def: $vgpr0
	s_and_saveexec_b64 s[34:35], vcc
	s_cbranch_execnz .LBB25_24
; %bb.18:
	s_or_b64 exec, exec, s[34:35]
	s_and_saveexec_b64 s[4:5], s[26:27]
	s_xor_b64 s[4:5], exec, s[4:5]
	s_cbranch_execnz .LBB25_25
.LBB25_19:
	s_or_b64 exec, exec, s[4:5]
	v_cmp_gt_i32_e32 vcc, s33, v20
	s_and_saveexec_b64 s[4:5], vcc
	s_cbranch_execnz .LBB25_26
.LBB25_20:
	s_or_b64 exec, exec, s[4:5]
	v_cmp_gt_i32_e32 vcc, s33, v20
	s_and_saveexec_b64 s[4:5], vcc
	s_cbranch_execnz .LBB25_27
.LBB25_21:
	s_or_b64 exec, exec, s[4:5]
	v_cmp_gt_i32_e32 vcc, s33, v20
	s_and_saveexec_b64 s[4:5], vcc
	s_cbranch_execz .LBB25_23
.LBB25_22:
	v_add_u32_e32 v1, s28, v20
	v_mov_b32_e32 v2, 0
	v_lshlrev_b64 v[1:2], 2, v[1:2]
	v_mov_b32_e32 v3, s37
	v_add_co_u32_e32 v1, vcc, s36, v1
	v_addc_co_u32_e32 v2, vcc, v3, v2, vcc
	global_store_dword v[1:2], v0, off
.LBB25_23:
	s_endpgm
.LBB25_24:
	s_getpc_b64 s[4:5]
	s_add_u32 s4, s4, _ZN3c104guts5applyIRZZZN2at6native16asin_kernel_cudaERNS2_18TensorIteratorBaseEENKUlvE_clEvENKUlvE1_clEvEUlNS_7complexINS_4HalfEEEE_RSt5tupleIJSA_EEEEDaOT_OT0_@rel32@lo+4
	s_addc_u32 s5, s5, _ZN3c104guts5applyIRZZZN2at6native16asin_kernel_cudaERNS2_18TensorIteratorBaseEENKUlvE_clEvENKUlvE1_clEvEUlNS_7complexINS_4HalfEEEE_RSt5tupleIJSA_EEEEDaOT_OT0_@rel32@hi+12
	v_mov_b32_e32 v0, v21
	s_swappc_b64 s[30:31], s[4:5]
	s_or_b64 exec, exec, s[34:35]
	s_and_saveexec_b64 s[4:5], s[26:27]
	s_xor_b64 s[4:5], exec, s[4:5]
	s_cbranch_execz .LBB25_19
.LBB25_25:
	v_mov_b32_e32 v26, 0
	v_lshlrev_b64 v[1:2], 2, v[25:26]
	v_mov_b32_e32 v3, s37
	v_add_co_u32_e32 v1, vcc, s36, v1
	v_addc_co_u32_e32 v2, vcc, v3, v2, vcc
	v_mov_b32_e32 v20, v28
	global_store_dword v[1:2], v24, off
	s_or_b64 exec, exec, s[4:5]
	v_cmp_gt_i32_e32 vcc, s33, v20
	s_and_saveexec_b64 s[4:5], vcc
	s_cbranch_execz .LBB25_20
.LBB25_26:
	v_add_u32_e32 v1, s28, v20
	v_mov_b32_e32 v2, 0
	v_lshlrev_b64 v[1:2], 2, v[1:2]
	v_mov_b32_e32 v3, s37
	v_add_co_u32_e32 v1, vcc, s36, v1
	v_addc_co_u32_e32 v2, vcc, v3, v2, vcc
	v_add_u32_e32 v20, 0x100, v20
	global_store_dword v[1:2], v23, off
	s_or_b64 exec, exec, s[4:5]
	v_cmp_gt_i32_e32 vcc, s33, v20
	s_and_saveexec_b64 s[4:5], vcc
	s_cbranch_execz .LBB25_21
.LBB25_27:
	v_add_u32_e32 v1, s28, v20
	v_mov_b32_e32 v2, 0
	v_lshlrev_b64 v[1:2], 2, v[1:2]
	v_mov_b32_e32 v3, s37
	v_add_co_u32_e32 v1, vcc, s36, v1
	v_addc_co_u32_e32 v2, vcc, v3, v2, vcc
	v_add_u32_e32 v20, 0x100, v20
	global_store_dword v[1:2], v22, off
	s_or_b64 exec, exec, s[4:5]
	v_cmp_gt_i32_e32 vcc, s33, v20
	s_and_saveexec_b64 s[4:5], vcc
	s_cbranch_execnz .LBB25_22
	s_branch .LBB25_23
	.section	.rodata,"a",@progbits
	.p2align	6, 0x0
	.amdhsa_kernel _ZN2at6native29vectorized_elementwise_kernelILi2EZZZNS0_16asin_kernel_cudaERNS_18TensorIteratorBaseEENKUlvE_clEvENKUlvE1_clEvEUlN3c107complexINS6_4HalfEEEE_St5arrayIPcLm2EEEEviT0_T1_
		.amdhsa_group_segment_fixed_size 0
		.amdhsa_private_segment_fixed_size 12
		.amdhsa_kernarg_size 24
		.amdhsa_user_sgpr_count 8
		.amdhsa_user_sgpr_private_segment_buffer 1
		.amdhsa_user_sgpr_dispatch_ptr 0
		.amdhsa_user_sgpr_queue_ptr 0
		.amdhsa_user_sgpr_kernarg_segment_ptr 1
		.amdhsa_user_sgpr_dispatch_id 0
		.amdhsa_user_sgpr_flat_scratch_init 1
		.amdhsa_user_sgpr_private_segment_size 0
		.amdhsa_uses_dynamic_stack 0
		.amdhsa_system_sgpr_private_segment_wavefront_offset 1
		.amdhsa_system_sgpr_workgroup_id_x 1
		.amdhsa_system_sgpr_workgroup_id_y 0
		.amdhsa_system_sgpr_workgroup_id_z 0
		.amdhsa_system_sgpr_workgroup_info 0
		.amdhsa_system_vgpr_workitem_id 0
		.amdhsa_next_free_vgpr 29
		.amdhsa_next_free_sgpr 40
		.amdhsa_reserve_vcc 1
		.amdhsa_reserve_flat_scratch 1
		.amdhsa_float_round_mode_32 0
		.amdhsa_float_round_mode_16_64 0
		.amdhsa_float_denorm_mode_32 3
		.amdhsa_float_denorm_mode_16_64 3
		.amdhsa_dx10_clamp 1
		.amdhsa_ieee_mode 1
		.amdhsa_fp16_overflow 0
		.amdhsa_exception_fp_ieee_invalid_op 0
		.amdhsa_exception_fp_denorm_src 0
		.amdhsa_exception_fp_ieee_div_zero 0
		.amdhsa_exception_fp_ieee_overflow 0
		.amdhsa_exception_fp_ieee_underflow 0
		.amdhsa_exception_fp_ieee_inexact 0
		.amdhsa_exception_int_div_zero 0
	.end_amdhsa_kernel
	.section	.text._ZN2at6native29vectorized_elementwise_kernelILi2EZZZNS0_16asin_kernel_cudaERNS_18TensorIteratorBaseEENKUlvE_clEvENKUlvE1_clEvEUlN3c107complexINS6_4HalfEEEE_St5arrayIPcLm2EEEEviT0_T1_,"axG",@progbits,_ZN2at6native29vectorized_elementwise_kernelILi2EZZZNS0_16asin_kernel_cudaERNS_18TensorIteratorBaseEENKUlvE_clEvENKUlvE1_clEvEUlN3c107complexINS6_4HalfEEEE_St5arrayIPcLm2EEEEviT0_T1_,comdat
.Lfunc_end25:
	.size	_ZN2at6native29vectorized_elementwise_kernelILi2EZZZNS0_16asin_kernel_cudaERNS_18TensorIteratorBaseEENKUlvE_clEvENKUlvE1_clEvEUlN3c107complexINS6_4HalfEEEE_St5arrayIPcLm2EEEEviT0_T1_, .Lfunc_end25-_ZN2at6native29vectorized_elementwise_kernelILi2EZZZNS0_16asin_kernel_cudaERNS_18TensorIteratorBaseEENKUlvE_clEvENKUlvE1_clEvEUlN3c107complexINS6_4HalfEEEE_St5arrayIPcLm2EEEEviT0_T1_
                                        ; -- End function
	.set _ZN2at6native29vectorized_elementwise_kernelILi2EZZZNS0_16asin_kernel_cudaERNS_18TensorIteratorBaseEENKUlvE_clEvENKUlvE1_clEvEUlN3c107complexINS6_4HalfEEEE_St5arrayIPcLm2EEEEviT0_T1_.num_vgpr, max(29, .L_ZN3c104guts5applyIRZZZN2at6native16asin_kernel_cudaERNS2_18TensorIteratorBaseEENKUlvE_clEvENKUlvE1_clEvEUlNS_7complexINS_4HalfEEEE_RSt5tupleIJSA_EEEEDaOT_OT0_.num_vgpr)
	.set _ZN2at6native29vectorized_elementwise_kernelILi2EZZZNS0_16asin_kernel_cudaERNS_18TensorIteratorBaseEENKUlvE_clEvENKUlvE1_clEvEUlN3c107complexINS6_4HalfEEEE_St5arrayIPcLm2EEEEviT0_T1_.num_agpr, max(0, .L_ZN3c104guts5applyIRZZZN2at6native16asin_kernel_cudaERNS2_18TensorIteratorBaseEENKUlvE_clEvENKUlvE1_clEvEUlNS_7complexINS_4HalfEEEE_RSt5tupleIJSA_EEEEDaOT_OT0_.num_agpr)
	.set _ZN2at6native29vectorized_elementwise_kernelILi2EZZZNS0_16asin_kernel_cudaERNS_18TensorIteratorBaseEENKUlvE_clEvENKUlvE1_clEvEUlN3c107complexINS6_4HalfEEEE_St5arrayIPcLm2EEEEviT0_T1_.numbered_sgpr, max(40, .L_ZN3c104guts5applyIRZZZN2at6native16asin_kernel_cudaERNS2_18TensorIteratorBaseEENKUlvE_clEvENKUlvE1_clEvEUlNS_7complexINS_4HalfEEEE_RSt5tupleIJSA_EEEEDaOT_OT0_.numbered_sgpr)
	.set _ZN2at6native29vectorized_elementwise_kernelILi2EZZZNS0_16asin_kernel_cudaERNS_18TensorIteratorBaseEENKUlvE_clEvENKUlvE1_clEvEUlN3c107complexINS6_4HalfEEEE_St5arrayIPcLm2EEEEviT0_T1_.num_named_barrier, max(0, .L_ZN3c104guts5applyIRZZZN2at6native16asin_kernel_cudaERNS2_18TensorIteratorBaseEENKUlvE_clEvENKUlvE1_clEvEUlNS_7complexINS_4HalfEEEE_RSt5tupleIJSA_EEEEDaOT_OT0_.num_named_barrier)
	.set _ZN2at6native29vectorized_elementwise_kernelILi2EZZZNS0_16asin_kernel_cudaERNS_18TensorIteratorBaseEENKUlvE_clEvENKUlvE1_clEvEUlN3c107complexINS6_4HalfEEEE_St5arrayIPcLm2EEEEviT0_T1_.private_seg_size, 0+max(.L_ZN3c104guts5applyIRZZZN2at6native16asin_kernel_cudaERNS2_18TensorIteratorBaseEENKUlvE_clEvENKUlvE1_clEvEUlNS_7complexINS_4HalfEEEE_RSt5tupleIJSA_EEEEDaOT_OT0_.private_seg_size)
	.set _ZN2at6native29vectorized_elementwise_kernelILi2EZZZNS0_16asin_kernel_cudaERNS_18TensorIteratorBaseEENKUlvE_clEvENKUlvE1_clEvEUlN3c107complexINS6_4HalfEEEE_St5arrayIPcLm2EEEEviT0_T1_.uses_vcc, or(1, .L_ZN3c104guts5applyIRZZZN2at6native16asin_kernel_cudaERNS2_18TensorIteratorBaseEENKUlvE_clEvENKUlvE1_clEvEUlNS_7complexINS_4HalfEEEE_RSt5tupleIJSA_EEEEDaOT_OT0_.uses_vcc)
	.set _ZN2at6native29vectorized_elementwise_kernelILi2EZZZNS0_16asin_kernel_cudaERNS_18TensorIteratorBaseEENKUlvE_clEvENKUlvE1_clEvEUlN3c107complexINS6_4HalfEEEE_St5arrayIPcLm2EEEEviT0_T1_.uses_flat_scratch, or(1, .L_ZN3c104guts5applyIRZZZN2at6native16asin_kernel_cudaERNS2_18TensorIteratorBaseEENKUlvE_clEvENKUlvE1_clEvEUlNS_7complexINS_4HalfEEEE_RSt5tupleIJSA_EEEEDaOT_OT0_.uses_flat_scratch)
	.set _ZN2at6native29vectorized_elementwise_kernelILi2EZZZNS0_16asin_kernel_cudaERNS_18TensorIteratorBaseEENKUlvE_clEvENKUlvE1_clEvEUlN3c107complexINS6_4HalfEEEE_St5arrayIPcLm2EEEEviT0_T1_.has_dyn_sized_stack, or(0, .L_ZN3c104guts5applyIRZZZN2at6native16asin_kernel_cudaERNS2_18TensorIteratorBaseEENKUlvE_clEvENKUlvE1_clEvEUlNS_7complexINS_4HalfEEEE_RSt5tupleIJSA_EEEEDaOT_OT0_.has_dyn_sized_stack)
	.set _ZN2at6native29vectorized_elementwise_kernelILi2EZZZNS0_16asin_kernel_cudaERNS_18TensorIteratorBaseEENKUlvE_clEvENKUlvE1_clEvEUlN3c107complexINS6_4HalfEEEE_St5arrayIPcLm2EEEEviT0_T1_.has_recursion, or(0, .L_ZN3c104guts5applyIRZZZN2at6native16asin_kernel_cudaERNS2_18TensorIteratorBaseEENKUlvE_clEvENKUlvE1_clEvEUlNS_7complexINS_4HalfEEEE_RSt5tupleIJSA_EEEEDaOT_OT0_.has_recursion)
	.set _ZN2at6native29vectorized_elementwise_kernelILi2EZZZNS0_16asin_kernel_cudaERNS_18TensorIteratorBaseEENKUlvE_clEvENKUlvE1_clEvEUlN3c107complexINS6_4HalfEEEE_St5arrayIPcLm2EEEEviT0_T1_.has_indirect_call, or(0, .L_ZN3c104guts5applyIRZZZN2at6native16asin_kernel_cudaERNS2_18TensorIteratorBaseEENKUlvE_clEvENKUlvE1_clEvEUlNS_7complexINS_4HalfEEEE_RSt5tupleIJSA_EEEEDaOT_OT0_.has_indirect_call)
	.section	.AMDGPU.csdata,"",@progbits
; Kernel info:
; codeLenInByte = 924
; TotalNumSgprs: 46
; NumVgprs: 29
; ScratchSize: 12
; MemoryBound: 0
; FloatMode: 240
; IeeeMode: 1
; LDSByteSize: 0 bytes/workgroup (compile time only)
; SGPRBlocks: 5
; VGPRBlocks: 7
; NumSGPRsForWavesPerEU: 46
; NumVGPRsForWavesPerEU: 29
; Occupancy: 8
; WaveLimiterHint : 0
; COMPUTE_PGM_RSRC2:SCRATCH_EN: 1
; COMPUTE_PGM_RSRC2:USER_SGPR: 8
; COMPUTE_PGM_RSRC2:TRAP_HANDLER: 0
; COMPUTE_PGM_RSRC2:TGID_X_EN: 1
; COMPUTE_PGM_RSRC2:TGID_Y_EN: 0
; COMPUTE_PGM_RSRC2:TGID_Z_EN: 0
; COMPUTE_PGM_RSRC2:TIDIG_COMP_CNT: 0
	.section	.text._ZN2at6native27unrolled_elementwise_kernelIZZZNS0_16asin_kernel_cudaERNS_18TensorIteratorBaseEENKUlvE_clEvENKUlvE1_clEvEUlN3c107complexINS6_4HalfEEEE_St5arrayIPcLm2EELi4E23TrivialOffsetCalculatorILi1EjESF_NS0_6memory15LoadWithoutCastENSG_16StoreWithoutCastEEEviT_T0_T2_T3_T4_T5_,"axG",@progbits,_ZN2at6native27unrolled_elementwise_kernelIZZZNS0_16asin_kernel_cudaERNS_18TensorIteratorBaseEENKUlvE_clEvENKUlvE1_clEvEUlN3c107complexINS6_4HalfEEEE_St5arrayIPcLm2EELi4E23TrivialOffsetCalculatorILi1EjESF_NS0_6memory15LoadWithoutCastENSG_16StoreWithoutCastEEEviT_T0_T2_T3_T4_T5_,comdat
	.globl	_ZN2at6native27unrolled_elementwise_kernelIZZZNS0_16asin_kernel_cudaERNS_18TensorIteratorBaseEENKUlvE_clEvENKUlvE1_clEvEUlN3c107complexINS6_4HalfEEEE_St5arrayIPcLm2EELi4E23TrivialOffsetCalculatorILi1EjESF_NS0_6memory15LoadWithoutCastENSG_16StoreWithoutCastEEEviT_T0_T2_T3_T4_T5_ ; -- Begin function _ZN2at6native27unrolled_elementwise_kernelIZZZNS0_16asin_kernel_cudaERNS_18TensorIteratorBaseEENKUlvE_clEvENKUlvE1_clEvEUlN3c107complexINS6_4HalfEEEE_St5arrayIPcLm2EELi4E23TrivialOffsetCalculatorILi1EjESF_NS0_6memory15LoadWithoutCastENSG_16StoreWithoutCastEEEviT_T0_T2_T3_T4_T5_
	.p2align	8
	.type	_ZN2at6native27unrolled_elementwise_kernelIZZZNS0_16asin_kernel_cudaERNS_18TensorIteratorBaseEENKUlvE_clEvENKUlvE1_clEvEUlN3c107complexINS6_4HalfEEEE_St5arrayIPcLm2EELi4E23TrivialOffsetCalculatorILi1EjESF_NS0_6memory15LoadWithoutCastENSG_16StoreWithoutCastEEEviT_T0_T2_T3_T4_T5_,@function
_ZN2at6native27unrolled_elementwise_kernelIZZZNS0_16asin_kernel_cudaERNS_18TensorIteratorBaseEENKUlvE_clEvENKUlvE1_clEvEUlN3c107complexINS6_4HalfEEEE_St5arrayIPcLm2EELi4E23TrivialOffsetCalculatorILi1EjESF_NS0_6memory15LoadWithoutCastENSG_16StoreWithoutCastEEEviT_T0_T2_T3_T4_T5_: ; @_ZN2at6native27unrolled_elementwise_kernelIZZZNS0_16asin_kernel_cudaERNS_18TensorIteratorBaseEENKUlvE_clEvENKUlvE1_clEvEUlN3c107complexINS6_4HalfEEEE_St5arrayIPcLm2EELi4E23TrivialOffsetCalculatorILi1EjESF_NS0_6memory15LoadWithoutCastENSG_16StoreWithoutCastEEEviT_T0_T2_T3_T4_T5_
; %bb.0:
	s_add_u32 flat_scratch_lo, s6, s9
	s_load_dword s6, s[4:5], 0x0
	s_load_dwordx4 s[28:31], s[4:5], 0x8
	s_addc_u32 flat_scratch_hi, s7, 0
	s_add_u32 s0, s0, s9
	s_addc_u32 s1, s1, 0
	s_lshl_b32 s33, s8, 10
	v_mov_b32_e32 v20, v0
	s_waitcnt lgkmcnt(0)
	s_sub_i32 s36, s6, s33
	v_mov_b32_e32 v27, 0
	v_cmp_gt_i32_e64 s[26:27], s36, v20
	v_or_b32_e32 v24, s33, v20
	v_mov_b32_e32 v26, 0
	v_mov_b32_e32 v25, v27
	;; [unrolled: 1-line block ×3, first 2 shown]
	s_mov_b32 s32, 0
	s_and_saveexec_b64 s[4:5], s[26:27]
	s_cbranch_execz .LBB26_8
; %bb.1:
	v_mov_b32_e32 v25, 0
	v_lshlrev_b64 v[0:1], 2, v[24:25]
	v_mov_b32_e32 v2, s31
	v_add_co_u32_e32 v0, vcc, s30, v0
	v_addc_co_u32_e32 v1, vcc, v2, v1, vcc
	global_load_dword v0, v[0:1], off
	v_or_b32_e32 v1, 0x100, v20
	v_cmp_gt_u32_e32 vcc, s36, v1
	v_mov_b32_e32 v26, v25
	v_mov_b32_e32 v27, v25
	s_and_saveexec_b64 s[6:7], vcc
	s_cbranch_execz .LBB26_7
; %bb.2:
	v_add_u32_e32 v25, s33, v1
	v_mov_b32_e32 v26, 0
	v_lshlrev_b64 v[1:2], 2, v[25:26]
	v_mov_b32_e32 v3, s31
	v_add_co_u32_e32 v1, vcc, s30, v1
	v_addc_co_u32_e32 v2, vcc, v3, v2, vcc
	global_load_dword v25, v[1:2], off
	v_or_b32_e32 v1, 0x200, v20
	v_cmp_gt_u32_e32 vcc, s36, v1
	v_mov_b32_e32 v27, v26
	s_and_saveexec_b64 s[8:9], vcc
	s_cbranch_execz .LBB26_6
; %bb.3:
	v_add_u32_e32 v26, s33, v1
	v_mov_b32_e32 v27, 0
	v_lshlrev_b64 v[1:2], 2, v[26:27]
	v_mov_b32_e32 v3, s31
	v_add_co_u32_e32 v1, vcc, s30, v1
	v_addc_co_u32_e32 v2, vcc, v3, v2, vcc
	global_load_dword v26, v[1:2], off
	v_or_b32_e32 v1, 0x300, v20
	v_cmp_gt_u32_e32 vcc, s36, v1
	s_and_saveexec_b64 s[10:11], vcc
	s_cbranch_execz .LBB26_5
; %bb.4:
	v_add_u32_e32 v1, s33, v1
	v_mov_b32_e32 v2, 0
	v_lshlrev_b64 v[1:2], 2, v[1:2]
	v_mov_b32_e32 v3, s31
	v_add_co_u32_e32 v1, vcc, s30, v1
	v_addc_co_u32_e32 v2, vcc, v3, v2, vcc
	global_load_dword v27, v[1:2], off
.LBB26_5:
	s_or_b64 exec, exec, s[10:11]
.LBB26_6:
	s_or_b64 exec, exec, s[8:9]
.LBB26_7:
	s_or_b64 exec, exec, s[6:7]
.LBB26_8:
	s_or_b64 exec, exec, s[4:5]
                                        ; implicit-def: $vgpr23
	s_and_saveexec_b64 s[34:35], s[26:27]
	s_cbranch_execz .LBB26_10
; %bb.9:
	s_getpc_b64 s[4:5]
	s_add_u32 s4, s4, _ZN3c104guts5applyIRZZZN2at6native16asin_kernel_cudaERNS2_18TensorIteratorBaseEENKUlvE_clEvENKUlvE1_clEvEUlNS_7complexINS_4HalfEEEE_RSt5tupleIJSA_EEEEDaOT_OT0_@rel32@lo+4
	s_addc_u32 s5, s5, _ZN3c104guts5applyIRZZZN2at6native16asin_kernel_cudaERNS2_18TensorIteratorBaseEENKUlvE_clEvENKUlvE1_clEvEUlNS_7complexINS_4HalfEEEE_RSt5tupleIJSA_EEEEDaOT_OT0_@rel32@hi+12
	s_swappc_b64 s[30:31], s[4:5]
	v_mov_b32_e32 v23, v0
.LBB26_10:
	s_or_b64 exec, exec, s[34:35]
	v_or_b32_e32 v28, 0x100, v20
	v_cmp_gt_i32_e32 vcc, s36, v28
                                        ; implicit-def: $vgpr22
	s_and_saveexec_b64 s[34:35], vcc
	s_cbranch_execz .LBB26_12
; %bb.11:
	s_getpc_b64 s[4:5]
	s_add_u32 s4, s4, _ZN3c104guts5applyIRZZZN2at6native16asin_kernel_cudaERNS2_18TensorIteratorBaseEENKUlvE_clEvENKUlvE1_clEvEUlNS_7complexINS_4HalfEEEE_RSt5tupleIJSA_EEEEDaOT_OT0_@rel32@lo+4
	s_addc_u32 s5, s5, _ZN3c104guts5applyIRZZZN2at6native16asin_kernel_cudaERNS2_18TensorIteratorBaseEENKUlvE_clEvENKUlvE1_clEvEUlNS_7complexINS_4HalfEEEE_RSt5tupleIJSA_EEEEDaOT_OT0_@rel32@hi+12
	s_waitcnt vmcnt(0)
	v_mov_b32_e32 v0, v25
	s_swappc_b64 s[30:31], s[4:5]
	v_mov_b32_e32 v22, v0
.LBB26_12:
	s_or_b64 exec, exec, s[34:35]
	s_waitcnt vmcnt(0)
	v_or_b32_e32 v0, 0x200, v20
	v_cmp_gt_i32_e32 vcc, s36, v0
                                        ; implicit-def: $vgpr21
	s_and_saveexec_b64 s[34:35], vcc
	s_cbranch_execz .LBB26_14
; %bb.13:
	s_getpc_b64 s[4:5]
	s_add_u32 s4, s4, _ZN3c104guts5applyIRZZZN2at6native16asin_kernel_cudaERNS2_18TensorIteratorBaseEENKUlvE_clEvENKUlvE1_clEvEUlNS_7complexINS_4HalfEEEE_RSt5tupleIJSA_EEEEDaOT_OT0_@rel32@lo+4
	s_addc_u32 s5, s5, _ZN3c104guts5applyIRZZZN2at6native16asin_kernel_cudaERNS2_18TensorIteratorBaseEENKUlvE_clEvENKUlvE1_clEvEUlNS_7complexINS_4HalfEEEE_RSt5tupleIJSA_EEEEDaOT_OT0_@rel32@hi+12
	v_mov_b32_e32 v0, v26
	s_swappc_b64 s[30:31], s[4:5]
	v_mov_b32_e32 v21, v0
.LBB26_14:
	s_or_b64 exec, exec, s[34:35]
	v_or_b32_e32 v0, 0x300, v20
	v_cmp_gt_i32_e32 vcc, s36, v0
                                        ; implicit-def: $vgpr0
	s_and_saveexec_b64 s[34:35], vcc
	s_cbranch_execnz .LBB26_20
; %bb.15:
	s_or_b64 exec, exec, s[34:35]
	s_and_saveexec_b64 s[4:5], s[26:27]
	s_xor_b64 s[4:5], exec, s[4:5]
	s_cbranch_execnz .LBB26_21
.LBB26_16:
	s_or_b64 exec, exec, s[4:5]
	v_cmp_gt_i32_e32 vcc, s36, v20
	s_and_saveexec_b64 s[4:5], vcc
	s_cbranch_execnz .LBB26_22
.LBB26_17:
	s_or_b64 exec, exec, s[4:5]
	v_cmp_gt_i32_e32 vcc, s36, v20
	s_and_saveexec_b64 s[4:5], vcc
	s_cbranch_execnz .LBB26_23
.LBB26_18:
	s_or_b64 exec, exec, s[4:5]
	v_cmp_gt_i32_e32 vcc, s36, v20
	s_and_saveexec_b64 s[4:5], vcc
	s_cbranch_execnz .LBB26_24
.LBB26_19:
	s_endpgm
.LBB26_20:
	s_getpc_b64 s[4:5]
	s_add_u32 s4, s4, _ZN3c104guts5applyIRZZZN2at6native16asin_kernel_cudaERNS2_18TensorIteratorBaseEENKUlvE_clEvENKUlvE1_clEvEUlNS_7complexINS_4HalfEEEE_RSt5tupleIJSA_EEEEDaOT_OT0_@rel32@lo+4
	s_addc_u32 s5, s5, _ZN3c104guts5applyIRZZZN2at6native16asin_kernel_cudaERNS2_18TensorIteratorBaseEENKUlvE_clEvENKUlvE1_clEvEUlNS_7complexINS_4HalfEEEE_RSt5tupleIJSA_EEEEDaOT_OT0_@rel32@hi+12
	v_mov_b32_e32 v0, v27
	s_swappc_b64 s[30:31], s[4:5]
	s_or_b64 exec, exec, s[34:35]
	s_and_saveexec_b64 s[4:5], s[26:27]
	s_xor_b64 s[4:5], exec, s[4:5]
	s_cbranch_execz .LBB26_16
.LBB26_21:
	v_mov_b32_e32 v25, 0
	v_lshlrev_b64 v[1:2], 2, v[24:25]
	v_mov_b32_e32 v3, s29
	v_add_co_u32_e32 v1, vcc, s28, v1
	v_addc_co_u32_e32 v2, vcc, v3, v2, vcc
	v_mov_b32_e32 v20, v28
	global_store_dword v[1:2], v23, off
	s_or_b64 exec, exec, s[4:5]
	v_cmp_gt_i32_e32 vcc, s36, v20
	s_and_saveexec_b64 s[4:5], vcc
	s_cbranch_execz .LBB26_17
.LBB26_22:
	v_add_u32_e32 v1, s33, v20
	v_mov_b32_e32 v2, 0
	v_lshlrev_b64 v[1:2], 2, v[1:2]
	v_add_u32_e32 v3, 0x100, v20
	v_mov_b32_e32 v4, s29
	v_add_co_u32_e32 v1, vcc, s28, v1
	v_addc_co_u32_e32 v2, vcc, v4, v2, vcc
	v_mov_b32_e32 v20, v3
	global_store_dword v[1:2], v22, off
	s_or_b64 exec, exec, s[4:5]
	v_cmp_gt_i32_e32 vcc, s36, v20
	s_and_saveexec_b64 s[4:5], vcc
	s_cbranch_execz .LBB26_18
.LBB26_23:
	v_add_u32_e32 v1, s33, v20
	v_mov_b32_e32 v2, 0
	v_lshlrev_b64 v[1:2], 2, v[1:2]
	v_add_u32_e32 v3, 0x100, v20
	v_mov_b32_e32 v4, s29
	v_add_co_u32_e32 v1, vcc, s28, v1
	v_addc_co_u32_e32 v2, vcc, v4, v2, vcc
	v_mov_b32_e32 v20, v3
	global_store_dword v[1:2], v21, off
	s_or_b64 exec, exec, s[4:5]
	v_cmp_gt_i32_e32 vcc, s36, v20
	s_and_saveexec_b64 s[4:5], vcc
	s_cbranch_execz .LBB26_19
.LBB26_24:
	v_add_u32_e32 v1, s33, v20
	v_mov_b32_e32 v2, 0
	v_lshlrev_b64 v[1:2], 2, v[1:2]
	v_mov_b32_e32 v3, s29
	v_add_co_u32_e32 v1, vcc, s28, v1
	v_addc_co_u32_e32 v2, vcc, v3, v2, vcc
	global_store_dword v[1:2], v0, off
	s_endpgm
	.section	.rodata,"a",@progbits
	.p2align	6, 0x0
	.amdhsa_kernel _ZN2at6native27unrolled_elementwise_kernelIZZZNS0_16asin_kernel_cudaERNS_18TensorIteratorBaseEENKUlvE_clEvENKUlvE1_clEvEUlN3c107complexINS6_4HalfEEEE_St5arrayIPcLm2EELi4E23TrivialOffsetCalculatorILi1EjESF_NS0_6memory15LoadWithoutCastENSG_16StoreWithoutCastEEEviT_T0_T2_T3_T4_T5_
		.amdhsa_group_segment_fixed_size 0
		.amdhsa_private_segment_fixed_size 12
		.amdhsa_kernarg_size 28
		.amdhsa_user_sgpr_count 8
		.amdhsa_user_sgpr_private_segment_buffer 1
		.amdhsa_user_sgpr_dispatch_ptr 0
		.amdhsa_user_sgpr_queue_ptr 0
		.amdhsa_user_sgpr_kernarg_segment_ptr 1
		.amdhsa_user_sgpr_dispatch_id 0
		.amdhsa_user_sgpr_flat_scratch_init 1
		.amdhsa_user_sgpr_private_segment_size 0
		.amdhsa_uses_dynamic_stack 0
		.amdhsa_system_sgpr_private_segment_wavefront_offset 1
		.amdhsa_system_sgpr_workgroup_id_x 1
		.amdhsa_system_sgpr_workgroup_id_y 0
		.amdhsa_system_sgpr_workgroup_id_z 0
		.amdhsa_system_sgpr_workgroup_info 0
		.amdhsa_system_vgpr_workitem_id 0
		.amdhsa_next_free_vgpr 29
		.amdhsa_next_free_sgpr 37
		.amdhsa_reserve_vcc 1
		.amdhsa_reserve_flat_scratch 1
		.amdhsa_float_round_mode_32 0
		.amdhsa_float_round_mode_16_64 0
		.amdhsa_float_denorm_mode_32 3
		.amdhsa_float_denorm_mode_16_64 3
		.amdhsa_dx10_clamp 1
		.amdhsa_ieee_mode 1
		.amdhsa_fp16_overflow 0
		.amdhsa_exception_fp_ieee_invalid_op 0
		.amdhsa_exception_fp_denorm_src 0
		.amdhsa_exception_fp_ieee_div_zero 0
		.amdhsa_exception_fp_ieee_overflow 0
		.amdhsa_exception_fp_ieee_underflow 0
		.amdhsa_exception_fp_ieee_inexact 0
		.amdhsa_exception_int_div_zero 0
	.end_amdhsa_kernel
	.section	.text._ZN2at6native27unrolled_elementwise_kernelIZZZNS0_16asin_kernel_cudaERNS_18TensorIteratorBaseEENKUlvE_clEvENKUlvE1_clEvEUlN3c107complexINS6_4HalfEEEE_St5arrayIPcLm2EELi4E23TrivialOffsetCalculatorILi1EjESF_NS0_6memory15LoadWithoutCastENSG_16StoreWithoutCastEEEviT_T0_T2_T3_T4_T5_,"axG",@progbits,_ZN2at6native27unrolled_elementwise_kernelIZZZNS0_16asin_kernel_cudaERNS_18TensorIteratorBaseEENKUlvE_clEvENKUlvE1_clEvEUlN3c107complexINS6_4HalfEEEE_St5arrayIPcLm2EELi4E23TrivialOffsetCalculatorILi1EjESF_NS0_6memory15LoadWithoutCastENSG_16StoreWithoutCastEEEviT_T0_T2_T3_T4_T5_,comdat
.Lfunc_end26:
	.size	_ZN2at6native27unrolled_elementwise_kernelIZZZNS0_16asin_kernel_cudaERNS_18TensorIteratorBaseEENKUlvE_clEvENKUlvE1_clEvEUlN3c107complexINS6_4HalfEEEE_St5arrayIPcLm2EELi4E23TrivialOffsetCalculatorILi1EjESF_NS0_6memory15LoadWithoutCastENSG_16StoreWithoutCastEEEviT_T0_T2_T3_T4_T5_, .Lfunc_end26-_ZN2at6native27unrolled_elementwise_kernelIZZZNS0_16asin_kernel_cudaERNS_18TensorIteratorBaseEENKUlvE_clEvENKUlvE1_clEvEUlN3c107complexINS6_4HalfEEEE_St5arrayIPcLm2EELi4E23TrivialOffsetCalculatorILi1EjESF_NS0_6memory15LoadWithoutCastENSG_16StoreWithoutCastEEEviT_T0_T2_T3_T4_T5_
                                        ; -- End function
	.set _ZN2at6native27unrolled_elementwise_kernelIZZZNS0_16asin_kernel_cudaERNS_18TensorIteratorBaseEENKUlvE_clEvENKUlvE1_clEvEUlN3c107complexINS6_4HalfEEEE_St5arrayIPcLm2EELi4E23TrivialOffsetCalculatorILi1EjESF_NS0_6memory15LoadWithoutCastENSG_16StoreWithoutCastEEEviT_T0_T2_T3_T4_T5_.num_vgpr, max(29, .L_ZN3c104guts5applyIRZZZN2at6native16asin_kernel_cudaERNS2_18TensorIteratorBaseEENKUlvE_clEvENKUlvE1_clEvEUlNS_7complexINS_4HalfEEEE_RSt5tupleIJSA_EEEEDaOT_OT0_.num_vgpr)
	.set _ZN2at6native27unrolled_elementwise_kernelIZZZNS0_16asin_kernel_cudaERNS_18TensorIteratorBaseEENKUlvE_clEvENKUlvE1_clEvEUlN3c107complexINS6_4HalfEEEE_St5arrayIPcLm2EELi4E23TrivialOffsetCalculatorILi1EjESF_NS0_6memory15LoadWithoutCastENSG_16StoreWithoutCastEEEviT_T0_T2_T3_T4_T5_.num_agpr, max(0, .L_ZN3c104guts5applyIRZZZN2at6native16asin_kernel_cudaERNS2_18TensorIteratorBaseEENKUlvE_clEvENKUlvE1_clEvEUlNS_7complexINS_4HalfEEEE_RSt5tupleIJSA_EEEEDaOT_OT0_.num_agpr)
	.set _ZN2at6native27unrolled_elementwise_kernelIZZZNS0_16asin_kernel_cudaERNS_18TensorIteratorBaseEENKUlvE_clEvENKUlvE1_clEvEUlN3c107complexINS6_4HalfEEEE_St5arrayIPcLm2EELi4E23TrivialOffsetCalculatorILi1EjESF_NS0_6memory15LoadWithoutCastENSG_16StoreWithoutCastEEEviT_T0_T2_T3_T4_T5_.numbered_sgpr, max(37, .L_ZN3c104guts5applyIRZZZN2at6native16asin_kernel_cudaERNS2_18TensorIteratorBaseEENKUlvE_clEvENKUlvE1_clEvEUlNS_7complexINS_4HalfEEEE_RSt5tupleIJSA_EEEEDaOT_OT0_.numbered_sgpr)
	.set _ZN2at6native27unrolled_elementwise_kernelIZZZNS0_16asin_kernel_cudaERNS_18TensorIteratorBaseEENKUlvE_clEvENKUlvE1_clEvEUlN3c107complexINS6_4HalfEEEE_St5arrayIPcLm2EELi4E23TrivialOffsetCalculatorILi1EjESF_NS0_6memory15LoadWithoutCastENSG_16StoreWithoutCastEEEviT_T0_T2_T3_T4_T5_.num_named_barrier, max(0, .L_ZN3c104guts5applyIRZZZN2at6native16asin_kernel_cudaERNS2_18TensorIteratorBaseEENKUlvE_clEvENKUlvE1_clEvEUlNS_7complexINS_4HalfEEEE_RSt5tupleIJSA_EEEEDaOT_OT0_.num_named_barrier)
	.set _ZN2at6native27unrolled_elementwise_kernelIZZZNS0_16asin_kernel_cudaERNS_18TensorIteratorBaseEENKUlvE_clEvENKUlvE1_clEvEUlN3c107complexINS6_4HalfEEEE_St5arrayIPcLm2EELi4E23TrivialOffsetCalculatorILi1EjESF_NS0_6memory15LoadWithoutCastENSG_16StoreWithoutCastEEEviT_T0_T2_T3_T4_T5_.private_seg_size, 0+max(.L_ZN3c104guts5applyIRZZZN2at6native16asin_kernel_cudaERNS2_18TensorIteratorBaseEENKUlvE_clEvENKUlvE1_clEvEUlNS_7complexINS_4HalfEEEE_RSt5tupleIJSA_EEEEDaOT_OT0_.private_seg_size)
	.set _ZN2at6native27unrolled_elementwise_kernelIZZZNS0_16asin_kernel_cudaERNS_18TensorIteratorBaseEENKUlvE_clEvENKUlvE1_clEvEUlN3c107complexINS6_4HalfEEEE_St5arrayIPcLm2EELi4E23TrivialOffsetCalculatorILi1EjESF_NS0_6memory15LoadWithoutCastENSG_16StoreWithoutCastEEEviT_T0_T2_T3_T4_T5_.uses_vcc, or(1, .L_ZN3c104guts5applyIRZZZN2at6native16asin_kernel_cudaERNS2_18TensorIteratorBaseEENKUlvE_clEvENKUlvE1_clEvEUlNS_7complexINS_4HalfEEEE_RSt5tupleIJSA_EEEEDaOT_OT0_.uses_vcc)
	.set _ZN2at6native27unrolled_elementwise_kernelIZZZNS0_16asin_kernel_cudaERNS_18TensorIteratorBaseEENKUlvE_clEvENKUlvE1_clEvEUlN3c107complexINS6_4HalfEEEE_St5arrayIPcLm2EELi4E23TrivialOffsetCalculatorILi1EjESF_NS0_6memory15LoadWithoutCastENSG_16StoreWithoutCastEEEviT_T0_T2_T3_T4_T5_.uses_flat_scratch, or(1, .L_ZN3c104guts5applyIRZZZN2at6native16asin_kernel_cudaERNS2_18TensorIteratorBaseEENKUlvE_clEvENKUlvE1_clEvEUlNS_7complexINS_4HalfEEEE_RSt5tupleIJSA_EEEEDaOT_OT0_.uses_flat_scratch)
	.set _ZN2at6native27unrolled_elementwise_kernelIZZZNS0_16asin_kernel_cudaERNS_18TensorIteratorBaseEENKUlvE_clEvENKUlvE1_clEvEUlN3c107complexINS6_4HalfEEEE_St5arrayIPcLm2EELi4E23TrivialOffsetCalculatorILi1EjESF_NS0_6memory15LoadWithoutCastENSG_16StoreWithoutCastEEEviT_T0_T2_T3_T4_T5_.has_dyn_sized_stack, or(0, .L_ZN3c104guts5applyIRZZZN2at6native16asin_kernel_cudaERNS2_18TensorIteratorBaseEENKUlvE_clEvENKUlvE1_clEvEUlNS_7complexINS_4HalfEEEE_RSt5tupleIJSA_EEEEDaOT_OT0_.has_dyn_sized_stack)
	.set _ZN2at6native27unrolled_elementwise_kernelIZZZNS0_16asin_kernel_cudaERNS_18TensorIteratorBaseEENKUlvE_clEvENKUlvE1_clEvEUlN3c107complexINS6_4HalfEEEE_St5arrayIPcLm2EELi4E23TrivialOffsetCalculatorILi1EjESF_NS0_6memory15LoadWithoutCastENSG_16StoreWithoutCastEEEviT_T0_T2_T3_T4_T5_.has_recursion, or(0, .L_ZN3c104guts5applyIRZZZN2at6native16asin_kernel_cudaERNS2_18TensorIteratorBaseEENKUlvE_clEvENKUlvE1_clEvEUlNS_7complexINS_4HalfEEEE_RSt5tupleIJSA_EEEEDaOT_OT0_.has_recursion)
	.set _ZN2at6native27unrolled_elementwise_kernelIZZZNS0_16asin_kernel_cudaERNS_18TensorIteratorBaseEENKUlvE_clEvENKUlvE1_clEvEUlN3c107complexINS6_4HalfEEEE_St5arrayIPcLm2EELi4E23TrivialOffsetCalculatorILi1EjESF_NS0_6memory15LoadWithoutCastENSG_16StoreWithoutCastEEEviT_T0_T2_T3_T4_T5_.has_indirect_call, or(0, .L_ZN3c104guts5applyIRZZZN2at6native16asin_kernel_cudaERNS2_18TensorIteratorBaseEENKUlvE_clEvENKUlvE1_clEvEUlNS_7complexINS_4HalfEEEE_RSt5tupleIJSA_EEEEDaOT_OT0_.has_indirect_call)
	.section	.AMDGPU.csdata,"",@progbits
; Kernel info:
; codeLenInByte = 828
; TotalNumSgprs: 43
; NumVgprs: 29
; ScratchSize: 12
; MemoryBound: 0
; FloatMode: 240
; IeeeMode: 1
; LDSByteSize: 0 bytes/workgroup (compile time only)
; SGPRBlocks: 5
; VGPRBlocks: 7
; NumSGPRsForWavesPerEU: 43
; NumVGPRsForWavesPerEU: 29
; Occupancy: 8
; WaveLimiterHint : 0
; COMPUTE_PGM_RSRC2:SCRATCH_EN: 1
; COMPUTE_PGM_RSRC2:USER_SGPR: 8
; COMPUTE_PGM_RSRC2:TRAP_HANDLER: 0
; COMPUTE_PGM_RSRC2:TGID_X_EN: 1
; COMPUTE_PGM_RSRC2:TGID_Y_EN: 0
; COMPUTE_PGM_RSRC2:TGID_Z_EN: 0
; COMPUTE_PGM_RSRC2:TIDIG_COMP_CNT: 0
	.text
	.p2align	2                               ; -- Begin function _ZN2at6native6invokeIZZZNS0_16asin_kernel_cudaERNS_18TensorIteratorBaseEENKUlvE_clEvENKUlvE1_clEvEUlN3c107complexINS6_4HalfEEEE_j15function_traitsISA_EEENT1_11result_typeERKT_PrKPcPKT0_i
	.type	_ZN2at6native6invokeIZZZNS0_16asin_kernel_cudaERNS_18TensorIteratorBaseEENKUlvE_clEvENKUlvE1_clEvEUlN3c107complexINS6_4HalfEEEE_j15function_traitsISA_EEENT1_11result_typeERKT_PrKPcPKT0_i,@function
_ZN2at6native6invokeIZZZNS0_16asin_kernel_cudaERNS_18TensorIteratorBaseEENKUlvE_clEvENKUlvE1_clEvEUlN3c107complexINS6_4HalfEEEE_j15function_traitsISA_EEENT1_11result_typeERKT_PrKPcPKT0_i: ; @_ZN2at6native6invokeIZZZNS0_16asin_kernel_cudaERNS_18TensorIteratorBaseEENKUlvE_clEvENKUlvE1_clEvEUlN3c107complexINS6_4HalfEEEE_j15function_traitsISA_EEENT1_11result_typeERKT_PrKPcPKT0_i
; %bb.0:
	s_waitcnt vmcnt(0) expcnt(0) lgkmcnt(0)
	v_add_co_u32_e32 v0, vcc, v0, v2
	v_addc_co_u32_e32 v1, vcc, 0, v1, vcc
	flat_load_dword v2, v[0:1]
	s_waitcnt vmcnt(0) lgkmcnt(0)
	v_cvt_f32_f16_e32 v1, v2
	v_cvt_f32_f16_sdwa v0, v2 dst_sel:DWORD dst_unused:UNUSED_PAD src0_sel:WORD_1
	v_cmp_o_f16_sdwa s[4:5], v2, v2 src0_sel:WORD_1 src1_sel:DWORD
	s_and_saveexec_b64 s[6:7], s[4:5]
	s_xor_b64 s[8:9], exec, s[6:7]
	s_cbranch_execz .LBB27_84
; %bb.1:
	v_max_f32_e64 v5, |v0|, |v0|
	v_max_f32_e64 v3, |v1|, |v1|
	v_max_f32_e32 v6, v3, v5
	s_mov_b32 s4, 0x4b000000
	v_cmp_nlt_f32_e32 vcc, s4, v6
	s_and_saveexec_b64 s[4:5], vcc
	s_xor_b64 s[6:7], exec, s[4:5]
	s_cbranch_execz .LBB27_61
; %bb.2:
	v_mov_b32_e32 v3, 0
	v_cmp_neq_f16_sdwa s[4:5], v2, v3 src0_sel:WORD_1 src1_sel:DWORD
	v_cmp_neq_f16_e32 vcc, 0, v2
	s_or_b64 s[4:5], vcc, s[4:5]
	s_and_saveexec_b64 s[10:11], s[4:5]
	s_cbranch_execz .LBB27_60
; %bb.3:
	s_mov_b64 s[4:5], src_private_base
	s_lshr_b32 s4, s32, 6
	v_mov_b32_e32 v2, s4
	v_mov_b32_e32 v4, 0xd800000
	;; [unrolled: 1-line block ×3, first 2 shown]
	flat_store_dword v[2:3], v4
	s_waitcnt vmcnt(0)
	flat_load_dword v2, v[2:3] glc
	s_waitcnt vmcnt(0)
	s_lshr_b32 s4, s32, 6
	s_add_i32 s4, s4, 4
	s_mov_b32 s12, 0x395db3d7
	s_waitcnt lgkmcnt(0)
	v_add_f32_e32 v4, 1.0, v2
	v_mov_b32_e32 v2, s4
	v_mov_b32_e32 v3, s5
	flat_store_dword v[2:3], v4
	s_waitcnt vmcnt(0)
	flat_load_dword v2, v[2:3] glc
	s_waitcnt vmcnt(0)
	v_cmp_nlt_f32_e64 s[4:5], |v0|, s12
	v_cmp_nlt_f32_e64 s[12:13], |v1|, s12
	s_or_b64 s[4:5], s[12:13], s[4:5]
	s_and_saveexec_b64 s[12:13], s[4:5]
	s_cbranch_execz .LBB27_59
; %bb.4:
	v_add_f32_e64 v4, |v1|, 1.0
	s_waitcnt lgkmcnt(0)
	v_max_f32_e32 v2, v5, v4
	v_add_f32_e64 v3, |v1|, -1.0
	v_cvt_f64_f32_e32 v[6:7], v2
	v_max_f32_e64 v5, v5, |v3|
	v_cvt_f64_f32_e32 v[8:9], v5
	s_mov_b32 s16, 0x7f800000
	v_frexp_exp_i32_f64_e32 v6, v[6:7]
	v_cmp_neq_f32_e32 vcc, s16, v2
	v_frexp_exp_i32_f64_e32 v8, v[8:9]
	v_mov_b32_e32 v9, 0x7f800000
	s_mov_b32 s4, 0x41200000
	v_sub_u32_e32 v7, 0, v6
	v_ldexp_f32 v11, |v0|, v7
	v_sub_u32_e32 v10, 0, v8
	v_ldexp_f32 v7, v4, v7
	v_ldexp_f32 v12, |v0|, v10
	v_ldexp_f32 v10, |v3|, v10
	v_mul_f32_e32 v7, v7, v7
	v_fmac_f32_e32 v7, v11, v11
	v_mul_f32_e32 v10, v10, v10
	v_sqrt_f32_e32 v7, v7
	v_fmac_f32_e32 v10, v12, v12
	v_sqrt_f32_e32 v10, v10
	v_ldexp_f32 v6, v7, v6
	v_cndmask_b32_e32 v7, v9, v6, vcc
	v_ldexp_f32 v2, v10, v8
	v_cmp_neq_f32_e32 vcc, s16, v5
	v_cndmask_b32_e32 v5, v9, v2, vcc
	v_add_f32_e32 v2, v7, v5
	v_mul_f32_e32 v2, 0.5, v2
	v_cmp_ngt_f32_e32 vcc, 1.0, v2
	v_cndmask_b32_e32 v2, 1.0, v2, vcc
	v_cmp_ngt_f32_e32 vcc, s4, v2
                                        ; implicit-def: $vgpr8
	s_and_saveexec_b64 s[4:5], vcc
	s_xor_b64 s[14:15], exec, s[4:5]
	s_cbranch_execz .LBB27_6
; %bb.5:
	v_fma_f32 v6, v2, v2, -1.0
	s_mov_b32 s4, 0xf800000
	v_mul_f32_e32 v8, 0x4f800000, v6
	v_cmp_gt_f32_e32 vcc, s4, v6
	v_cndmask_b32_e32 v6, v6, v8, vcc
	v_sqrt_f32_e32 v8, v6
	v_add_u32_e32 v9, -1, v8
	v_fma_f32 v10, -v9, v8, v6
	v_cmp_ge_f32_e64 s[4:5], 0, v10
	v_add_u32_e32 v10, 1, v8
	v_cndmask_b32_e64 v9, v8, v9, s[4:5]
	v_fma_f32 v8, -v10, v8, v6
	v_cmp_lt_f32_e64 s[4:5], 0, v8
	v_cndmask_b32_e64 v8, v9, v10, s[4:5]
	v_mul_f32_e32 v9, 0x37800000, v8
	v_cndmask_b32_e32 v8, v8, v9, vcc
	v_mov_b32_e32 v9, 0x260
	v_cmp_class_f32_e32 vcc, v6, v9
	v_cndmask_b32_e32 v6, v8, v6, vcc
	v_add_f32_e32 v6, v2, v6
	s_mov_b32 s4, 0x800000
	v_cmp_gt_f32_e32 vcc, s4, v6
	v_cndmask_b32_e64 v8, 0, 32, vcc
	v_ldexp_f32 v6, v6, v8
	v_log_f32_e32 v6, v6
	s_mov_b32 s4, 0x3f317217
	v_mul_f32_e32 v8, 0x3f317217, v6
	v_fma_f32 v8, v6, s4, -v8
	v_fmac_f32_e32 v8, 0x3377d1cf, v6
	v_fmac_f32_e32 v8, 0x3f317217, v6
	v_cmp_lt_f32_e64 s[4:5], |v6|, s16
	v_cndmask_b32_e64 v6, v6, v8, s[4:5]
	v_mov_b32_e32 v8, 0x41b17218
	v_cndmask_b32_e32 v8, 0, v8, vcc
	v_sub_f32_e32 v8, v6, v8
.LBB27_6:
	s_or_saveexec_b64 s[14:15], s[14:15]
	v_and_b32_e32 v6, 0x7fffffff, v0
	s_xor_b64 exec, exec, s[14:15]
	s_cbranch_execz .LBB27_28
; %bb.7:
	s_mov_b32 s16, 0x25000000
	v_cmp_neq_f32_e64 s[4:5], |v1|, 1.0
	v_cmp_nlt_f32_e64 s[16:17], |v0|, s16
	s_or_b64 s[4:5], s[4:5], s[16:17]
                                        ; implicit-def: $vgpr8
	s_and_saveexec_b64 s[16:17], s[4:5]
	s_xor_b64 s[16:17], exec, s[16:17]
	s_cbranch_execz .LBB27_25
; %bb.8:
	s_brev_b32 s4, 44
	v_mul_f32_e64 v8, |v3|, s4
	v_cmp_ge_f32_e64 s[4:5], |v0|, v8
                                        ; implicit-def: $vgpr8
	s_and_saveexec_b64 s[18:19], s[4:5]
	s_xor_b64 s[18:19], exec, s[18:19]
	s_cbranch_execz .LBB27_18
; %bb.9:
	v_cmp_neq_f32_e32 vcc, 0, v4
	v_mov_b32_e32 v8, v6
	s_and_saveexec_b64 s[4:5], vcc
	s_cbranch_execz .LBB27_11
; %bb.10:
	v_mul_f32_e32 v8, v0, v0
	v_add_f32_e32 v9, v4, v7
	v_div_scale_f32 v10, s[20:21], v9, v9, v8
	v_div_scale_f32 v11, vcc, v8, v9, v8
	v_rcp_f32_e32 v12, v10
	v_fma_f32 v13, -v10, v12, 1.0
	v_fmac_f32_e32 v12, v13, v12
	v_mul_f32_e32 v13, v11, v12
	v_fma_f32 v14, -v10, v13, v11
	v_fmac_f32_e32 v13, v14, v12
	v_fma_f32 v10, -v10, v13, v11
	v_div_fmas_f32 v10, v10, v12, v13
	v_div_fixup_f32 v8, v10, v9, v8
.LBB27_11:
	s_or_b64 exec, exec, s[4:5]
	v_sub_f32_e64 v10, 1.0, |v1|
	v_cmp_ngt_f32_e32 vcc, 0, v10
                                        ; implicit-def: $vgpr9
	s_and_saveexec_b64 s[4:5], vcc
	s_xor_b64 s[4:5], exec, s[4:5]
	s_cbranch_execz .LBB27_15
; %bb.12:
	v_cmp_neq_f32_e32 vcc, 0, v10
	v_mov_b32_e32 v9, v6
	s_and_saveexec_b64 s[20:21], vcc
	s_cbranch_execz .LBB27_14
; %bb.13:
	v_mul_f32_e32 v9, v0, v0
	v_add_f32_e32 v10, v10, v5
	v_div_scale_f32 v11, s[22:23], v10, v10, v9
	v_div_scale_f32 v12, vcc, v9, v10, v9
	v_rcp_f32_e32 v13, v11
	v_fma_f32 v14, -v11, v13, 1.0
	v_fmac_f32_e32 v13, v14, v13
	v_mul_f32_e32 v14, v12, v13
	v_fma_f32 v15, -v11, v14, v12
	v_fmac_f32_e32 v14, v15, v13
	v_fma_f32 v11, -v11, v14, v12
	v_div_fmas_f32 v11, v11, v13, v14
	v_div_fixup_f32 v9, v11, v10, v9
.LBB27_14:
	s_or_b64 exec, exec, s[20:21]
                                        ; implicit-def: $vgpr10
.LBB27_15:
	s_andn2_saveexec_b64 s[4:5], s[4:5]
; %bb.16:
	v_sub_f32_e32 v9, v5, v10
; %bb.17:
	s_or_b64 exec, exec, s[4:5]
	v_mul_f32_e32 v9, 0.5, v9
	v_fmac_f32_e32 v9, 0.5, v8
	v_add_f32_e32 v8, 1.0, v2
	v_mul_f32_e32 v8, v8, v9
	s_mov_b32 s4, 0xf800000
	v_mul_f32_e32 v10, 0x4f800000, v8
	v_cmp_gt_f32_e32 vcc, s4, v8
	v_cndmask_b32_e32 v8, v8, v10, vcc
	v_sqrt_f32_e32 v10, v8
	v_add_u32_e32 v11, -1, v10
	v_fma_f32 v12, -v11, v10, v8
	v_cmp_ge_f32_e64 s[4:5], 0, v12
	v_add_u32_e32 v12, 1, v10
	v_cndmask_b32_e64 v11, v10, v11, s[4:5]
	v_fma_f32 v10, -v12, v10, v8
	v_cmp_lt_f32_e64 s[4:5], 0, v10
	v_cndmask_b32_e64 v10, v11, v12, s[4:5]
	v_mul_f32_e32 v11, 0x37800000, v10
	v_cndmask_b32_e32 v10, v10, v11, vcc
	v_mov_b32_e32 v11, 0x260
	v_cmp_class_f32_e32 vcc, v8, v11
	v_cndmask_b32_e32 v8, v10, v8, vcc
	v_add_f32_e32 v8, v9, v8
	v_add_f32_e32 v11, 1.0, v8
	v_cvt_f64_f32_e32 v[9:10], v11
	v_add_f32_e32 v12, -1.0, v11
	v_sub_f32_e32 v13, v12, v11
	v_sub_f32_e32 v12, v8, v12
	v_frexp_exp_i32_f64_e32 v9, v[9:10]
	v_add_f32_e32 v10, 1.0, v13
	v_add_f32_e32 v10, v12, v10
	v_frexp_mant_f32_e32 v12, v11
	s_mov_b32 s4, 0x3f2aaaab
	v_cmp_gt_f32_e32 vcc, s4, v12
	s_mov_b32 s4, 0x3f317218
	v_subbrev_co_u32_e32 v9, vcc, 0, v9, vcc
	v_sub_u32_e32 v12, 0, v9
	v_ldexp_f32 v11, v11, v12
	v_ldexp_f32 v10, v10, v12
	v_add_f32_e32 v12, -1.0, v11
	v_add_f32_e32 v15, 1.0, v11
	v_add_f32_e32 v13, 1.0, v12
	v_add_f32_e32 v16, -1.0, v15
	v_sub_f32_e32 v13, v11, v13
	v_sub_f32_e32 v11, v11, v16
	v_add_f32_e32 v13, v10, v13
	v_add_f32_e32 v10, v10, v11
	;; [unrolled: 1-line block ×3, first 2 shown]
	v_rcp_f32_e32 v16, v11
	v_add_f32_e32 v14, v12, v13
	v_sub_f32_e32 v12, v14, v12
	v_sub_f32_e32 v12, v13, v12
	;; [unrolled: 1-line block ×4, first 2 shown]
	v_mul_f32_e32 v13, v14, v16
	v_mul_f32_e32 v15, v11, v13
	v_fma_f32 v17, v13, v11, -v15
	v_fmac_f32_e32 v17, v13, v10
	v_add_f32_e32 v18, v15, v17
	v_sub_f32_e32 v19, v14, v18
	v_sub_f32_e32 v14, v14, v19
	;; [unrolled: 1-line block ×4, first 2 shown]
	v_add_f32_e32 v12, v12, v14
	v_sub_f32_e32 v14, v15, v17
	v_add_f32_e32 v12, v14, v12
	v_add_f32_e32 v14, v19, v12
	v_mul_f32_e32 v15, v16, v14
	v_mul_f32_e32 v17, v11, v15
	v_fma_f32 v11, v15, v11, -v17
	v_fmac_f32_e32 v11, v15, v10
	v_sub_f32_e32 v10, v19, v14
	v_add_f32_e32 v10, v12, v10
	v_add_f32_e32 v12, v17, v11
	v_sub_f32_e32 v18, v14, v12
	v_sub_f32_e32 v14, v14, v18
	;; [unrolled: 1-line block ×4, first 2 shown]
	v_add_f32_e32 v10, v10, v12
	v_sub_f32_e32 v11, v17, v11
	v_add_f32_e32 v10, v11, v10
	v_add_f32_e32 v11, v13, v15
	;; [unrolled: 1-line block ×3, first 2 shown]
	v_sub_f32_e32 v12, v11, v13
	v_mul_f32_e32 v10, v16, v10
	v_sub_f32_e32 v12, v15, v12
	v_add_f32_e32 v10, v12, v10
	v_cvt_f32_i32_e32 v9, v9
	v_add_f32_e32 v12, v11, v10
	v_mul_f32_e32 v13, v12, v12
	v_mov_b32_e32 v14, 0x3ecc95a3
	v_fmac_f32_e32 v14, 0x3e9b6dac, v13
	v_mov_b32_e32 v15, 0x3f2aaada
	v_fmac_f32_e32 v15, v13, v14
	v_mul_f32_e32 v14, 0x3f317218, v9
	v_fma_f32 v16, v9, s4, -v14
	v_fmac_f32_e32 v16, 0xb102e308, v9
	v_sub_f32_e32 v9, v12, v11
	v_sub_f32_e32 v9, v10, v9
	v_add_f32_e32 v10, v14, v16
	v_sub_f32_e32 v11, v10, v14
	v_ldexp_f32 v14, v12, 1
	v_mul_f32_e32 v12, v12, v13
	v_mul_f32_e32 v12, v12, v15
	v_add_f32_e32 v13, v14, v12
	v_sub_f32_e32 v14, v13, v14
	v_ldexp_f32 v9, v9, 1
	v_sub_f32_e32 v12, v12, v14
	v_add_f32_e32 v9, v9, v12
	v_add_f32_e32 v12, v13, v9
	v_sub_f32_e32 v13, v12, v13
	v_sub_f32_e32 v9, v9, v13
	v_add_f32_e32 v13, v10, v12
	v_sub_f32_e32 v14, v13, v10
	v_sub_f32_e32 v15, v13, v14
	v_sub_f32_e32 v11, v16, v11
	v_sub_f32_e32 v10, v10, v15
	v_sub_f32_e32 v12, v12, v14
	v_add_f32_e32 v10, v12, v10
	v_add_f32_e32 v12, v11, v9
	v_sub_f32_e32 v14, v12, v11
	v_sub_f32_e32 v15, v12, v14
	;; [unrolled: 1-line block ×4, first 2 shown]
	v_add_f32_e32 v10, v12, v10
	v_add_f32_e32 v9, v9, v11
	;; [unrolled: 1-line block ×3, first 2 shown]
	v_sub_f32_e32 v12, v11, v13
	v_sub_f32_e32 v10, v10, v12
	v_add_f32_e32 v9, v9, v10
	s_mov_b32 s4, 0x7f800000
	v_add_f32_e32 v9, v11, v9
	v_mov_b32_e32 v10, 0x7f800000
	v_cmp_neq_f32_e32 vcc, s4, v8
	v_cndmask_b32_e32 v9, v10, v9, vcc
	v_mov_b32_e32 v10, 0x7fc00000
	v_cmp_ngt_f32_e32 vcc, -1.0, v8
	v_cndmask_b32_e32 v9, v10, v9, vcc
	v_mov_b32_e32 v10, 0xff800000
	v_cmp_neq_f32_e32 vcc, -1.0, v8
	s_mov_b32 s4, 0x33800000
	v_cndmask_b32_e32 v9, v10, v9, vcc
	v_cmp_lt_f32_e64 vcc, |v8|, s4
	v_cndmask_b32_e32 v8, v9, v8, vcc
.LBB27_18:
	s_andn2_saveexec_b64 s[18:19], s[18:19]
	s_cbranch_execz .LBB27_24
; %bb.19:
	v_cmp_nlt_f32_e64 s[4:5], |v1|, 1.0
                                        ; implicit-def: $vgpr8
	s_and_saveexec_b64 s[20:21], s[4:5]
	s_xor_b64 s[20:21], exec, s[20:21]
	s_cbranch_execz .LBB27_21
; %bb.20:
	v_mul_f32_e32 v8, v3, v4
	s_mov_b32 s4, 0xf800000
	v_mul_f32_e32 v9, 0x4f800000, v8
	v_cmp_gt_f32_e32 vcc, s4, v8
	v_cndmask_b32_e32 v8, v8, v9, vcc
	v_sqrt_f32_e32 v9, v8
	v_add_u32_e32 v10, -1, v9
	v_fma_f32 v11, -v10, v9, v8
	v_cmp_ge_f32_e64 s[4:5], 0, v11
	v_add_u32_e32 v11, 1, v9
	v_cndmask_b32_e64 v10, v9, v10, s[4:5]
	v_fma_f32 v9, -v11, v9, v8
	v_cmp_lt_f32_e64 s[4:5], 0, v9
	v_cndmask_b32_e64 v9, v10, v11, s[4:5]
	v_mul_f32_e32 v10, 0x37800000, v9
	v_cndmask_b32_e32 v9, v9, v10, vcc
	v_mov_b32_e32 v10, 0x260
	v_cmp_class_f32_e32 vcc, v8, v10
	v_cndmask_b32_e32 v8, v9, v8, vcc
	v_add_f32_e32 v8, v3, v8
	v_add_f32_e32 v11, 1.0, v8
	v_cvt_f64_f32_e32 v[9:10], v11
	v_add_f32_e32 v12, -1.0, v11
	v_sub_f32_e32 v13, v12, v11
	v_sub_f32_e32 v12, v8, v12
	v_frexp_exp_i32_f64_e32 v9, v[9:10]
	v_add_f32_e32 v10, 1.0, v13
	v_add_f32_e32 v10, v12, v10
	v_frexp_mant_f32_e32 v12, v11
	s_mov_b32 s4, 0x3f2aaaab
	v_cmp_gt_f32_e32 vcc, s4, v12
	s_mov_b32 s4, 0x3f317218
	v_subbrev_co_u32_e32 v9, vcc, 0, v9, vcc
	v_sub_u32_e32 v12, 0, v9
	v_ldexp_f32 v11, v11, v12
	v_ldexp_f32 v10, v10, v12
	v_add_f32_e32 v12, -1.0, v11
	v_add_f32_e32 v15, 1.0, v11
	v_add_f32_e32 v13, 1.0, v12
	v_add_f32_e32 v16, -1.0, v15
	v_sub_f32_e32 v13, v11, v13
	v_sub_f32_e32 v11, v11, v16
	v_add_f32_e32 v13, v10, v13
	v_add_f32_e32 v10, v10, v11
	;; [unrolled: 1-line block ×3, first 2 shown]
	v_rcp_f32_e32 v16, v11
	v_add_f32_e32 v14, v12, v13
	v_sub_f32_e32 v12, v14, v12
	v_sub_f32_e32 v12, v13, v12
	v_sub_f32_e32 v13, v11, v15
	v_sub_f32_e32 v10, v10, v13
	v_mul_f32_e32 v13, v14, v16
	v_mul_f32_e32 v15, v11, v13
	v_fma_f32 v17, v13, v11, -v15
	v_fmac_f32_e32 v17, v13, v10
	v_add_f32_e32 v18, v15, v17
	v_sub_f32_e32 v19, v14, v18
	v_sub_f32_e32 v14, v14, v19
	;; [unrolled: 1-line block ×4, first 2 shown]
	v_add_f32_e32 v12, v12, v14
	v_sub_f32_e32 v14, v15, v17
	v_add_f32_e32 v12, v14, v12
	v_add_f32_e32 v14, v19, v12
	v_mul_f32_e32 v15, v16, v14
	v_mul_f32_e32 v17, v11, v15
	v_fma_f32 v11, v15, v11, -v17
	v_fmac_f32_e32 v11, v15, v10
	v_sub_f32_e32 v10, v19, v14
	v_add_f32_e32 v10, v12, v10
	v_add_f32_e32 v12, v17, v11
	v_sub_f32_e32 v18, v14, v12
	v_sub_f32_e32 v14, v14, v18
	v_sub_f32_e32 v17, v12, v17
	v_sub_f32_e32 v12, v14, v12
	v_add_f32_e32 v10, v10, v12
	v_sub_f32_e32 v11, v17, v11
	v_add_f32_e32 v10, v11, v10
	v_add_f32_e32 v11, v13, v15
	;; [unrolled: 1-line block ×3, first 2 shown]
	v_sub_f32_e32 v12, v11, v13
	v_mul_f32_e32 v10, v16, v10
	v_sub_f32_e32 v12, v15, v12
	v_add_f32_e32 v10, v12, v10
	v_cvt_f32_i32_e32 v9, v9
	v_add_f32_e32 v12, v11, v10
	v_mul_f32_e32 v13, v12, v12
	v_mov_b32_e32 v14, 0x3ecc95a3
	v_fmac_f32_e32 v14, 0x3e9b6dac, v13
	v_mov_b32_e32 v15, 0x3f2aaada
	v_fmac_f32_e32 v15, v13, v14
	v_mul_f32_e32 v14, 0x3f317218, v9
	v_fma_f32 v16, v9, s4, -v14
	v_fmac_f32_e32 v16, 0xb102e308, v9
	v_sub_f32_e32 v9, v12, v11
	v_sub_f32_e32 v9, v10, v9
	v_add_f32_e32 v10, v14, v16
	v_sub_f32_e32 v11, v10, v14
	v_ldexp_f32 v14, v12, 1
	v_mul_f32_e32 v12, v12, v13
	v_mul_f32_e32 v12, v12, v15
	v_add_f32_e32 v13, v14, v12
	v_sub_f32_e32 v14, v13, v14
	v_ldexp_f32 v9, v9, 1
	v_sub_f32_e32 v12, v12, v14
	v_add_f32_e32 v9, v9, v12
	v_add_f32_e32 v12, v13, v9
	v_sub_f32_e32 v13, v12, v13
	v_sub_f32_e32 v9, v9, v13
	v_add_f32_e32 v13, v10, v12
	v_sub_f32_e32 v14, v13, v10
	v_sub_f32_e32 v15, v13, v14
	;; [unrolled: 1-line block ×5, first 2 shown]
	v_add_f32_e32 v10, v12, v10
	v_add_f32_e32 v12, v11, v9
	v_sub_f32_e32 v14, v12, v11
	v_sub_f32_e32 v15, v12, v14
	;; [unrolled: 1-line block ×4, first 2 shown]
	v_add_f32_e32 v10, v12, v10
	v_add_f32_e32 v9, v9, v11
	;; [unrolled: 1-line block ×3, first 2 shown]
	v_sub_f32_e32 v12, v11, v13
	v_sub_f32_e32 v10, v10, v12
	v_add_f32_e32 v9, v9, v10
	s_mov_b32 s4, 0x7f800000
	v_add_f32_e32 v9, v11, v9
	v_mov_b32_e32 v10, 0x7f800000
	v_cmp_neq_f32_e32 vcc, s4, v8
	v_cndmask_b32_e32 v9, v10, v9, vcc
	v_mov_b32_e32 v10, 0x7fc00000
	v_cmp_ngt_f32_e32 vcc, -1.0, v8
	v_cndmask_b32_e32 v9, v10, v9, vcc
	v_mov_b32_e32 v10, 0xff800000
	v_cmp_neq_f32_e32 vcc, -1.0, v8
	s_mov_b32 s4, 0x33800000
	v_cndmask_b32_e32 v9, v10, v9, vcc
	v_cmp_lt_f32_e64 vcc, |v8|, s4
	v_cndmask_b32_e32 v8, v9, v8, vcc
.LBB27_21:
	s_andn2_saveexec_b64 s[20:21], s[20:21]
	s_cbranch_execz .LBB27_23
; %bb.22:
	v_sub_f32_e64 v8, 1.0, |v1|
	v_mul_f32_e32 v8, v8, v4
	s_mov_b32 s4, 0xf800000
	v_mul_f32_e32 v9, 0x4f800000, v8
	v_cmp_gt_f32_e32 vcc, s4, v8
	v_cndmask_b32_e32 v8, v8, v9, vcc
	v_sqrt_f32_e32 v9, v8
	v_add_u32_e32 v10, -1, v9
	v_fma_f32 v11, -v10, v9, v8
	v_cmp_ge_f32_e64 s[4:5], 0, v11
	v_add_u32_e32 v11, 1, v9
	v_cndmask_b32_e64 v10, v9, v10, s[4:5]
	v_fma_f32 v9, -v11, v9, v8
	v_cmp_lt_f32_e64 s[4:5], 0, v9
	v_cndmask_b32_e64 v9, v10, v11, s[4:5]
	v_mul_f32_e32 v10, 0x37800000, v9
	v_cndmask_b32_e32 v9, v9, v10, vcc
	v_mov_b32_e32 v10, 0x260
	v_cmp_class_f32_e32 vcc, v8, v10
	v_cndmask_b32_e32 v8, v9, v8, vcc
	v_and_b32_e32 v9, 0x7fffffff, v0
	v_div_scale_f32 v10, s[4:5], v8, v8, v9
	v_div_scale_f32 v9, vcc, v9, v8, v9
	v_rcp_f32_e32 v11, v10
	v_fma_f32 v12, -v10, v11, 1.0
	v_fmac_f32_e32 v11, v12, v11
	v_mul_f32_e32 v12, v9, v11
	v_fma_f32 v13, -v10, v12, v9
	v_fmac_f32_e32 v12, v13, v11
	v_fma_f32 v9, -v10, v12, v9
	v_div_fmas_f32 v9, v9, v11, v12
	v_div_fixup_f32 v8, v9, v8, |v0|
.LBB27_23:
	s_or_b64 exec, exec, s[20:21]
.LBB27_24:
	s_or_b64 exec, exec, s[18:19]
.LBB27_25:
	s_andn2_saveexec_b64 s[16:17], s[16:17]
	s_cbranch_execz .LBB27_27
; %bb.26:
	s_mov_b32 s4, 0xf800000
	s_mov_b32 s5, 0x4f800000
	v_mul_f32_e64 v8, |v0|, s5
	v_cmp_lt_f32_e64 vcc, |v0|, s4
	v_cndmask_b32_e64 v8, |v0|, v8, vcc
	v_sqrt_f32_e32 v9, v8
	v_add_u32_e32 v10, -1, v9
	v_fma_f32 v11, -v10, v9, v8
	v_cmp_ge_f32_e64 s[4:5], 0, v11
	v_add_u32_e32 v11, 1, v9
	v_cndmask_b32_e64 v10, v9, v10, s[4:5]
	v_fma_f32 v9, -v11, v9, v8
	v_cmp_lt_f32_e64 s[4:5], 0, v9
	v_cndmask_b32_e64 v9, v10, v11, s[4:5]
	v_mul_f32_e32 v10, 0x37800000, v9
	v_cndmask_b32_e32 v9, v9, v10, vcc
	v_mov_b32_e32 v10, 0x260
	v_cmp_class_f32_e32 vcc, v8, v10
	v_cndmask_b32_e32 v8, v9, v8, vcc
.LBB27_27:
	s_or_b64 exec, exec, s[16:17]
.LBB27_28:
	s_or_b64 exec, exec, s[14:15]
	s_mov_b32 s4, 0x21000000
	v_cmp_nlt_f32_e64 s[14:15], |v1|, s4
                                        ; implicit-def: $sgpr4_sgpr5
                                        ; implicit-def: $vgpr9
                                        ; implicit-def: $vgpr11
                                        ; implicit-def: $vgpr10
	s_and_saveexec_b64 s[16:17], s[14:15]
	s_xor_b64 s[14:15], exec, s[16:17]
	s_cbranch_execz .LBB27_52
; %bb.29:
	v_and_b32_e32 v10, 0x7fffffff, v1
	v_div_scale_f32 v9, s[4:5], v2, v2, v10
	v_div_scale_f32 v11, vcc, v10, v2, v10
	s_mov_b32 s4, 0x3f244674
	v_rcp_f32_e32 v12, v9
	v_fma_f32 v13, -v9, v12, 1.0
	v_fmac_f32_e32 v12, v13, v12
	v_mul_f32_e32 v13, v11, v12
	v_fma_f32 v14, -v9, v13, v11
	v_fmac_f32_e32 v13, v14, v12
	v_fma_f32 v9, -v9, v13, v11
	v_div_fmas_f32 v9, v9, v12, v13
                                        ; implicit-def: $vgpr11
	v_div_fixup_f32 v9, v9, v2, |v1|
	v_cmp_lt_f32_e32 vcc, s4, v9
	s_mov_b64 s[4:5], 0
	s_and_saveexec_b64 s[16:17], vcc
	s_cbranch_execz .LBB27_51
; %bb.30:
	s_mov_b32 s18, 0x30800000
	v_cmp_neq_f32_e64 s[4:5], |v1|, 1.0
	v_cmp_nlt_f32_e64 s[18:19], |v0|, s18
	s_or_b64 s[4:5], s[4:5], s[18:19]
                                        ; implicit-def: $vgpr11
	s_and_saveexec_b64 s[18:19], s[4:5]
	s_xor_b64 s[18:19], exec, s[18:19]
	s_cbranch_execz .LBB27_48
; %bb.31:
	s_brev_b32 s4, 44
	v_mul_f32_e64 v11, |v3|, s4
	v_cmp_ge_f32_e64 s[4:5], |v0|, v11
                                        ; implicit-def: $vgpr11
	s_and_saveexec_b64 s[20:21], s[4:5]
	s_xor_b64 s[20:21], exec, s[20:21]
	s_cbranch_execz .LBB27_41
; %bb.32:
	v_cmp_neq_f32_e32 vcc, 0, v4
	v_mov_b32_e32 v11, v6
	s_and_saveexec_b64 s[4:5], vcc
	s_cbranch_execz .LBB27_34
; %bb.33:
	v_mul_f32_e32 v11, v0, v0
	v_add_f32_e32 v4, v4, v7
	v_div_scale_f32 v7, s[22:23], v4, v4, v11
	v_div_scale_f32 v12, vcc, v11, v4, v11
	v_rcp_f32_e32 v13, v7
	v_fma_f32 v14, -v7, v13, 1.0
	v_fmac_f32_e32 v13, v14, v13
	v_mul_f32_e32 v14, v12, v13
	v_fma_f32 v15, -v7, v14, v12
	v_fmac_f32_e32 v14, v15, v13
	v_fma_f32 v7, -v7, v14, v12
	v_div_fmas_f32 v7, v7, v13, v14
	v_div_fixup_f32 v11, v7, v4, v11
.LBB27_34:
	s_or_b64 exec, exec, s[4:5]
	v_cmp_ngt_f32_e32 vcc, 0, v3
	s_and_saveexec_b64 s[4:5], vcc
	s_xor_b64 s[4:5], exec, s[4:5]
	s_cbranch_execz .LBB27_38
; %bb.35:
	v_cmp_neq_f32_e32 vcc, 0, v3
	s_and_saveexec_b64 s[22:23], vcc
	s_cbranch_execz .LBB27_37
; %bb.36:
	v_mul_f32_e32 v4, v0, v0
	v_add_f32_e32 v3, v3, v5
	v_div_scale_f32 v5, s[24:25], v3, v3, v4
	v_div_scale_f32 v6, vcc, v4, v3, v4
	v_rcp_f32_e32 v7, v5
	v_fma_f32 v12, -v5, v7, 1.0
	v_fmac_f32_e32 v7, v12, v7
	v_mul_f32_e32 v12, v6, v7
	v_fma_f32 v13, -v5, v12, v6
	v_fmac_f32_e32 v12, v13, v7
	v_fma_f32 v5, -v5, v12, v6
	v_div_fmas_f32 v5, v5, v7, v12
	v_div_fixup_f32 v6, v5, v3, v4
.LBB27_37:
	s_or_b64 exec, exec, s[22:23]
                                        ; implicit-def: $vgpr5
                                        ; implicit-def: $vgpr3
.LBB27_38:
	s_andn2_saveexec_b64 s[4:5], s[4:5]
; %bb.39:
	v_sub_f32_e32 v6, v5, v3
; %bb.40:
	s_or_b64 exec, exec, s[4:5]
	v_mul_f32_e32 v3, 0.5, v6
	v_fmac_f32_e32 v3, 0.5, v11
	v_add_f32_e64 v2, |v1|, v2
	v_mul_f32_e32 v2, v2, v3
	s_mov_b32 s4, 0xf800000
	v_mul_f32_e32 v3, 0x4f800000, v2
	v_cmp_gt_f32_e32 vcc, s4, v2
	v_cndmask_b32_e32 v2, v2, v3, vcc
	v_sqrt_f32_e32 v3, v2
	v_add_u32_e32 v4, -1, v3
	v_fma_f32 v5, -v4, v3, v2
	v_cmp_ge_f32_e64 s[4:5], 0, v5
	v_add_u32_e32 v5, 1, v3
	v_cndmask_b32_e64 v4, v3, v4, s[4:5]
	v_fma_f32 v3, -v5, v3, v2
	v_cmp_lt_f32_e64 s[4:5], 0, v3
	v_cndmask_b32_e64 v3, v4, v5, s[4:5]
	v_mul_f32_e32 v4, 0x37800000, v3
	v_cndmask_b32_e32 v3, v3, v4, vcc
	v_mov_b32_e32 v4, 0x260
	v_cmp_class_f32_e32 vcc, v2, v4
	v_cndmask_b32_e32 v11, v3, v2, vcc
                                        ; implicit-def: $vgpr4
                                        ; implicit-def: $vgpr3
.LBB27_41:
	s_andn2_saveexec_b64 s[20:21], s[20:21]
	s_cbranch_execz .LBB27_47
; %bb.42:
	v_cmp_ngt_f32_e64 s[4:5], |v1|, 1.0
                                        ; implicit-def: $vgpr11
	s_and_saveexec_b64 s[22:23], s[4:5]
	s_xor_b64 s[22:23], exec, s[22:23]
	s_cbranch_execz .LBB27_44
; %bb.43:
	v_sub_f32_e64 v2, 1.0, |v1|
	v_mul_f32_e32 v2, v2, v4
	s_mov_b32 s4, 0xf800000
	v_mul_f32_e32 v3, 0x4f800000, v2
	v_cmp_gt_f32_e32 vcc, s4, v2
	v_cndmask_b32_e32 v2, v2, v3, vcc
	v_sqrt_f32_e32 v3, v2
	v_add_u32_e32 v4, -1, v3
	v_fma_f32 v5, -v4, v3, v2
	v_cmp_ge_f32_e64 s[4:5], 0, v5
	v_add_u32_e32 v5, 1, v3
	v_cndmask_b32_e64 v4, v3, v4, s[4:5]
	v_fma_f32 v3, -v5, v3, v2
	v_cmp_lt_f32_e64 s[4:5], 0, v3
	v_cndmask_b32_e64 v3, v4, v5, s[4:5]
	v_mul_f32_e32 v4, 0x37800000, v3
	v_cndmask_b32_e32 v3, v3, v4, vcc
	v_mov_b32_e32 v4, 0x260
	v_cmp_class_f32_e32 vcc, v2, v4
	v_cndmask_b32_e32 v11, v3, v2, vcc
                                        ; implicit-def: $vgpr4
                                        ; implicit-def: $vgpr3
.LBB27_44:
	s_andn2_saveexec_b64 s[22:23], s[22:23]
	s_cbranch_execz .LBB27_46
; %bb.45:
	v_mul_f32_e32 v2, v4, v3
	s_mov_b32 s4, 0xf800000
	v_mul_f32_e32 v3, 0x4f800000, v2
	v_cmp_gt_f32_e32 vcc, s4, v2
	v_cndmask_b32_e32 v2, v2, v3, vcc
	v_sqrt_f32_e32 v3, v2
	s_mov_b32 s24, 0x57800000
	v_mul_f32_e64 v4, |v0|, s24
	v_mul_f32_e64 v4, |v1|, v4
	v_add_u32_e32 v5, -1, v3
	v_fma_f32 v6, -v5, v3, v2
	v_cmp_ge_f32_e64 s[4:5], 0, v6
	v_add_u32_e32 v6, 1, v3
	v_cndmask_b32_e64 v5, v3, v5, s[4:5]
	v_fma_f32 v3, -v6, v3, v2
	v_cmp_lt_f32_e64 s[4:5], 0, v3
	v_cndmask_b32_e64 v3, v5, v6, s[4:5]
	v_mul_f32_e32 v5, 0x37800000, v3
	v_cndmask_b32_e32 v3, v3, v5, vcc
	v_mov_b32_e32 v5, 0x260
	v_cmp_class_f32_e32 vcc, v2, v5
	v_cndmask_b32_e32 v2, v3, v2, vcc
	v_div_scale_f32 v3, s[4:5], v2, v2, v4
	v_div_scale_f32 v5, vcc, v4, v2, v4
	v_rcp_f32_e32 v6, v3
	v_fma_f32 v7, -v3, v6, 1.0
	v_fmac_f32_e32 v6, v7, v6
	v_mul_f32_e32 v7, v5, v6
	v_fma_f32 v10, -v3, v7, v5
	v_fmac_f32_e32 v7, v10, v6
	v_fma_f32 v3, -v3, v7, v5
	v_div_fmas_f32 v3, v3, v6, v7
	v_mul_f32_e64 v10, |v1|, s24
	v_div_fixup_f32 v11, v3, v2, v4
.LBB27_46:
	s_or_b64 exec, exec, s[22:23]
.LBB27_47:
	s_or_b64 exec, exec, s[20:21]
                                        ; implicit-def: $vgpr2
.LBB27_48:
	s_andn2_saveexec_b64 s[18:19], s[18:19]
	s_cbranch_execz .LBB27_50
; %bb.49:
	s_mov_b32 s20, 0xf800000
	s_mov_b32 s4, 0x4f800000
	v_mul_f32_e64 v3, |v0|, s4
	v_cmp_lt_f32_e64 vcc, |v0|, s20
	v_cndmask_b32_e64 v3, |v0|, v3, vcc
	v_sqrt_f32_e32 v4, v3
	v_add_f32_e32 v2, 1.0, v2
	v_mul_f32_e32 v2, 0.5, v2
	v_mov_b32_e32 v10, 1.0
	v_add_u32_e32 v5, -1, v4
	v_fma_f32 v6, -v5, v4, v3
	v_cmp_ge_f32_e64 s[4:5], 0, v6
	v_add_u32_e32 v6, 1, v4
	v_cndmask_b32_e64 v5, v4, v5, s[4:5]
	v_fma_f32 v4, -v6, v4, v3
	v_cmp_lt_f32_e64 s[4:5], 0, v4
	v_cndmask_b32_e64 v4, v5, v6, s[4:5]
	v_mul_f32_e32 v5, 0x37800000, v4
	v_cndmask_b32_e32 v4, v4, v5, vcc
	v_mul_f32_e32 v6, 0x4f800000, v2
	v_cmp_gt_f32_e32 vcc, s20, v2
	v_cndmask_b32_e32 v2, v2, v6, vcc
	v_sqrt_f32_e32 v6, v2
	v_mov_b32_e32 v5, 0x260
	v_cmp_class_f32_e64 s[4:5], v3, v5
	v_cndmask_b32_e64 v3, v4, v3, s[4:5]
	v_add_u32_e32 v4, -1, v6
	v_fma_f32 v7, -v4, v6, v2
	v_cmp_ge_f32_e64 s[4:5], 0, v7
	v_add_u32_e32 v7, 1, v6
	v_cndmask_b32_e64 v4, v6, v4, s[4:5]
	v_fma_f32 v6, -v7, v6, v2
	v_cmp_lt_f32_e64 s[4:5], 0, v6
	v_cndmask_b32_e64 v4, v4, v7, s[4:5]
	v_mul_f32_e32 v6, 0x37800000, v4
	v_cndmask_b32_e32 v4, v4, v6, vcc
	v_cmp_class_f32_e32 vcc, v2, v5
	v_cndmask_b32_e32 v2, v4, v2, vcc
	v_mul_f32_e32 v11, v3, v2
.LBB27_50:
	s_or_b64 exec, exec, s[18:19]
	s_mov_b64 s[4:5], exec
.LBB27_51:
	s_or_b64 exec, exec, s[16:17]
                                        ; implicit-def: $vgpr2
.LBB27_52:
	s_andn2_saveexec_b64 s[14:15], s[14:15]
; %bb.53:
	s_mov_b32 s16, 0x4b800000
	v_mul_f32_e32 v11, 0x4b800000, v2
	v_mul_f32_e64 v10, |v1|, s16
	s_or_b64 s[4:5], s[4:5], exec
                                        ; implicit-def: $vgpr9
; %bb.54:
	s_or_b64 exec, exec, s[14:15]
	s_xor_b64 s[4:5], s[4:5], -1
                                        ; implicit-def: $vgpr2
	s_and_saveexec_b64 s[14:15], s[4:5]
	s_xor_b64 s[4:5], exec, s[14:15]
	s_cbranch_execz .LBB27_56
; %bb.55:
	v_fma_f32 v2, |v9|, -0.5, 0.5
	v_mul_f32_e32 v3, v9, v9
	v_cmp_ge_f32_e64 vcc, |v9|, 0.5
	v_cndmask_b32_e32 v2, v3, v2, vcc
	v_mov_b32_e32 v3, 0x3c5fc5da
	v_fmac_f32_e32 v3, 0x3d1c21a7, v2
	v_mov_b32_e32 v4, 0x3d034c3c
	v_fmac_f32_e32 v4, v2, v3
	;; [unrolled: 2-line block ×4, first 2 shown]
	v_sqrt_f32_e32 v3, v2
	v_mov_b32_e32 v5, 0x3e2aaaac
	v_fmac_f32_e32 v5, v2, v4
	v_mul_f32_e32 v2, v2, v5
	v_fmac_f32_e32 v3, v3, v2
	v_add_f32_e32 v3, v3, v3
	v_sub_f32_e32 v3, 0x3fc90fdb, v3
	v_fma_f32 v2, |v9|, v2, |v9|
	v_cmp_lt_f32_e64 vcc, |v9|, 0.5
	v_cndmask_b32_e32 v2, v3, v2, vcc
	s_brev_b32 s14, -2
	v_bfi_b32 v2, s14, v2, v9
                                        ; implicit-def: $vgpr10
                                        ; implicit-def: $vgpr11
.LBB27_56:
	s_andn2_saveexec_b64 s[14:15], s[4:5]
	s_cbranch_execz .LBB27_58
; %bb.57:
	v_max_f32_e32 v2, v10, v10
	v_max_f32_e64 v3, |v11|, |v11|
	v_min_f32_e32 v4, v3, v2
	v_max_f32_e32 v2, v3, v2
	v_frexp_mant_f32_e32 v3, v2
	v_rcp_f32_e32 v3, v3
	v_frexp_exp_i32_f32_e32 v2, v2
	v_frexp_exp_i32_f32_e32 v5, v4
	v_frexp_mant_f32_e32 v4, v4
	v_mul_f32_e32 v3, v4, v3
	v_sub_u32_e32 v2, v5, v2
	v_ldexp_f32 v2, v3, v2
	v_mul_f32_e32 v3, v2, v2
	v_mov_b32_e32 v4, 0xbc7a590c
	v_fmac_f32_e32 v4, 0x3b2d2a58, v3
	v_mov_b32_e32 v5, 0x3d29fb3f
	v_fmac_f32_e32 v5, v3, v4
	;; [unrolled: 2-line block ×7, first 2 shown]
	v_mul_f32_e32 v3, v3, v4
	v_fmac_f32_e32 v2, v2, v3
	v_sub_f32_e32 v3, 0x3fc90fdb, v2
	v_cmp_gt_f32_e64 vcc, v10, |v11|
	v_cndmask_b32_e32 v2, v2, v3, vcc
	v_sub_f32_e32 v3, 0x40490fdb, v2
	v_cmp_gt_f32_e32 vcc, 0, v11
	v_cndmask_b32_e32 v2, v2, v3, vcc
	v_mov_b32_e32 v3, 0x40490fdb
	v_cmp_gt_i32_e64 s[4:5], 0, v11
	v_cndmask_b32_e64 v3, 0, v3, s[4:5]
	s_movk_i32 s4, 0x204
	v_mov_b32_e32 v4, 0x3f490fdb
	v_mov_b32_e32 v5, 0x4016cbe4
	v_cmp_class_f32_e64 s[16:17], v11, s4
	s_mov_b32 s4, 0x7f800000
	v_cndmask_b32_e32 v4, v4, v5, vcc
	v_cmp_eq_f32_e32 vcc, s4, v10
	v_cmp_eq_f32_e64 s[4:5], 0, v10
	v_cndmask_b32_e64 v2, |v2|, v3, s[4:5]
	s_and_b64 vcc, vcc, s[16:17]
	v_cndmask_b32_e32 v2, v2, v4, vcc
	v_mov_b32_e32 v3, 0x7fc00000
	v_cmp_o_f32_e32 vcc, v11, v11
	v_cndmask_b32_e32 v2, v3, v2, vcc
.LBB27_58:
	s_or_b64 exec, exec, s[14:15]
	s_brev_b32 s4, -2
	v_bfi_b32 v0, s4, v8, v0
	v_bfi_b32 v1, s4, v2, v1
.LBB27_59:
	s_or_b64 exec, exec, s[12:13]
.LBB27_60:
	s_or_b64 exec, exec, s[10:11]
                                        ; implicit-def: $vgpr2
                                        ; implicit-def: $vgpr3
                                        ; implicit-def: $vgpr5
                                        ; implicit-def: $vgpr6
.LBB27_61:
	s_andn2_saveexec_b64 s[10:11], s[6:7]
	s_cbranch_execz .LBB27_83
; %bb.62:
	s_waitcnt lgkmcnt(0)
	v_cmp_lt_i32_e32 vcc, -1, v2
                                        ; implicit-def: $vgpr7
                                        ; implicit-def: $vgpr4
	s_and_saveexec_b64 s[4:5], vcc
	s_xor_b64 s[12:13], exec, s[4:5]
	s_cbranch_execz .LBB27_72
; %bb.63:
	v_cmp_lt_f32_e64 s[4:5], |v0|, |v1|
	v_cndmask_b32_e64 v8, |v0|, |v1|, s[4:5]
	s_mov_b32 s6, 0x7effffff
	v_cmp_nlt_f32_e32 vcc, s6, v8
                                        ; implicit-def: $vgpr4
                                        ; implicit-def: $vgpr7
	s_and_saveexec_b64 s[6:7], vcc
	s_xor_b64 s[14:15], exec, s[6:7]
	s_cbranch_execz .LBB27_69
; %bb.64:
	s_mov_b32 s6, 0x5e000000
	v_cndmask_b32_e64 v9, |v1|, |v0|, s[4:5]
	v_cmp_nlt_f32_e32 vcc, s6, v8
	s_brev_b32 s6, 4
	v_cmp_ngt_f32_e64 s[6:7], s6, v9
	s_and_b64 s[6:7], vcc, s[6:7]
                                        ; implicit-def: $vgpr4
                                        ; implicit-def: $vgpr7
	s_and_saveexec_b64 s[16:17], s[6:7]
	s_xor_b64 s[16:17], exec, s[16:17]
	s_cbranch_execz .LBB27_66
; %bb.65:
	v_mul_f32_e32 v4, v9, v9
	v_fmac_f32_e32 v4, v8, v8
	s_mov_b32 s6, 0x800000
	v_cmp_gt_f32_e32 vcc, s6, v4
	v_cndmask_b32_e64 v7, 0, 32, vcc
	v_ldexp_f32 v4, v4, v7
	v_log_f32_e32 v4, v4
	s_mov_b32 s6, 0x3f317217
	v_min_f32_e32 v3, v5, v3
	v_frexp_mant_f32_e32 v5, v6
	v_mul_f32_e32 v7, 0x3f317217, v4
	v_fma_f32 v7, v4, s6, -v7
	v_fmac_f32_e32 v7, 0x3377d1cf, v4
	s_mov_b32 s6, 0x7f800000
	v_fmac_f32_e32 v7, 0x3f317217, v4
	v_cmp_lt_f32_e64 s[6:7], |v4|, s6
	v_rcp_f32_e32 v5, v5
	v_cndmask_b32_e64 v4, v4, v7, s[6:7]
	v_mov_b32_e32 v7, 0x41b17218
	v_cndmask_b32_e32 v7, 0, v7, vcc
	v_sub_f32_e32 v4, v4, v7
	v_frexp_exp_i32_f32_e32 v6, v6
	v_frexp_exp_i32_f32_e32 v7, v3
	v_frexp_mant_f32_e32 v3, v3
	v_mul_f32_e32 v3, v3, v5
	v_sub_u32_e32 v5, v7, v6
	v_ldexp_f32 v7, v3, v5
	v_mul_f32_e32 v3, v7, v7
	v_mov_b32_e32 v5, 0xbc7a590c
	v_fmac_f32_e32 v5, 0x3b2d2a58, v3
	v_mov_b32_e32 v6, 0x3d29fb3f
	v_fmac_f32_e32 v6, v3, v5
	;; [unrolled: 2-line block ×7, first 2 shown]
	v_mul_f32_e32 v3, v3, v5
	v_mul_f32_e32 v4, 0.5, v4
	v_fmac_f32_e32 v7, v7, v3
                                        ; implicit-def: $vgpr6
                                        ; implicit-def: $vgpr5
                                        ; implicit-def: $vgpr3
.LBB27_66:
	s_andn2_saveexec_b64 s[6:7], s[16:17]
	s_cbranch_execz .LBB27_68
; %bb.67:
	v_cvt_f64_f32_e32 v[7:8], v6
	v_min_f32_e32 v3, v5, v3
	s_mov_b32 s16, 0x7f800000
	v_cmp_neq_f32_e32 vcc, s16, v6
	v_frexp_exp_i32_f64_e32 v4, v[7:8]
	v_mov_b32_e32 v7, 0x7f800000
	s_mov_b32 s17, 0x800000
	v_frexp_mant_f32_e32 v10, v6
	v_rcp_f32_e32 v10, v10
	s_mov_b32 s18, 0x3f317217
	v_mov_b32_e32 v8, 0x41b17218
	v_sub_u32_e32 v5, 0, v4
	v_ldexp_f32 v9, |v0|, v5
	v_ldexp_f32 v5, |v1|, v5
	v_mul_f32_e32 v5, v5, v5
	v_fmac_f32_e32 v5, v9, v9
	v_sqrt_f32_e32 v5, v5
	v_frexp_exp_i32_f32_e32 v9, v6
	v_ldexp_f32 v4, v5, v4
	v_cndmask_b32_e32 v4, v7, v4, vcc
	v_cmp_gt_f32_e32 vcc, s17, v4
	v_cndmask_b32_e64 v5, 0, 32, vcc
	v_ldexp_f32 v4, v4, v5
	v_log_f32_e32 v4, v4
	v_frexp_exp_i32_f32_e32 v5, v3
	v_frexp_mant_f32_e32 v3, v3
	v_cndmask_b32_e32 v6, 0, v8, vcc
	v_mul_f32_e32 v7, 0x3f317217, v4
	v_fma_f32 v7, v4, s18, -v7
	v_fmac_f32_e32 v7, 0x3377d1cf, v4
	v_fmac_f32_e32 v7, 0x3f317217, v4
	v_cmp_lt_f32_e64 vcc, |v4|, s16
	v_mul_f32_e32 v3, v3, v10
	v_sub_u32_e32 v5, v5, v9
	v_cndmask_b32_e32 v4, v4, v7, vcc
	v_ldexp_f32 v7, v3, v5
	v_mul_f32_e32 v3, v7, v7
	v_mov_b32_e32 v5, 0xbc7a590c
	v_sub_f32_e32 v4, v4, v6
	v_fmac_f32_e32 v5, 0x3b2d2a58, v3
	v_mov_b32_e32 v6, 0x3d29fb3f
	v_fmac_f32_e32 v6, v3, v5
	v_mov_b32_e32 v5, 0xbd97d4d7
	;; [unrolled: 2-line block ×6, first 2 shown]
	v_fmac_f32_e32 v5, v3, v6
	v_mul_f32_e32 v3, v3, v5
	v_fmac_f32_e32 v7, v7, v3
.LBB27_68:
	s_or_b64 exec, exec, s[6:7]
                                        ; implicit-def: $vgpr5
                                        ; implicit-def: $vgpr3
                                        ; implicit-def: $vgpr6
.LBB27_69:
	s_andn2_saveexec_b64 s[14:15], s[14:15]
	s_cbranch_execz .LBB27_71
; %bb.70:
	s_mov_b32 s16, 0x402df854
	v_div_scale_f32 v4, s[6:7], s16, s16, v0
	v_div_scale_f32 v7, s[6:7], s16, s16, v1
	v_div_scale_f32 v8, vcc, v0, s16, v0
	v_div_scale_f32 v9, s[6:7], v1, s16, v1
	v_min_f32_e32 v5, v5, v3
	s_mov_b32 s17, 0x3f317217
	v_mov_b32_e32 v18, 0xbe1160e6
	v_mov_b32_e32 v19, 0x3e4cb8bf
	v_rcp_f32_e32 v10, v4
	v_rcp_f32_e32 v11, v7
	v_fma_f32 v12, -v4, v10, 1.0
	v_fmac_f32_e32 v10, v12, v10
	v_fma_f32 v13, -v7, v11, 1.0
	v_fmac_f32_e32 v11, v13, v11
	v_mul_f32_e32 v12, v8, v10
	v_mul_f32_e32 v13, v9, v11
	v_fma_f32 v14, -v4, v12, v8
	v_fma_f32 v15, -v7, v13, v9
	v_fmac_f32_e32 v12, v14, v10
	v_fmac_f32_e32 v13, v15, v11
	v_fma_f32 v4, -v4, v12, v8
	v_fma_f32 v7, -v7, v13, v9
	v_div_fmas_f32 v4, v4, v10, v12
	s_mov_b64 vcc, s[6:7]
	v_div_fmas_f32 v7, v7, v11, v13
	v_frexp_exp_i32_f32_e32 v10, v6
	v_frexp_mant_f32_e32 v6, v6
	v_rcp_f32_e32 v6, v6
	s_mov_b32 s6, 0x7f800000
	v_mov_b32_e32 v8, 0x7f800000
	s_mov_b32 s7, 0x800000
	v_mov_b32_e32 v11, 0xbc7a590c
	v_mov_b32_e32 v12, 0x3d29fb3f
	;; [unrolled: 1-line block ×5, first 2 shown]
	v_div_fixup_f32 v15, v4, s16, v0
	v_div_fixup_f32 v16, v7, s16, v1
	v_max_f32_e64 v17, v15, |v16|
	v_cvt_f64_f32_e32 v[3:4], v17
	v_cmp_neq_f32_e32 vcc, s6, v17
	v_frexp_exp_i32_f64_e32 v3, v[3:4]
	v_frexp_exp_i32_f32_e32 v4, v5
	v_frexp_mant_f32_e32 v5, v5
	v_sub_u32_e32 v4, v4, v10
	v_mul_f32_e32 v5, v5, v6
	v_ldexp_f32 v7, v5, v4
	v_mul_f32_e32 v5, v7, v7
	v_fmac_f32_e32 v11, 0x3b2d2a58, v5
	v_sub_u32_e32 v4, 0, v3
	v_ldexp_f32 v6, v15, v4
	v_ldexp_f32 v4, |v16|, v4
	v_mul_f32_e32 v4, v4, v4
	v_fmac_f32_e32 v4, v6, v6
	v_sqrt_f32_e32 v4, v4
	v_fmac_f32_e32 v12, v5, v11
	v_fmac_f32_e32 v13, v5, v12
	;; [unrolled: 1-line block ×3, first 2 shown]
	v_ldexp_f32 v3, v4, v3
	v_cndmask_b32_e32 v3, v8, v3, vcc
	v_cmp_gt_f32_e32 vcc, s7, v3
	v_cndmask_b32_e64 v4, 0, 32, vcc
	v_ldexp_f32 v3, v3, v4
	v_log_f32_e32 v3, v3
	v_cndmask_b32_e32 v4, 0, v9, vcc
	v_fmac_f32_e32 v18, v5, v14
	v_fmac_f32_e32 v19, v5, v18
	v_mul_f32_e32 v6, 0x3f317217, v3
	v_fma_f32 v6, v3, s17, -v6
	v_fmac_f32_e32 v6, 0x3377d1cf, v3
	v_fmac_f32_e32 v6, 0x3f317217, v3
	v_cmp_lt_f32_e64 vcc, |v3|, s6
	v_cndmask_b32_e32 v3, v3, v6, vcc
	v_sub_f32_e32 v3, v3, v4
	v_add_f32_e32 v4, 1.0, v3
	v_mov_b32_e32 v3, 0xbeaaaa62
	v_fmac_f32_e32 v3, v5, v19
	v_mul_f32_e32 v3, v5, v3
	v_fmac_f32_e32 v7, v7, v3
.LBB27_71:
	s_or_b64 exec, exec, s[14:15]
	v_sub_f32_e32 v3, 0x3fc90fdb, v7
	s_movk_i32 s6, 0x204
	v_cndmask_b32_e64 v3, v7, v3, s[4:5]
	v_cmp_neq_f16_e32 vcc, 0, v2
	v_cmp_class_f32_e64 s[4:5], v0, s6
	v_cmp_class_f32_e64 s[6:7], v1, s6
	v_cndmask_b32_e32 v2, 0, v3, vcc
	v_mov_b32_e32 v3, 0x3f490fdb
	s_and_b64 vcc, s[6:7], s[4:5]
	v_cndmask_b32_e32 v2, v2, v3, vcc
	s_brev_b32 s4, -2
	v_bfi_b32 v7, s4, v2, v1
                                        ; implicit-def: $vgpr2
                                        ; implicit-def: $vgpr3
.LBB27_72:
	s_andn2_saveexec_b64 s[12:13], s[12:13]
	s_cbranch_execz .LBB27_82
; %bb.73:
	v_cmp_gt_f32_e64 s[4:5], |v1|, -v0
	v_cndmask_b32_e64 v6, -v0, |v1|, s[4:5]
	s_mov_b32 s6, 0x7effffff
	v_cmp_nlt_f32_e32 vcc, s6, v6
                                        ; implicit-def: $vgpr4
                                        ; implicit-def: $vgpr5
	s_and_saveexec_b64 s[6:7], vcc
	s_xor_b64 s[14:15], exec, s[6:7]
	s_cbranch_execz .LBB27_79
; %bb.74:
	v_xor_b32_e32 v4, 0x80000000, v0
	s_mov_b32 s6, 0x5e000000
	v_cndmask_b32_e64 v7, |v1|, v4, s[4:5]
	v_cmp_nlt_f32_e32 vcc, s6, v6
	s_brev_b32 s6, 4
	v_cmp_ngt_f32_e64 s[6:7], s6, v7
	s_and_b64 s[6:7], vcc, s[6:7]
                                        ; implicit-def: $vgpr4
                                        ; implicit-def: $vgpr5
	s_and_saveexec_b64 s[16:17], s[6:7]
	s_xor_b64 s[16:17], exec, s[16:17]
	s_cbranch_execz .LBB27_76
; %bb.75:
	v_mul_f32_e32 v4, v7, v7
	v_fmac_f32_e32 v4, v6, v6
	s_mov_b32 s6, 0x800000
	v_cmp_gt_f32_e32 vcc, s6, v4
	v_cndmask_b32_e64 v5, 0, 32, vcc
	v_ldexp_f32 v4, v4, v5
	v_log_f32_e32 v4, v4
	s_mov_b32 s6, 0x3f317217
	v_mul_f32_e32 v5, 0x3f317217, v4
	v_fma_f32 v5, v4, s6, -v5
	v_fmac_f32_e32 v5, 0x3377d1cf, v4
	s_mov_b32 s6, 0x7f800000
	v_fmac_f32_e32 v5, 0x3f317217, v4
	v_cmp_lt_f32_e64 s[6:7], |v4|, s6
	v_cndmask_b32_e64 v4, v4, v5, s[6:7]
	v_mov_b32_e32 v5, 0x41b17218
	v_cndmask_b32_e32 v5, 0, v5, vcc
	v_sub_f32_e32 v4, v4, v5
	v_max_f32_e64 v5, -v0, -v0
	v_min_f32_e32 v6, v5, v3
	v_max_f32_e32 v3, v5, v3
	v_frexp_mant_f32_e32 v5, v3
	v_rcp_f32_e32 v5, v5
	v_frexp_exp_i32_f32_e32 v3, v3
	v_frexp_exp_i32_f32_e32 v7, v6
	v_frexp_mant_f32_e32 v6, v6
	v_mul_f32_e32 v5, v6, v5
	v_sub_u32_e32 v3, v7, v3
	v_ldexp_f32 v5, v5, v3
	v_mul_f32_e32 v3, v5, v5
	v_mov_b32_e32 v6, 0xbc7a590c
	v_fmac_f32_e32 v6, 0x3b2d2a58, v3
	v_mov_b32_e32 v7, 0x3d29fb3f
	v_fmac_f32_e32 v7, v3, v6
	;; [unrolled: 2-line block ×7, first 2 shown]
	v_mul_f32_e32 v3, v3, v6
	v_mul_f32_e32 v4, 0.5, v4
	v_fmac_f32_e32 v5, v5, v3
                                        ; implicit-def: $vgpr3
.LBB27_76:
	s_andn2_saveexec_b64 s[6:7], s[16:17]
	s_cbranch_execz .LBB27_78
; %bb.77:
	v_max_f32_e64 v6, -v0, -v0
	v_max_f32_e32 v7, v6, v3
	v_cvt_f64_f32_e32 v[4:5], v7
	v_min_f32_e32 v3, v6, v3
	s_mov_b32 s16, 0x7f800000
	v_cmp_neq_f32_e32 vcc, s16, v7
	v_frexp_exp_i32_f64_e32 v4, v[4:5]
	v_mov_b32_e32 v5, 0x7f800000
	s_mov_b32 s17, 0x800000
	v_frexp_mant_f32_e32 v10, v7
	s_mov_b32 s18, 0x3f317217
	v_mov_b32_e32 v8, 0x41b17218
	v_frexp_exp_i32_f32_e32 v11, v3
	v_frexp_mant_f32_e32 v3, v3
	v_sub_u32_e32 v6, 0, v4
	v_ldexp_f32 v9, -v0, v6
	v_ldexp_f32 v6, |v1|, v6
	v_mul_f32_e32 v6, v6, v6
	v_fmac_f32_e32 v6, v9, v9
	v_sqrt_f32_e32 v6, v6
	v_frexp_exp_i32_f32_e32 v9, v7
	v_ldexp_f32 v4, v6, v4
	v_cndmask_b32_e32 v4, v5, v4, vcc
	v_cmp_gt_f32_e32 vcc, s17, v4
	v_cndmask_b32_e64 v5, 0, 32, vcc
	v_ldexp_f32 v4, v4, v5
	v_log_f32_e32 v4, v4
	v_rcp_f32_e32 v5, v10
	v_cndmask_b32_e32 v6, 0, v8, vcc
	v_mul_f32_e32 v7, 0x3f317217, v4
	v_fma_f32 v7, v4, s18, -v7
	v_fmac_f32_e32 v7, 0x3377d1cf, v4
	v_fmac_f32_e32 v7, 0x3f317217, v4
	v_cmp_lt_f32_e64 vcc, |v4|, s16
	v_mul_f32_e32 v3, v3, v5
	v_sub_u32_e32 v5, v11, v9
	v_cndmask_b32_e32 v4, v4, v7, vcc
	v_ldexp_f32 v5, v3, v5
	v_sub_f32_e32 v4, v4, v6
	v_mul_f32_e32 v3, v5, v5
	v_mov_b32_e32 v6, 0xbc7a590c
	v_fmac_f32_e32 v6, 0x3b2d2a58, v3
	v_mov_b32_e32 v7, 0x3d29fb3f
	v_fmac_f32_e32 v7, v3, v6
	;; [unrolled: 2-line block ×7, first 2 shown]
	v_mul_f32_e32 v3, v3, v6
	v_fmac_f32_e32 v5, v5, v3
.LBB27_78:
	s_or_b64 exec, exec, s[6:7]
                                        ; implicit-def: $vgpr3
.LBB27_79:
	s_andn2_saveexec_b64 s[14:15], s[14:15]
	s_cbranch_execz .LBB27_81
; %bb.80:
	s_mov_b32 s16, 0xc02df854
	v_div_scale_f32 v4, s[6:7], s16, s16, v0
	v_div_scale_f32 v5, s[6:7], s16, s16, v1
	v_div_scale_f32 v6, vcc, v0, s16, v0
	v_div_scale_f32 v7, s[6:7], v1, s16, v1
	s_mov_b32 s17, 0x3f317217
	v_rcp_f32_e32 v8, v4
	v_rcp_f32_e32 v9, v5
	v_fma_f32 v10, -v4, v8, 1.0
	v_fmac_f32_e32 v8, v10, v8
	v_fma_f32 v11, -v5, v9, 1.0
	v_fmac_f32_e32 v9, v11, v9
	v_mul_f32_e32 v10, v6, v8
	v_mul_f32_e32 v11, v7, v9
	v_fma_f32 v12, -v4, v10, v6
	v_fma_f32 v13, -v5, v11, v7
	v_fmac_f32_e32 v10, v12, v8
	v_fmac_f32_e32 v11, v13, v9
	v_fma_f32 v4, -v4, v10, v6
	v_fma_f32 v5, -v5, v11, v7
	v_div_fmas_f32 v4, v4, v8, v10
	s_mov_b64 vcc, s[6:7]
	v_div_fmas_f32 v5, v5, v9, v11
	v_max_f32_e64 v8, -v0, -v0
	v_min_f32_e32 v14, v8, v3
	v_max_f32_e32 v3, v8, v3
	v_frexp_exp_i32_f32_e32 v8, v3
	v_frexp_mant_f32_e32 v3, v3
	v_rcp_f32_e32 v3, v3
	s_mov_b32 s6, 0x7f800000
	v_mov_b32_e32 v6, 0x7f800000
	s_mov_b32 s7, 0x800000
	v_mov_b32_e32 v7, 0x41b17218
	v_mov_b32_e32 v9, 0xbc7a590c
	;; [unrolled: 1-line block ×4, first 2 shown]
	v_div_fixup_f32 v15, v4, s16, v0
	v_mov_b32_e32 v12, 0x3dd931b2
	v_div_fixup_f32 v16, v5, s16, v1
	v_max_f32_e64 v17, |v15|, |v16|
	v_cvt_f64_f32_e32 v[4:5], v17
	v_cmp_neq_f32_e32 vcc, s6, v17
	v_mov_b32_e32 v13, 0xbe1160e6
	v_frexp_exp_i32_f64_e32 v4, v[4:5]
	v_frexp_exp_i32_f32_e32 v5, v14
	v_frexp_mant_f32_e32 v14, v14
	v_sub_u32_e32 v5, v5, v8
	v_mul_f32_e32 v3, v14, v3
	v_ldexp_f32 v5, v3, v5
	v_mul_f32_e32 v3, v5, v5
	v_fmac_f32_e32 v9, 0x3b2d2a58, v3
	v_sub_u32_e32 v8, 0, v4
	v_ldexp_f32 v14, |v15|, v8
	v_ldexp_f32 v8, |v16|, v8
	v_mul_f32_e32 v8, v8, v8
	v_fmac_f32_e32 v8, v14, v14
	v_sqrt_f32_e32 v8, v8
	v_fmac_f32_e32 v10, v3, v9
	v_fmac_f32_e32 v11, v3, v10
	;; [unrolled: 1-line block ×3, first 2 shown]
	v_ldexp_f32 v4, v8, v4
	v_cndmask_b32_e32 v4, v6, v4, vcc
	v_cmp_gt_f32_e32 vcc, s7, v4
	v_cndmask_b32_e64 v6, 0, 32, vcc
	v_ldexp_f32 v4, v4, v6
	v_log_f32_e32 v4, v4
	v_cndmask_b32_e32 v6, 0, v7, vcc
	v_fmac_f32_e32 v13, v3, v12
	v_mul_f32_e32 v7, 0x3f317217, v4
	v_fma_f32 v7, v4, s17, -v7
	v_fmac_f32_e32 v7, 0x3377d1cf, v4
	v_fmac_f32_e32 v7, 0x3f317217, v4
	v_cmp_lt_f32_e64 vcc, |v4|, s6
	v_cndmask_b32_e32 v4, v4, v7, vcc
	v_sub_f32_e32 v4, v4, v6
	v_mov_b32_e32 v6, 0x3e4cb8bf
	v_fmac_f32_e32 v6, v3, v13
	v_mov_b32_e32 v7, 0xbeaaaa62
	v_fmac_f32_e32 v7, v3, v6
	v_mul_f32_e32 v3, v3, v7
	v_add_f32_e32 v4, 1.0, v4
	v_fmac_f32_e32 v5, v5, v3
.LBB27_81:
	s_or_b64 exec, exec, s[14:15]
	v_sub_f32_e32 v3, 0x3fc90fdb, v5
	v_cndmask_b32_e64 v3, v5, v3, s[4:5]
	s_mov_b32 s4, 0xfc00
	s_movk_i32 s6, 0x204
	v_cmp_neq_f16_e32 vcc, 0, v2
	v_cmp_eq_f16_sdwa s[4:5], v2, s4 src0_sel:WORD_1 src1_sel:DWORD
	v_cmp_class_f32_e64 s[6:7], v1, s6
	v_cndmask_b32_e32 v3, 0, v3, vcc
	v_mov_b32_e32 v2, 0x3f490fdb
	s_and_b64 vcc, s[4:5], s[6:7]
	v_cndmask_b32_e32 v2, v3, v2, vcc
	v_xor_b32_e32 v3, 0x80000000, v1
	s_brev_b32 s4, -2
	v_bfi_b32 v7, s4, v2, v3
.LBB27_82:
	s_or_b64 exec, exec, s[12:13]
	v_add_f32_e32 v2, 0x3f317218, v4
	s_brev_b32 s4, -2
	v_bfi_b32 v0, s4, v2, v0
	v_bfi_b32 v1, s4, v7, v1
.LBB27_83:
	s_or_b64 exec, exec, s[10:11]
                                        ; implicit-def: $vgpr2
.LBB27_84:
	s_andn2_saveexec_b64 s[4:5], s[8:9]
	s_cbranch_execz .LBB27_98
; %bb.85:
	s_mov_b32 s8, 0x7f800000
	v_cmp_neq_f32_e64 s[6:7], |v0|, s8
                                        ; implicit-def: $vgpr3
                                        ; implicit-def: $vgpr4
	s_and_saveexec_b64 s[10:11], s[6:7]
	s_xor_b64 s[6:7], exec, s[10:11]
	s_cbranch_execz .LBB27_95
; %bb.86:
	v_cmp_neq_f32_e64 s[8:9], |v1|, s8
                                        ; implicit-def: $vgpr3
                                        ; implicit-def: $vgpr4
	s_and_saveexec_b64 s[10:11], s[8:9]
	s_xor_b64 s[8:9], exec, s[10:11]
	s_cbranch_execz .LBB27_92
; %bb.87:
	s_waitcnt lgkmcnt(0)
	v_cmp_neq_f16_e32 vcc, 0, v2
                                        ; implicit-def: $vgpr3
	s_and_saveexec_b64 s[10:11], vcc
	s_xor_b64 s[10:11], exec, s[10:11]
; %bb.88:
	v_add_f32_e32 v0, 0, v0
	v_add_f32_e32 v3, v0, v1
                                        ; implicit-def: $vgpr0
                                        ; implicit-def: $vgpr1
; %bb.89:
	s_or_saveexec_b64 s[10:11], s[10:11]
	v_mov_b32_e32 v4, v3
	s_xor_b64 exec, exec, s[10:11]
; %bb.90:
	v_add_f32_e32 v4, v0, v0
	v_mov_b32_e32 v3, v1
; %bb.91:
	s_or_b64 exec, exec, s[10:11]
                                        ; implicit-def: $vgpr0
                                        ; implicit-def: $vgpr1
.LBB27_92:
	s_andn2_saveexec_b64 s[8:9], s[8:9]
; %bb.93:
	v_add_f32_e32 v3, v0, v0
	v_mov_b32_e32 v4, v1
; %bb.94:
	s_or_b64 exec, exec, s[8:9]
                                        ; implicit-def: $vgpr1
                                        ; implicit-def: $vgpr0
.LBB27_95:
	s_andn2_saveexec_b64 s[6:7], s[6:7]
; %bb.96:
	v_add_f32_e32 v3, v1, v1
	v_mov_b32_e32 v4, v0
; %bb.97:
	s_or_b64 exec, exec, s[6:7]
	v_mov_b32_e32 v0, v4
	v_mov_b32_e32 v1, v3
.LBB27_98:
	s_or_b64 exec, exec, s[4:5]
	v_cvt_f16_f32_e32 v1, v1
	v_cvt_f16_f32_sdwa v0, v0 dst_sel:WORD_1 dst_unused:UNUSED_PAD src0_sel:DWORD
	v_or_b32_e32 v0, v0, v1
	s_waitcnt lgkmcnt(0)
	s_setpc_b64 s[30:31]
.Lfunc_end27:
	.size	_ZN2at6native6invokeIZZZNS0_16asin_kernel_cudaERNS_18TensorIteratorBaseEENKUlvE_clEvENKUlvE1_clEvEUlN3c107complexINS6_4HalfEEEE_j15function_traitsISA_EEENT1_11result_typeERKT_PrKPcPKT0_i, .Lfunc_end27-_ZN2at6native6invokeIZZZNS0_16asin_kernel_cudaERNS_18TensorIteratorBaseEENKUlvE_clEvENKUlvE1_clEvEUlN3c107complexINS6_4HalfEEEE_j15function_traitsISA_EEENT1_11result_typeERKT_PrKPcPKT0_i
                                        ; -- End function
	.set .L_ZN2at6native6invokeIZZZNS0_16asin_kernel_cudaERNS_18TensorIteratorBaseEENKUlvE_clEvENKUlvE1_clEvEUlN3c107complexINS6_4HalfEEEE_j15function_traitsISA_EEENT1_11result_typeERKT_PrKPcPKT0_i.num_vgpr, 20
	.set .L_ZN2at6native6invokeIZZZNS0_16asin_kernel_cudaERNS_18TensorIteratorBaseEENKUlvE_clEvENKUlvE1_clEvEUlN3c107complexINS6_4HalfEEEE_j15function_traitsISA_EEENT1_11result_typeERKT_PrKPcPKT0_i.num_agpr, 0
	.set .L_ZN2at6native6invokeIZZZNS0_16asin_kernel_cudaERNS_18TensorIteratorBaseEENKUlvE_clEvENKUlvE1_clEvEUlN3c107complexINS6_4HalfEEEE_j15function_traitsISA_EEENT1_11result_typeERKT_PrKPcPKT0_i.numbered_sgpr, 33
	.set .L_ZN2at6native6invokeIZZZNS0_16asin_kernel_cudaERNS_18TensorIteratorBaseEENKUlvE_clEvENKUlvE1_clEvEUlN3c107complexINS6_4HalfEEEE_j15function_traitsISA_EEENT1_11result_typeERKT_PrKPcPKT0_i.num_named_barrier, 0
	.set .L_ZN2at6native6invokeIZZZNS0_16asin_kernel_cudaERNS_18TensorIteratorBaseEENKUlvE_clEvENKUlvE1_clEvEUlN3c107complexINS6_4HalfEEEE_j15function_traitsISA_EEENT1_11result_typeERKT_PrKPcPKT0_i.private_seg_size, 12
	.set .L_ZN2at6native6invokeIZZZNS0_16asin_kernel_cudaERNS_18TensorIteratorBaseEENKUlvE_clEvENKUlvE1_clEvEUlN3c107complexINS6_4HalfEEEE_j15function_traitsISA_EEENT1_11result_typeERKT_PrKPcPKT0_i.uses_vcc, 1
	.set .L_ZN2at6native6invokeIZZZNS0_16asin_kernel_cudaERNS_18TensorIteratorBaseEENKUlvE_clEvENKUlvE1_clEvEUlN3c107complexINS6_4HalfEEEE_j15function_traitsISA_EEENT1_11result_typeERKT_PrKPcPKT0_i.uses_flat_scratch, 0
	.set .L_ZN2at6native6invokeIZZZNS0_16asin_kernel_cudaERNS_18TensorIteratorBaseEENKUlvE_clEvENKUlvE1_clEvEUlN3c107complexINS6_4HalfEEEE_j15function_traitsISA_EEENT1_11result_typeERKT_PrKPcPKT0_i.has_dyn_sized_stack, 0
	.set .L_ZN2at6native6invokeIZZZNS0_16asin_kernel_cudaERNS_18TensorIteratorBaseEENKUlvE_clEvENKUlvE1_clEvEUlN3c107complexINS6_4HalfEEEE_j15function_traitsISA_EEENT1_11result_typeERKT_PrKPcPKT0_i.has_recursion, 0
	.set .L_ZN2at6native6invokeIZZZNS0_16asin_kernel_cudaERNS_18TensorIteratorBaseEENKUlvE_clEvENKUlvE1_clEvEUlN3c107complexINS6_4HalfEEEE_j15function_traitsISA_EEENT1_11result_typeERKT_PrKPcPKT0_i.has_indirect_call, 0
	.section	.AMDGPU.csdata,"",@progbits
; Function info:
; codeLenInByte = 7324
; TotalNumSgprs: 37
; NumVgprs: 20
; ScratchSize: 12
; MemoryBound: 0
	.section	.text._ZN2at6native32elementwise_kernel_manual_unrollILi128ELi4EZNS0_22gpu_kernel_impl_nocastIZZZNS0_16asin_kernel_cudaERNS_18TensorIteratorBaseEENKUlvE_clEvENKUlvE1_clEvEUlN3c107complexINS7_4HalfEEEE_EEvS4_RKT_EUlibE_EEviT1_,"axG",@progbits,_ZN2at6native32elementwise_kernel_manual_unrollILi128ELi4EZNS0_22gpu_kernel_impl_nocastIZZZNS0_16asin_kernel_cudaERNS_18TensorIteratorBaseEENKUlvE_clEvENKUlvE1_clEvEUlN3c107complexINS7_4HalfEEEE_EEvS4_RKT_EUlibE_EEviT1_,comdat
	.globl	_ZN2at6native32elementwise_kernel_manual_unrollILi128ELi4EZNS0_22gpu_kernel_impl_nocastIZZZNS0_16asin_kernel_cudaERNS_18TensorIteratorBaseEENKUlvE_clEvENKUlvE1_clEvEUlN3c107complexINS7_4HalfEEEE_EEvS4_RKT_EUlibE_EEviT1_ ; -- Begin function _ZN2at6native32elementwise_kernel_manual_unrollILi128ELi4EZNS0_22gpu_kernel_impl_nocastIZZZNS0_16asin_kernel_cudaERNS_18TensorIteratorBaseEENKUlvE_clEvENKUlvE1_clEvEUlN3c107complexINS7_4HalfEEEE_EEvS4_RKT_EUlibE_EEviT1_
	.p2align	8
	.type	_ZN2at6native32elementwise_kernel_manual_unrollILi128ELi4EZNS0_22gpu_kernel_impl_nocastIZZZNS0_16asin_kernel_cudaERNS_18TensorIteratorBaseEENKUlvE_clEvENKUlvE1_clEvEUlN3c107complexINS7_4HalfEEEE_EEvS4_RKT_EUlibE_EEviT1_,@function
_ZN2at6native32elementwise_kernel_manual_unrollILi128ELi4EZNS0_22gpu_kernel_impl_nocastIZZZNS0_16asin_kernel_cudaERNS_18TensorIteratorBaseEENKUlvE_clEvENKUlvE1_clEvEUlN3c107complexINS7_4HalfEEEE_EEvS4_RKT_EUlibE_EEviT1_: ; @_ZN2at6native32elementwise_kernel_manual_unrollILi128ELi4EZNS0_22gpu_kernel_impl_nocastIZZZNS0_16asin_kernel_cudaERNS_18TensorIteratorBaseEENKUlvE_clEvENKUlvE1_clEvEUlN3c107complexINS7_4HalfEEEE_EEvS4_RKT_EUlibE_EEviT1_
; %bb.0:
	s_add_u32 flat_scratch_lo, s6, s9
	s_load_dword s59, s[4:5], 0x0
	s_load_dword s33, s[4:5], 0x8
	s_addc_u32 flat_scratch_hi, s7, 0
	s_add_u32 s0, s0, s9
	s_addc_u32 s1, s1, 0
	s_add_u32 s28, s4, 8
	s_addc_u32 s29, s5, 0
	v_lshl_or_b32 v22, s8, 9, v0
	s_waitcnt lgkmcnt(0)
	s_add_i32 s58, s33, -1
	v_or_b32_e32 v0, 0x180, v22
	s_cmp_gt_u32 s58, 1
	v_cmp_le_i32_e32 vcc, s59, v0
	s_cselect_b64 s[26:27], -1, 0
	s_mov_b32 s32, 0
	s_and_saveexec_b64 s[4:5], vcc
	s_xor_b64 s[34:35], exec, s[4:5]
	s_cbranch_execz .LBB28_7
; %bb.1:
	s_load_dwordx4 s[44:47], s[28:29], 0x4
	s_load_dwordx2 s[48:49], s[28:29], 0x14
	s_load_dwordx4 s[40:43], s[28:29], 0xc4
	s_load_dwordx4 s[36:39], s[28:29], 0x148
	s_cmp_lg_u32 s33, 0
	s_cselect_b64 s[54:55], -1, 0
	s_add_u32 s52, s28, 0xc4
	s_addc_u32 s53, s29, 0
	s_min_u32 s60, s58, 15
	s_cmp_gt_u32 s33, 1
	s_cselect_b64 s[50:51], -1, 0
	v_cmp_gt_i32_e32 vcc, s59, v22
	s_and_saveexec_b64 s[56:57], vcc
	s_cbranch_execz .LBB28_14
; %bb.2:
	s_andn2_b64 vcc, exec, s[26:27]
	s_cbranch_vccnz .LBB28_21
; %bb.3:
	s_andn2_b64 vcc, exec, s[54:55]
	s_cbranch_vccnz .LBB28_73
; %bb.4:
	s_add_i32 s62, s60, 1
	s_cmp_eq_u32 s58, 2
	s_cbranch_scc1 .LBB28_75
; %bb.5:
	s_and_b32 s61, s62, 28
	v_mov_b32_e32 v2, 0
	s_mov_b32 s63, 0
	s_mov_b64 s[24:25], s[28:29]
	s_mov_b64 s[30:31], s[52:53]
	v_mov_b32_e32 v20, 0
	v_mov_b32_e32 v0, v22
.LBB28_6:                               ; =>This Inner Loop Header: Depth=1
	s_load_dwordx8 s[12:19], s[24:25], 0x4
	s_load_dwordx4 s[20:23], s[24:25], 0x24
	s_load_dwordx8 s[4:11], s[30:31], 0x0
	s_add_u32 s24, s24, 48
	s_addc_u32 s25, s25, 0
	s_waitcnt lgkmcnt(0)
	v_mul_hi_u32 v1, s13, v0
	s_add_i32 s63, s63, 4
	s_add_u32 s30, s30, 32
	s_addc_u32 s31, s31, 0
	v_add_u32_e32 v1, v0, v1
	v_lshrrev_b32_e32 v1, s14, v1
	v_mul_lo_u32 v3, v1, s12
	v_mul_hi_u32 v4, s16, v1
	s_cmp_lg_u32 s61, s63
	v_sub_u32_e32 v0, v0, v3
	v_add_u32_e32 v3, v1, v4
	v_mul_lo_u32 v4, v0, s4
	v_mul_lo_u32 v5, v0, s5
	v_lshrrev_b32_e32 v0, s17, v3
	v_mul_lo_u32 v3, v0, s15
	v_mul_hi_u32 v6, s19, v0
	v_sub_u32_e32 v1, v1, v3
	v_add_u32_e32 v3, v0, v6
	v_lshrrev_b32_e32 v3, s20, v3
	v_mul_hi_u32 v7, s22, v3
	v_mul_lo_u32 v8, v3, s18
	v_mul_lo_u32 v6, v1, s6
	;; [unrolled: 1-line block ×3, first 2 shown]
	v_sub_u32_e32 v8, v0, v8
	v_add_u32_e32 v0, v3, v7
	v_lshrrev_b32_e32 v0, s23, v0
	v_mul_lo_u32 v7, v0, s21
	v_mul_lo_u32 v9, v8, s8
	v_mul_lo_u32 v8, v8, s9
	v_add3_u32 v4, v4, v20, v6
	v_sub_u32_e32 v3, v3, v7
	v_mul_lo_u32 v7, v3, s10
	v_mul_lo_u32 v3, v3, s11
	v_add3_u32 v1, v5, v2, v1
	v_add3_u32 v20, v9, v4, v7
	;; [unrolled: 1-line block ×3, first 2 shown]
	s_cbranch_scc1 .LBB28_6
	s_branch .LBB28_76
.LBB28_7:
	s_andn2_saveexec_b64 s[4:5], s[34:35]
	s_cbranch_execz .LBB28_101
.LBB28_8:
	v_cndmask_b32_e64 v1, 0, 1, s[26:27]
	v_cmp_ne_u32_e64 s[4:5], 1, v1
	s_andn2_b64 vcc, exec, s[26:27]
	s_cbranch_vccnz .LBB28_20
; %bb.9:
	s_cmp_lg_u32 s33, 0
	s_mov_b32 s34, 0
	s_cbranch_scc0 .LBB28_23
; %bb.10:
	s_min_u32 s35, s58, 15
	s_add_i32 s35, s35, 1
	s_cmp_eq_u32 s58, 2
	s_cbranch_scc1 .LBB28_24
; %bb.11:
	s_and_b32 s34, s35, 28
	s_add_u32 s6, s28, 0xc4
	s_addc_u32 s7, s29, 0
	v_mov_b32_e32 v2, 0
	s_waitcnt lgkmcnt(0)
	s_mov_b32 s36, 0
	s_mov_b64 s[30:31], s[28:29]
	v_mov_b32_e32 v24, 0
	v_mov_b32_e32 v1, v22
.LBB28_12:                              ; =>This Inner Loop Header: Depth=1
	s_load_dwordx8 s[16:23], s[30:31], 0x4
	s_load_dwordx4 s[24:27], s[30:31], 0x24
	s_load_dwordx8 s[8:15], s[6:7], 0x0
	s_add_u32 s30, s30, 48
	s_addc_u32 s31, s31, 0
	s_waitcnt lgkmcnt(0)
	v_mul_hi_u32 v3, s17, v1
	s_add_i32 s36, s36, 4
	s_add_u32 s6, s6, 32
	s_addc_u32 s7, s7, 0
	v_add_u32_e32 v3, v1, v3
	v_lshrrev_b32_e32 v3, s18, v3
	v_mul_lo_u32 v4, v3, s16
	v_mul_hi_u32 v5, s20, v3
	s_cmp_lg_u32 s34, s36
	v_sub_u32_e32 v1, v1, v4
	v_add_u32_e32 v4, v3, v5
	v_mul_lo_u32 v5, v1, s8
	v_mul_lo_u32 v6, v1, s9
	v_lshrrev_b32_e32 v1, s21, v4
	v_mul_lo_u32 v4, v1, s19
	v_mul_hi_u32 v7, s23, v1
	v_sub_u32_e32 v3, v3, v4
	v_add_u32_e32 v4, v1, v7
	v_lshrrev_b32_e32 v4, s24, v4
	v_mul_hi_u32 v8, s26, v4
	v_mul_lo_u32 v9, v4, s22
	v_mul_lo_u32 v7, v3, s10
	;; [unrolled: 1-line block ×3, first 2 shown]
	v_sub_u32_e32 v9, v1, v9
	v_add_u32_e32 v1, v4, v8
	v_lshrrev_b32_e32 v1, s27, v1
	v_mul_lo_u32 v8, v1, s25
	v_mul_lo_u32 v10, v9, s12
	;; [unrolled: 1-line block ×3, first 2 shown]
	v_add3_u32 v5, v5, v24, v7
	v_sub_u32_e32 v4, v4, v8
	v_mul_lo_u32 v8, v4, s14
	v_mul_lo_u32 v4, v4, s15
	v_add3_u32 v2, v6, v2, v3
	v_add3_u32 v24, v10, v5, v8
	;; [unrolled: 1-line block ×3, first 2 shown]
	s_cbranch_scc1 .LBB28_12
; %bb.13:
	s_and_b32 s10, s35, 3
	s_cmp_eq_u32 s10, 0
	s_cbranch_scc0 .LBB28_25
	s_branch .LBB28_27
.LBB28_14:
	s_or_b64 exec, exec, s[56:57]
	v_cmp_gt_i32_e32 vcc, s59, v22
	s_and_saveexec_b64 s[56:57], vcc
	s_cbranch_execz .LBB28_83
.LBB28_15:
	s_andn2_b64 vcc, exec, s[26:27]
	s_cbranch_vccnz .LBB28_22
; %bb.16:
	s_andn2_b64 vcc, exec, s[54:55]
	s_cbranch_vccnz .LBB28_74
; %bb.17:
	s_add_i32 s62, s60, 1
	s_cmp_eq_u32 s58, 2
	s_cbranch_scc1 .LBB28_91
; %bb.18:
	s_and_b32 s61, s62, 28
	v_mov_b32_e32 v2, 0
	s_mov_b32 s63, 0
	s_mov_b64 s[24:25], s[28:29]
	s_mov_b64 s[30:31], s[52:53]
	v_mov_b32_e32 v20, 0
	v_mov_b32_e32 v0, v22
.LBB28_19:                              ; =>This Inner Loop Header: Depth=1
	s_load_dwordx8 s[12:19], s[24:25], 0x4
	s_load_dwordx4 s[20:23], s[24:25], 0x24
	s_load_dwordx8 s[4:11], s[30:31], 0x0
	s_add_u32 s24, s24, 48
	s_addc_u32 s25, s25, 0
	s_waitcnt lgkmcnt(0)
	v_mul_hi_u32 v1, s13, v0
	s_add_i32 s63, s63, 4
	s_add_u32 s30, s30, 32
	s_addc_u32 s31, s31, 0
	v_add_u32_e32 v1, v0, v1
	v_lshrrev_b32_e32 v1, s14, v1
	v_mul_lo_u32 v3, v1, s12
	v_mul_hi_u32 v4, s16, v1
	s_cmp_eq_u32 s61, s63
	v_sub_u32_e32 v0, v0, v3
	v_add_u32_e32 v3, v1, v4
	v_mul_lo_u32 v4, v0, s4
	v_mul_lo_u32 v5, v0, s5
	v_lshrrev_b32_e32 v0, s17, v3
	v_mul_lo_u32 v3, v0, s15
	v_mul_hi_u32 v6, s19, v0
	v_sub_u32_e32 v1, v1, v3
	v_add_u32_e32 v3, v0, v6
	v_lshrrev_b32_e32 v3, s20, v3
	v_mul_hi_u32 v7, s22, v3
	v_mul_lo_u32 v8, v3, s18
	v_mul_lo_u32 v6, v1, s6
	;; [unrolled: 1-line block ×3, first 2 shown]
	v_sub_u32_e32 v8, v0, v8
	v_add_u32_e32 v0, v3, v7
	v_lshrrev_b32_e32 v0, s23, v0
	v_mul_lo_u32 v7, v0, s21
	v_mul_lo_u32 v9, v8, s8
	;; [unrolled: 1-line block ×3, first 2 shown]
	v_add3_u32 v4, v4, v20, v6
	v_sub_u32_e32 v3, v3, v7
	v_mul_lo_u32 v7, v3, s10
	v_mul_lo_u32 v3, v3, s11
	v_add3_u32 v1, v5, v2, v1
	v_add3_u32 v20, v9, v4, v7
	;; [unrolled: 1-line block ×3, first 2 shown]
	s_cbranch_scc0 .LBB28_19
	s_branch .LBB28_92
.LBB28_20:
                                        ; implicit-def: $vgpr24
                                        ; implicit-def: $vgpr2
	s_branch .LBB28_28
.LBB28_21:
                                        ; implicit-def: $vgpr20
                                        ; implicit-def: $vgpr2
	s_branch .LBB28_80
.LBB28_22:
                                        ; implicit-def: $vgpr20
                                        ; implicit-def: $vgpr2
	s_branch .LBB28_96
.LBB28_23:
	v_mov_b32_e32 v24, 0
	v_mov_b32_e32 v2, 0
	s_branch .LBB28_27
.LBB28_24:
	v_mov_b32_e32 v24, 0
	v_mov_b32_e32 v2, 0
	;; [unrolled: 1-line block ×3, first 2 shown]
	s_and_b32 s10, s35, 3
	s_cmp_eq_u32 s10, 0
	s_cbranch_scc1 .LBB28_27
.LBB28_25:
	s_lshl_b32 s6, s34, 3
	s_add_u32 s6, s28, s6
	s_addc_u32 s7, s29, 0
	s_add_u32 s6, s6, 0xc4
	s_addc_u32 s7, s7, 0
	s_mul_i32 s8, s34, 12
	s_add_u32 s8, s28, s8
	s_addc_u32 s9, s29, 0
.LBB28_26:                              ; =>This Inner Loop Header: Depth=1
	s_load_dwordx2 s[12:13], s[8:9], 0x4
	s_load_dword s11, s[8:9], 0xc
	s_load_dwordx2 s[14:15], s[6:7], 0x0
	s_add_u32 s8, s8, 12
	s_addc_u32 s9, s9, 0
	s_waitcnt lgkmcnt(0)
	v_mul_hi_u32 v3, s13, v1
	s_add_u32 s6, s6, 8
	s_addc_u32 s7, s7, 0
	s_add_i32 s10, s10, -1
	v_add_u32_e32 v3, v1, v3
	v_lshrrev_b32_e32 v4, s11, v3
	v_mul_lo_u32 v3, v4, s12
	s_cmp_lg_u32 s10, 0
	v_sub_u32_e32 v1, v1, v3
	v_mad_u64_u32 v[24:25], s[12:13], v1, s14, v[24:25]
	v_mad_u64_u32 v[2:3], s[12:13], v1, s15, v[2:3]
	v_mov_b32_e32 v1, v4
	s_cbranch_scc1 .LBB28_26
.LBB28_27:
	s_cbranch_execnz .LBB28_30
.LBB28_28:
	s_load_dwordx4 s[8:11], s[28:29], 0x4
	s_load_dwordx2 s[6:7], s[28:29], 0xc4
	s_cmp_lt_u32 s33, 2
	s_waitcnt lgkmcnt(0)
	v_mul_hi_u32 v1, s9, v22
	v_add_u32_e32 v1, v22, v1
	v_lshrrev_b32_e32 v1, s10, v1
	v_mul_lo_u32 v2, v1, s8
	v_sub_u32_e32 v2, v22, v2
	v_mul_lo_u32 v24, v2, s6
	v_mul_lo_u32 v2, v2, s7
	s_cbranch_scc1 .LBB28_30
; %bb.29:
	s_load_dwordx4 s[8:11], s[28:29], 0x10
	s_load_dwordx2 s[6:7], s[28:29], 0xcc
	s_waitcnt lgkmcnt(0)
	v_mul_hi_u32 v3, s9, v1
	v_add_u32_e32 v3, v1, v3
	v_lshrrev_b32_e32 v3, s10, v3
	v_mul_lo_u32 v3, v3, s8
	v_sub_u32_e32 v1, v1, v3
	v_mad_u64_u32 v[24:25], s[8:9], v1, s6, v[24:25]
	v_mad_u64_u32 v[2:3], s[6:7], v1, s7, v[2:3]
.LBB28_30:
	s_and_b64 vcc, exec, s[4:5]
	v_add_u32_e32 v1, 0x80, v22
	s_cbranch_vccnz .LBB28_36
; %bb.31:
	s_cmp_lg_u32 s33, 0
	s_mov_b32 s34, 0
	s_cbranch_scc0 .LBB28_37
; %bb.32:
	s_min_u32 s35, s58, 15
	s_add_i32 s35, s35, 1
	s_cmp_eq_u32 s58, 2
	s_cbranch_scc1 .LBB28_38
; %bb.33:
	s_and_b32 s34, s35, 28
	s_add_u32 s6, s28, 0xc4
	s_addc_u32 s7, s29, 0
	v_mov_b32_e32 v20, 0
	s_waitcnt lgkmcnt(0)
	s_mov_b32 s36, 0
	s_mov_b64 s[30:31], s[28:29]
	v_mov_b32_e32 v25, 0
	v_mov_b32_e32 v3, v1
.LBB28_34:                              ; =>This Inner Loop Header: Depth=1
	s_load_dwordx8 s[16:23], s[30:31], 0x4
	s_load_dwordx4 s[24:27], s[30:31], 0x24
	s_load_dwordx8 s[8:15], s[6:7], 0x0
	s_add_u32 s30, s30, 48
	s_addc_u32 s31, s31, 0
	s_waitcnt lgkmcnt(0)
	v_mul_hi_u32 v4, s17, v3
	s_add_i32 s36, s36, 4
	s_add_u32 s6, s6, 32
	s_addc_u32 s7, s7, 0
	v_add_u32_e32 v4, v3, v4
	v_lshrrev_b32_e32 v4, s18, v4
	v_mul_lo_u32 v5, v4, s16
	v_mul_hi_u32 v6, s20, v4
	s_cmp_lg_u32 s34, s36
	v_sub_u32_e32 v3, v3, v5
	v_add_u32_e32 v5, v4, v6
	v_mul_lo_u32 v6, v3, s8
	v_mul_lo_u32 v7, v3, s9
	v_lshrrev_b32_e32 v3, s21, v5
	v_mul_lo_u32 v5, v3, s19
	v_mul_hi_u32 v8, s23, v3
	v_sub_u32_e32 v4, v4, v5
	v_add_u32_e32 v5, v3, v8
	v_lshrrev_b32_e32 v5, s24, v5
	v_mul_hi_u32 v9, s26, v5
	v_mul_lo_u32 v10, v5, s22
	v_mul_lo_u32 v8, v4, s10
	;; [unrolled: 1-line block ×3, first 2 shown]
	v_sub_u32_e32 v10, v3, v10
	v_add_u32_e32 v3, v5, v9
	v_lshrrev_b32_e32 v3, s27, v3
	v_mul_lo_u32 v9, v3, s25
	v_mul_lo_u32 v11, v10, s12
	v_mul_lo_u32 v10, v10, s13
	v_add3_u32 v6, v6, v25, v8
	v_sub_u32_e32 v5, v5, v9
	v_mul_lo_u32 v9, v5, s14
	v_mul_lo_u32 v5, v5, s15
	v_add3_u32 v4, v7, v20, v4
	v_add3_u32 v25, v11, v6, v9
	;; [unrolled: 1-line block ×3, first 2 shown]
	s_cbranch_scc1 .LBB28_34
; %bb.35:
	s_and_b32 s10, s35, 3
	s_cmp_eq_u32 s10, 0
	s_cbranch_scc0 .LBB28_39
	s_branch .LBB28_41
.LBB28_36:
                                        ; implicit-def: $vgpr25
                                        ; implicit-def: $vgpr20
	s_branch .LBB28_42
.LBB28_37:
	v_mov_b32_e32 v25, 0
	v_mov_b32_e32 v20, 0
	s_branch .LBB28_41
.LBB28_38:
	v_mov_b32_e32 v25, 0
	v_mov_b32_e32 v20, 0
	v_mov_b32_e32 v3, v1
	s_and_b32 s10, s35, 3
	s_cmp_eq_u32 s10, 0
	s_cbranch_scc1 .LBB28_41
.LBB28_39:
	s_lshl_b32 s6, s34, 3
	s_add_u32 s6, s28, s6
	s_addc_u32 s7, s29, 0
	s_add_u32 s6, s6, 0xc4
	s_addc_u32 s7, s7, 0
	s_mul_i32 s8, s34, 12
	s_add_u32 s8, s28, s8
	s_addc_u32 s9, s29, 0
.LBB28_40:                              ; =>This Inner Loop Header: Depth=1
	s_load_dwordx2 s[12:13], s[8:9], 0x4
	s_load_dword s11, s[8:9], 0xc
	s_load_dwordx2 s[14:15], s[6:7], 0x0
	s_add_u32 s8, s8, 12
	s_addc_u32 s9, s9, 0
	s_waitcnt lgkmcnt(0)
	v_mul_hi_u32 v4, s13, v3
	s_add_u32 s6, s6, 8
	s_addc_u32 s7, s7, 0
	s_add_i32 s10, s10, -1
	v_add_u32_e32 v4, v3, v4
	v_lshrrev_b32_e32 v4, s11, v4
	v_mul_lo_u32 v5, v4, s12
	s_cmp_lg_u32 s10, 0
	v_sub_u32_e32 v3, v3, v5
	v_mad_u64_u32 v[25:26], s[12:13], v3, s14, v[25:26]
	v_mad_u64_u32 v[20:21], s[12:13], v3, s15, v[20:21]
	v_mov_b32_e32 v3, v4
	s_cbranch_scc1 .LBB28_40
.LBB28_41:
	s_cbranch_execnz .LBB28_44
.LBB28_42:
	s_load_dwordx4 s[8:11], s[28:29], 0x4
	s_load_dwordx2 s[6:7], s[28:29], 0xc4
	s_cmp_lt_u32 s33, 2
	s_waitcnt lgkmcnt(0)
	v_mul_hi_u32 v3, s9, v1
	v_add_u32_e32 v3, v1, v3
	v_lshrrev_b32_e32 v3, s10, v3
	v_mul_lo_u32 v4, v3, s8
	v_sub_u32_e32 v1, v1, v4
	v_mul_lo_u32 v25, v1, s6
	v_mul_lo_u32 v20, v1, s7
	s_cbranch_scc1 .LBB28_44
; %bb.43:
	s_load_dwordx4 s[8:11], s[28:29], 0x10
	s_load_dwordx2 s[6:7], s[28:29], 0xcc
	s_waitcnt lgkmcnt(0)
	v_mul_hi_u32 v1, s9, v3
	v_add_u32_e32 v1, v3, v1
	v_lshrrev_b32_e32 v1, s10, v1
	v_mul_lo_u32 v1, v1, s8
	v_sub_u32_e32 v1, v3, v1
	v_mad_u64_u32 v[25:26], s[8:9], v1, s6, v[25:26]
	v_mad_u64_u32 v[20:21], s[6:7], v1, s7, v[20:21]
.LBB28_44:
	s_and_b64 vcc, exec, s[4:5]
	v_add_u32_e32 v1, 0x100, v22
	s_cbranch_vccnz .LBB28_50
; %bb.45:
	s_cmp_lg_u32 s33, 0
	s_mov_b32 s34, 0
	s_cbranch_scc0 .LBB28_51
; %bb.46:
	s_min_u32 s35, s58, 15
	s_add_i32 s35, s35, 1
	s_cmp_eq_u32 s58, 2
	s_cbranch_scc1 .LBB28_52
; %bb.47:
	s_and_b32 s34, s35, 28
	s_add_u32 s6, s28, 0xc4
	s_addc_u32 s7, s29, 0
	v_mov_b32_e32 v21, 0
	s_waitcnt lgkmcnt(0)
	s_mov_b32 s36, 0
	s_mov_b64 s[30:31], s[28:29]
	v_mov_b32_e32 v26, 0
	v_mov_b32_e32 v3, v1
.LBB28_48:                              ; =>This Inner Loop Header: Depth=1
	s_load_dwordx8 s[16:23], s[30:31], 0x4
	s_load_dwordx4 s[24:27], s[30:31], 0x24
	s_load_dwordx8 s[8:15], s[6:7], 0x0
	s_add_u32 s30, s30, 48
	s_addc_u32 s31, s31, 0
	s_waitcnt lgkmcnt(0)
	v_mul_hi_u32 v4, s17, v3
	s_add_i32 s36, s36, 4
	s_add_u32 s6, s6, 32
	s_addc_u32 s7, s7, 0
	v_add_u32_e32 v4, v3, v4
	v_lshrrev_b32_e32 v4, s18, v4
	v_mul_lo_u32 v5, v4, s16
	v_mul_hi_u32 v6, s20, v4
	s_cmp_lg_u32 s34, s36
	v_sub_u32_e32 v3, v3, v5
	v_add_u32_e32 v5, v4, v6
	v_mul_lo_u32 v6, v3, s8
	v_mul_lo_u32 v7, v3, s9
	v_lshrrev_b32_e32 v3, s21, v5
	v_mul_lo_u32 v5, v3, s19
	v_mul_hi_u32 v8, s23, v3
	v_sub_u32_e32 v4, v4, v5
	v_add_u32_e32 v5, v3, v8
	v_lshrrev_b32_e32 v5, s24, v5
	v_mul_hi_u32 v9, s26, v5
	v_mul_lo_u32 v10, v5, s22
	v_mul_lo_u32 v8, v4, s10
	;; [unrolled: 1-line block ×3, first 2 shown]
	v_sub_u32_e32 v10, v3, v10
	v_add_u32_e32 v3, v5, v9
	v_lshrrev_b32_e32 v3, s27, v3
	v_mul_lo_u32 v9, v3, s25
	v_mul_lo_u32 v11, v10, s12
	;; [unrolled: 1-line block ×3, first 2 shown]
	v_add3_u32 v6, v6, v26, v8
	v_sub_u32_e32 v5, v5, v9
	v_mul_lo_u32 v9, v5, s14
	v_mul_lo_u32 v5, v5, s15
	v_add3_u32 v4, v7, v21, v4
	v_add3_u32 v26, v11, v6, v9
	;; [unrolled: 1-line block ×3, first 2 shown]
	s_cbranch_scc1 .LBB28_48
; %bb.49:
	s_and_b32 s10, s35, 3
	s_cmp_eq_u32 s10, 0
	s_cbranch_scc0 .LBB28_53
	s_branch .LBB28_55
.LBB28_50:
                                        ; implicit-def: $vgpr26
                                        ; implicit-def: $vgpr21
	s_branch .LBB28_56
.LBB28_51:
	v_mov_b32_e32 v26, 0
	v_mov_b32_e32 v21, 0
	s_branch .LBB28_55
.LBB28_52:
	v_mov_b32_e32 v26, 0
	v_mov_b32_e32 v21, 0
	;; [unrolled: 1-line block ×3, first 2 shown]
	s_and_b32 s10, s35, 3
	s_cmp_eq_u32 s10, 0
	s_cbranch_scc1 .LBB28_55
.LBB28_53:
	s_lshl_b32 s6, s34, 3
	s_add_u32 s6, s28, s6
	s_addc_u32 s7, s29, 0
	s_add_u32 s6, s6, 0xc4
	s_addc_u32 s7, s7, 0
	s_mul_i32 s8, s34, 12
	s_add_u32 s8, s28, s8
	s_addc_u32 s9, s29, 0
.LBB28_54:                              ; =>This Inner Loop Header: Depth=1
	s_load_dwordx2 s[12:13], s[8:9], 0x4
	s_load_dword s11, s[8:9], 0xc
	s_load_dwordx2 s[14:15], s[6:7], 0x0
	s_add_u32 s8, s8, 12
	s_addc_u32 s9, s9, 0
	s_waitcnt lgkmcnt(0)
	v_mul_hi_u32 v4, s13, v3
	s_add_u32 s6, s6, 8
	s_addc_u32 s7, s7, 0
	s_add_i32 s10, s10, -1
	v_add_u32_e32 v4, v3, v4
	v_lshrrev_b32_e32 v4, s11, v4
	v_mul_lo_u32 v5, v4, s12
	s_cmp_lg_u32 s10, 0
	v_sub_u32_e32 v3, v3, v5
	v_mad_u64_u32 v[26:27], s[12:13], v3, s14, v[26:27]
	v_mad_u64_u32 v[21:22], s[12:13], v3, s15, v[21:22]
	v_mov_b32_e32 v3, v4
	s_cbranch_scc1 .LBB28_54
.LBB28_55:
	s_cbranch_execnz .LBB28_58
.LBB28_56:
	s_load_dwordx4 s[8:11], s[28:29], 0x4
	s_load_dwordx2 s[6:7], s[28:29], 0xc4
	s_cmp_lt_u32 s33, 2
	s_waitcnt lgkmcnt(0)
	v_mul_hi_u32 v3, s9, v1
	v_add_u32_e32 v3, v1, v3
	v_lshrrev_b32_e32 v3, s10, v3
	v_mul_lo_u32 v4, v3, s8
	v_sub_u32_e32 v1, v1, v4
	v_mul_lo_u32 v26, v1, s6
	v_mul_lo_u32 v21, v1, s7
	s_cbranch_scc1 .LBB28_58
; %bb.57:
	s_load_dwordx4 s[8:11], s[28:29], 0x10
	s_load_dwordx2 s[6:7], s[28:29], 0xcc
	s_waitcnt lgkmcnt(0)
	v_mul_hi_u32 v1, s9, v3
	v_add_u32_e32 v1, v3, v1
	v_lshrrev_b32_e32 v1, s10, v1
	v_mul_lo_u32 v1, v1, s8
	v_sub_u32_e32 v1, v3, v1
	v_mad_u64_u32 v[26:27], s[8:9], v1, s6, v[26:27]
	v_mad_u64_u32 v[21:22], s[6:7], v1, s7, v[21:22]
.LBB28_58:
	s_and_b64 vcc, exec, s[4:5]
	s_cbranch_vccnz .LBB28_64
; %bb.59:
	s_cmp_lg_u32 s33, 0
	s_mov_b32 s30, 0
	s_cbranch_scc0 .LBB28_65
; %bb.60:
	s_min_u32 s31, s58, 15
	s_add_i32 s31, s31, 1
	s_cmp_eq_u32 s58, 2
	s_cbranch_scc1 .LBB28_66
; %bb.61:
	s_and_b32 s30, s31, 28
	s_add_u32 s24, s28, 0xc4
	s_addc_u32 s25, s29, 0
	v_mov_b32_e32 v22, 0
	s_mov_b32 s34, 0
	s_mov_b64 s[26:27], s[28:29]
	v_mov_b32_e32 v27, 0
	v_mov_b32_e32 v1, v0
.LBB28_62:                              ; =>This Inner Loop Header: Depth=1
	s_load_dwordx8 s[12:19], s[26:27], 0x4
	s_load_dwordx4 s[20:23], s[26:27], 0x24
	s_load_dwordx8 s[4:11], s[24:25], 0x0
	s_add_u32 s26, s26, 48
	s_addc_u32 s27, s27, 0
	s_waitcnt lgkmcnt(0)
	v_mul_hi_u32 v3, s13, v1
	s_add_i32 s34, s34, 4
	s_add_u32 s24, s24, 32
	s_addc_u32 s25, s25, 0
	v_add_u32_e32 v3, v1, v3
	v_lshrrev_b32_e32 v3, s14, v3
	v_mul_lo_u32 v4, v3, s12
	v_mul_hi_u32 v5, s16, v3
	s_cmp_lg_u32 s30, s34
	v_sub_u32_e32 v1, v1, v4
	v_add_u32_e32 v4, v3, v5
	v_mul_lo_u32 v5, v1, s4
	v_mul_lo_u32 v6, v1, s5
	v_lshrrev_b32_e32 v1, s17, v4
	v_mul_lo_u32 v4, v1, s15
	v_mul_hi_u32 v7, s19, v1
	v_sub_u32_e32 v3, v3, v4
	v_add_u32_e32 v4, v1, v7
	v_lshrrev_b32_e32 v4, s20, v4
	v_mul_hi_u32 v8, s22, v4
	v_mul_lo_u32 v9, v4, s18
	v_mul_lo_u32 v7, v3, s6
	;; [unrolled: 1-line block ×3, first 2 shown]
	v_sub_u32_e32 v9, v1, v9
	v_add_u32_e32 v1, v4, v8
	v_lshrrev_b32_e32 v1, s23, v1
	v_mul_lo_u32 v8, v1, s21
	v_mul_lo_u32 v10, v9, s8
	;; [unrolled: 1-line block ×3, first 2 shown]
	v_add3_u32 v5, v5, v27, v7
	v_sub_u32_e32 v4, v4, v8
	v_mul_lo_u32 v8, v4, s10
	v_mul_lo_u32 v4, v4, s11
	v_add3_u32 v3, v6, v22, v3
	v_add3_u32 v27, v10, v5, v8
	;; [unrolled: 1-line block ×3, first 2 shown]
	s_cbranch_scc1 .LBB28_62
; %bb.63:
	s_and_b32 s8, s31, 3
	s_cmp_eq_u32 s8, 0
	s_cbranch_scc0 .LBB28_67
	s_branch .LBB28_69
.LBB28_64:
                                        ; implicit-def: $vgpr27
                                        ; implicit-def: $vgpr22
	s_branch .LBB28_70
.LBB28_65:
	v_mov_b32_e32 v27, 0
	v_mov_b32_e32 v22, 0
	s_branch .LBB28_69
.LBB28_66:
	v_mov_b32_e32 v27, 0
	v_mov_b32_e32 v22, 0
	;; [unrolled: 1-line block ×3, first 2 shown]
	s_and_b32 s8, s31, 3
	s_cmp_eq_u32 s8, 0
	s_cbranch_scc1 .LBB28_69
.LBB28_67:
	s_lshl_b32 s4, s30, 3
	s_add_u32 s4, s28, s4
	s_addc_u32 s5, s29, 0
	s_add_u32 s4, s4, 0xc4
	s_addc_u32 s5, s5, 0
	s_mul_i32 s6, s30, 12
	s_add_u32 s6, s28, s6
	s_addc_u32 s7, s29, 0
.LBB28_68:                              ; =>This Inner Loop Header: Depth=1
	s_load_dwordx2 s[10:11], s[6:7], 0x4
	s_load_dword s9, s[6:7], 0xc
	s_load_dwordx2 s[12:13], s[4:5], 0x0
	s_add_u32 s6, s6, 12
	s_addc_u32 s7, s7, 0
	s_waitcnt lgkmcnt(0)
	v_mul_hi_u32 v3, s11, v1
	s_add_u32 s4, s4, 8
	s_addc_u32 s5, s5, 0
	s_add_i32 s8, s8, -1
	v_add_u32_e32 v3, v1, v3
	v_lshrrev_b32_e32 v3, s9, v3
	v_mul_lo_u32 v4, v3, s10
	s_cmp_lg_u32 s8, 0
	v_sub_u32_e32 v1, v1, v4
	v_mad_u64_u32 v[27:28], s[10:11], v1, s12, v[27:28]
	v_mad_u64_u32 v[22:23], s[10:11], v1, s13, v[22:23]
	v_mov_b32_e32 v1, v3
	s_cbranch_scc1 .LBB28_68
.LBB28_69:
	s_cbranch_execnz .LBB28_72
.LBB28_70:
	s_load_dwordx4 s[4:7], s[28:29], 0x4
	s_load_dwordx2 s[8:9], s[28:29], 0xc4
	s_cmp_lt_u32 s33, 2
	s_waitcnt lgkmcnt(0)
	v_mul_hi_u32 v1, s5, v0
	v_add_u32_e32 v1, v0, v1
	v_lshrrev_b32_e32 v1, s6, v1
	v_mul_lo_u32 v3, v1, s4
	v_sub_u32_e32 v0, v0, v3
	v_mul_lo_u32 v27, v0, s8
	v_mul_lo_u32 v22, v0, s9
	s_cbranch_scc1 .LBB28_72
; %bb.71:
	s_load_dwordx4 s[4:7], s[28:29], 0x10
	s_load_dwordx2 s[8:9], s[28:29], 0xcc
	s_waitcnt lgkmcnt(0)
	v_mul_hi_u32 v0, s5, v1
	v_add_u32_e32 v0, v1, v0
	v_lshrrev_b32_e32 v0, s6, v0
	v_mul_lo_u32 v0, v0, s4
	v_sub_u32_e32 v0, v1, v0
	v_mad_u64_u32 v[27:28], s[4:5], v0, s8, v[27:28]
	v_mad_u64_u32 v[22:23], s[4:5], v0, s9, v[22:23]
.LBB28_72:
	s_waitcnt lgkmcnt(0)
	s_load_dwordx4 s[36:39], s[28:29], 0x148
	s_getpc_b64 s[26:27]
	s_add_u32 s26, s26, _ZN2at6native6invokeIZZZNS0_16asin_kernel_cudaERNS_18TensorIteratorBaseEENKUlvE_clEvENKUlvE1_clEvEUlN3c107complexINS6_4HalfEEEE_j15function_traitsISA_EEENT1_11result_typeERKT_PrKPcPKT0_i@rel32@lo+4
	s_addc_u32 s27, s27, _ZN2at6native6invokeIZZZNS0_16asin_kernel_cudaERNS_18TensorIteratorBaseEENKUlvE_clEvENKUlvE1_clEvEUlN3c107complexINS6_4HalfEEEE_j15function_traitsISA_EEENT1_11result_typeERKT_PrKPcPKT0_i@rel32@hi+12
	s_waitcnt lgkmcnt(0)
	v_mov_b32_e32 v0, s38
	v_mov_b32_e32 v1, s39
	s_swappc_b64 s[30:31], s[26:27]
	v_mov_b32_e32 v23, v0
	v_mov_b32_e32 v0, s38
	v_mov_b32_e32 v1, s39
	v_mov_b32_e32 v2, v20
	s_swappc_b64 s[30:31], s[26:27]
	v_mov_b32_e32 v20, v0
	v_mov_b32_e32 v0, s38
	;; [unrolled: 5-line block ×3, first 2 shown]
	v_mov_b32_e32 v1, s39
	v_mov_b32_e32 v2, v22
	s_swappc_b64 s[30:31], s[26:27]
	global_store_dword v24, v23, s[36:37]
	global_store_dword v25, v20, s[36:37]
	;; [unrolled: 1-line block ×4, first 2 shown]
	s_endpgm
.LBB28_73:
	v_mov_b32_e32 v20, 0
	v_mov_b32_e32 v2, 0
	s_branch .LBB28_79
.LBB28_74:
	v_mov_b32_e32 v20, 0
	v_mov_b32_e32 v2, 0
	s_branch .LBB28_95
.LBB28_75:
	s_mov_b32 s61, 0
	v_mov_b32_e32 v20, 0
	v_mov_b32_e32 v2, 0
	;; [unrolled: 1-line block ×3, first 2 shown]
.LBB28_76:
	s_and_b32 s8, s62, 3
	s_cmp_eq_u32 s8, 0
	s_cbranch_scc1 .LBB28_79
; %bb.77:
	s_lshl_b32 s4, s61, 3
	s_add_u32 s4, s28, s4
	s_addc_u32 s5, s29, 0
	s_add_u32 s4, s4, 0xc4
	s_addc_u32 s5, s5, 0
	s_mul_i32 s6, s61, 12
	s_add_u32 s6, s28, s6
	s_addc_u32 s7, s29, 0
.LBB28_78:                              ; =>This Inner Loop Header: Depth=1
	s_load_dwordx2 s[10:11], s[6:7], 0x4
	s_load_dword s9, s[6:7], 0xc
	s_load_dwordx2 s[12:13], s[4:5], 0x0
	s_add_u32 s6, s6, 12
	s_addc_u32 s7, s7, 0
	s_waitcnt lgkmcnt(0)
	v_mul_hi_u32 v1, s11, v0
	s_add_u32 s4, s4, 8
	s_addc_u32 s5, s5, 0
	s_add_i32 s8, s8, -1
	v_add_u32_e32 v1, v0, v1
	v_lshrrev_b32_e32 v1, s9, v1
	v_mul_lo_u32 v3, v1, s10
	s_cmp_lg_u32 s8, 0
	v_sub_u32_e32 v0, v0, v3
	v_mad_u64_u32 v[20:21], s[10:11], v0, s12, v[20:21]
	v_mad_u64_u32 v[2:3], s[10:11], v0, s13, v[2:3]
	v_mov_b32_e32 v0, v1
	s_cbranch_scc1 .LBB28_78
.LBB28_79:
	s_cbranch_execnz .LBB28_82
.LBB28_80:
	s_waitcnt lgkmcnt(0)
	v_mul_hi_u32 v0, s45, v22
	s_andn2_b64 vcc, exec, s[50:51]
	v_add_u32_e32 v0, v22, v0
	v_lshrrev_b32_e32 v0, s46, v0
	v_mul_lo_u32 v1, v0, s44
	v_sub_u32_e32 v1, v22, v1
	v_mul_lo_u32 v20, v1, s40
	v_mul_lo_u32 v2, v1, s41
	s_cbranch_vccnz .LBB28_82
; %bb.81:
	v_mul_hi_u32 v1, s48, v0
	v_add_u32_e32 v1, v0, v1
	v_lshrrev_b32_e32 v1, s49, v1
	v_mul_lo_u32 v1, v1, s47
	v_sub_u32_e32 v0, v0, v1
	v_mad_u64_u32 v[20:21], s[4:5], v0, s42, v[20:21]
	v_mad_u64_u32 v[2:3], s[4:5], v0, s43, v[2:3]
.LBB28_82:
	s_getpc_b64 s[4:5]
	s_add_u32 s4, s4, _ZN2at6native6invokeIZZZNS0_16asin_kernel_cudaERNS_18TensorIteratorBaseEENKUlvE_clEvENKUlvE1_clEvEUlN3c107complexINS6_4HalfEEEE_j15function_traitsISA_EEENT1_11result_typeERKT_PrKPcPKT0_i@rel32@lo+4
	s_addc_u32 s5, s5, _ZN2at6native6invokeIZZZNS0_16asin_kernel_cudaERNS_18TensorIteratorBaseEENKUlvE_clEvENKUlvE1_clEvEUlN3c107complexINS6_4HalfEEEE_j15function_traitsISA_EEENT1_11result_typeERKT_PrKPcPKT0_i@rel32@hi+12
	s_waitcnt lgkmcnt(0)
	v_mov_b32_e32 v0, s38
	v_mov_b32_e32 v1, s39
	s_swappc_b64 s[30:31], s[4:5]
	v_add_u32_e32 v22, 0x80, v22
	global_store_dword v20, v0, s[36:37]
	s_or_b64 exec, exec, s[56:57]
	v_cmp_gt_i32_e32 vcc, s59, v22
	s_and_saveexec_b64 s[56:57], vcc
	s_cbranch_execnz .LBB28_15
.LBB28_83:
	s_or_b64 exec, exec, s[56:57]
	v_cmp_gt_i32_e32 vcc, s59, v22
	s_and_saveexec_b64 s[56:57], vcc
	s_cbranch_execz .LBB28_99
.LBB28_84:
	s_andn2_b64 vcc, exec, s[26:27]
	s_cbranch_vccnz .LBB28_89
; %bb.85:
	s_andn2_b64 vcc, exec, s[54:55]
	s_cbranch_vccnz .LBB28_90
; %bb.86:
	s_add_i32 s62, s60, 1
	s_cmp_eq_u32 s58, 2
	s_cbranch_scc1 .LBB28_102
; %bb.87:
	s_and_b32 s61, s62, 28
	v_mov_b32_e32 v2, 0
	s_mov_b32 s63, 0
	s_mov_b64 s[24:25], s[28:29]
	s_mov_b64 s[30:31], s[52:53]
	v_mov_b32_e32 v20, 0
	v_mov_b32_e32 v0, v22
.LBB28_88:                              ; =>This Inner Loop Header: Depth=1
	s_load_dwordx8 s[12:19], s[24:25], 0x4
	s_load_dwordx4 s[20:23], s[24:25], 0x24
	s_load_dwordx8 s[4:11], s[30:31], 0x0
	s_add_u32 s24, s24, 48
	s_addc_u32 s25, s25, 0
	s_waitcnt lgkmcnt(0)
	v_mul_hi_u32 v1, s13, v0
	s_add_i32 s63, s63, 4
	s_add_u32 s30, s30, 32
	s_addc_u32 s31, s31, 0
	v_add_u32_e32 v1, v0, v1
	v_lshrrev_b32_e32 v1, s14, v1
	v_mul_lo_u32 v3, v1, s12
	v_mul_hi_u32 v4, s16, v1
	s_cmp_eq_u32 s61, s63
	v_sub_u32_e32 v0, v0, v3
	v_add_u32_e32 v3, v1, v4
	v_mul_lo_u32 v4, v0, s4
	v_mul_lo_u32 v5, v0, s5
	v_lshrrev_b32_e32 v0, s17, v3
	v_mul_lo_u32 v3, v0, s15
	v_mul_hi_u32 v6, s19, v0
	v_sub_u32_e32 v1, v1, v3
	v_add_u32_e32 v3, v0, v6
	v_lshrrev_b32_e32 v3, s20, v3
	v_mul_hi_u32 v7, s22, v3
	v_mul_lo_u32 v8, v3, s18
	v_mul_lo_u32 v6, v1, s6
	;; [unrolled: 1-line block ×3, first 2 shown]
	v_sub_u32_e32 v8, v0, v8
	v_add_u32_e32 v0, v3, v7
	v_lshrrev_b32_e32 v0, s23, v0
	v_mul_lo_u32 v7, v0, s21
	v_mul_lo_u32 v9, v8, s8
	;; [unrolled: 1-line block ×3, first 2 shown]
	v_add3_u32 v4, v4, v20, v6
	v_sub_u32_e32 v3, v3, v7
	v_mul_lo_u32 v7, v3, s10
	v_mul_lo_u32 v3, v3, s11
	v_add3_u32 v1, v5, v2, v1
	v_add3_u32 v20, v9, v4, v7
	;; [unrolled: 1-line block ×3, first 2 shown]
	s_cbranch_scc0 .LBB28_88
	s_branch .LBB28_103
.LBB28_89:
                                        ; implicit-def: $vgpr20
                                        ; implicit-def: $vgpr2
	s_branch .LBB28_107
.LBB28_90:
	v_mov_b32_e32 v20, 0
	v_mov_b32_e32 v2, 0
	s_branch .LBB28_106
.LBB28_91:
	s_mov_b32 s61, 0
	v_mov_b32_e32 v20, 0
	v_mov_b32_e32 v2, 0
	;; [unrolled: 1-line block ×3, first 2 shown]
.LBB28_92:
	s_and_b32 s8, s62, 3
	s_cmp_eq_u32 s8, 0
	s_cbranch_scc1 .LBB28_95
; %bb.93:
	s_lshl_b32 s4, s61, 3
	s_add_u32 s4, s28, s4
	s_addc_u32 s5, s29, 0
	s_add_u32 s4, s4, 0xc4
	s_addc_u32 s5, s5, 0
	s_mul_i32 s6, s61, 12
	s_add_u32 s6, s28, s6
	s_addc_u32 s7, s29, 0
.LBB28_94:                              ; =>This Inner Loop Header: Depth=1
	s_load_dwordx2 s[10:11], s[6:7], 0x4
	s_load_dword s9, s[6:7], 0xc
	s_load_dwordx2 s[12:13], s[4:5], 0x0
	s_add_u32 s6, s6, 12
	s_addc_u32 s7, s7, 0
	s_waitcnt lgkmcnt(0)
	v_mul_hi_u32 v1, s11, v0
	s_add_u32 s4, s4, 8
	s_addc_u32 s5, s5, 0
	s_add_i32 s8, s8, -1
	v_add_u32_e32 v1, v0, v1
	v_lshrrev_b32_e32 v1, s9, v1
	v_mul_lo_u32 v3, v1, s10
	s_cmp_lg_u32 s8, 0
	v_sub_u32_e32 v0, v0, v3
	v_mad_u64_u32 v[20:21], s[10:11], v0, s12, v[20:21]
	v_mad_u64_u32 v[2:3], s[10:11], v0, s13, v[2:3]
	v_mov_b32_e32 v0, v1
	s_cbranch_scc1 .LBB28_94
.LBB28_95:
	s_cbranch_execnz .LBB28_98
.LBB28_96:
	s_waitcnt lgkmcnt(0)
	v_mul_hi_u32 v0, s45, v22
	s_andn2_b64 vcc, exec, s[50:51]
	v_add_u32_e32 v0, v22, v0
	v_lshrrev_b32_e32 v0, s46, v0
	v_mul_lo_u32 v1, v0, s44
	v_sub_u32_e32 v1, v22, v1
	v_mul_lo_u32 v20, v1, s40
	v_mul_lo_u32 v2, v1, s41
	s_cbranch_vccnz .LBB28_98
; %bb.97:
	v_mul_hi_u32 v1, s48, v0
	v_add_u32_e32 v1, v0, v1
	v_lshrrev_b32_e32 v1, s49, v1
	v_mul_lo_u32 v1, v1, s47
	v_sub_u32_e32 v0, v0, v1
	v_mad_u64_u32 v[20:21], s[4:5], v0, s42, v[20:21]
	v_mad_u64_u32 v[2:3], s[4:5], v0, s43, v[2:3]
.LBB28_98:
	s_getpc_b64 s[4:5]
	s_add_u32 s4, s4, _ZN2at6native6invokeIZZZNS0_16asin_kernel_cudaERNS_18TensorIteratorBaseEENKUlvE_clEvENKUlvE1_clEvEUlN3c107complexINS6_4HalfEEEE_j15function_traitsISA_EEENT1_11result_typeERKT_PrKPcPKT0_i@rel32@lo+4
	s_addc_u32 s5, s5, _ZN2at6native6invokeIZZZNS0_16asin_kernel_cudaERNS_18TensorIteratorBaseEENKUlvE_clEvENKUlvE1_clEvEUlN3c107complexINS6_4HalfEEEE_j15function_traitsISA_EEENT1_11result_typeERKT_PrKPcPKT0_i@rel32@hi+12
	s_waitcnt lgkmcnt(0)
	v_mov_b32_e32 v0, s38
	v_mov_b32_e32 v1, s39
	s_swappc_b64 s[30:31], s[4:5]
	v_add_u32_e32 v22, 0x80, v22
	global_store_dword v20, v0, s[36:37]
	s_or_b64 exec, exec, s[56:57]
	v_cmp_gt_i32_e32 vcc, s59, v22
	s_and_saveexec_b64 s[56:57], vcc
	s_cbranch_execnz .LBB28_84
.LBB28_99:
	s_or_b64 exec, exec, s[56:57]
	v_cmp_gt_i32_e32 vcc, s59, v22
	s_and_saveexec_b64 s[56:57], vcc
	s_cbranch_execnz .LBB28_110
.LBB28_100:
	s_or_b64 exec, exec, s[56:57]
                                        ; implicit-def: $vgpr0
                                        ; implicit-def: $vgpr22
	s_andn2_saveexec_b64 s[4:5], s[34:35]
	s_cbranch_execnz .LBB28_8
.LBB28_101:
	s_endpgm
.LBB28_102:
	s_mov_b32 s61, 0
	v_mov_b32_e32 v20, 0
	v_mov_b32_e32 v2, 0
	;; [unrolled: 1-line block ×3, first 2 shown]
.LBB28_103:
	s_and_b32 s8, s62, 3
	s_cmp_eq_u32 s8, 0
	s_cbranch_scc1 .LBB28_106
; %bb.104:
	s_lshl_b32 s4, s61, 3
	s_add_u32 s4, s28, s4
	s_addc_u32 s5, s29, 0
	s_add_u32 s4, s4, 0xc4
	s_addc_u32 s5, s5, 0
	s_mul_i32 s6, s61, 12
	s_add_u32 s6, s28, s6
	s_addc_u32 s7, s29, 0
.LBB28_105:                             ; =>This Inner Loop Header: Depth=1
	s_load_dwordx2 s[10:11], s[6:7], 0x4
	s_load_dword s9, s[6:7], 0xc
	s_load_dwordx2 s[12:13], s[4:5], 0x0
	s_add_u32 s6, s6, 12
	s_addc_u32 s7, s7, 0
	s_waitcnt lgkmcnt(0)
	v_mul_hi_u32 v1, s11, v0
	s_add_u32 s4, s4, 8
	s_addc_u32 s5, s5, 0
	s_add_i32 s8, s8, -1
	v_add_u32_e32 v1, v0, v1
	v_lshrrev_b32_e32 v1, s9, v1
	v_mul_lo_u32 v3, v1, s10
	s_cmp_lg_u32 s8, 0
	v_sub_u32_e32 v0, v0, v3
	v_mad_u64_u32 v[20:21], s[10:11], v0, s12, v[20:21]
	v_mad_u64_u32 v[2:3], s[10:11], v0, s13, v[2:3]
	v_mov_b32_e32 v0, v1
	s_cbranch_scc1 .LBB28_105
.LBB28_106:
	s_cbranch_execnz .LBB28_109
.LBB28_107:
	s_waitcnt lgkmcnt(0)
	v_mul_hi_u32 v0, s45, v22
	s_andn2_b64 vcc, exec, s[50:51]
	v_add_u32_e32 v0, v22, v0
	v_lshrrev_b32_e32 v0, s46, v0
	v_mul_lo_u32 v1, v0, s44
	v_sub_u32_e32 v1, v22, v1
	v_mul_lo_u32 v20, v1, s40
	v_mul_lo_u32 v2, v1, s41
	s_cbranch_vccnz .LBB28_109
; %bb.108:
	v_mul_hi_u32 v1, s48, v0
	v_add_u32_e32 v1, v0, v1
	v_lshrrev_b32_e32 v1, s49, v1
	v_mul_lo_u32 v1, v1, s47
	v_sub_u32_e32 v0, v0, v1
	v_mad_u64_u32 v[20:21], s[4:5], v0, s42, v[20:21]
	v_mad_u64_u32 v[2:3], s[4:5], v0, s43, v[2:3]
.LBB28_109:
	s_getpc_b64 s[4:5]
	s_add_u32 s4, s4, _ZN2at6native6invokeIZZZNS0_16asin_kernel_cudaERNS_18TensorIteratorBaseEENKUlvE_clEvENKUlvE1_clEvEUlN3c107complexINS6_4HalfEEEE_j15function_traitsISA_EEENT1_11result_typeERKT_PrKPcPKT0_i@rel32@lo+4
	s_addc_u32 s5, s5, _ZN2at6native6invokeIZZZNS0_16asin_kernel_cudaERNS_18TensorIteratorBaseEENKUlvE_clEvENKUlvE1_clEvEUlN3c107complexINS6_4HalfEEEE_j15function_traitsISA_EEENT1_11result_typeERKT_PrKPcPKT0_i@rel32@hi+12
	s_waitcnt lgkmcnt(0)
	v_mov_b32_e32 v0, s38
	v_mov_b32_e32 v1, s39
	s_swappc_b64 s[30:31], s[4:5]
	v_add_u32_e32 v22, 0x80, v22
	global_store_dword v20, v0, s[36:37]
	s_or_b64 exec, exec, s[56:57]
	v_cmp_gt_i32_e32 vcc, s59, v22
	s_and_saveexec_b64 s[56:57], vcc
	s_cbranch_execz .LBB28_100
.LBB28_110:
	s_andn2_b64 vcc, exec, s[26:27]
	s_cbranch_vccnz .LBB28_115
; %bb.111:
	s_andn2_b64 vcc, exec, s[54:55]
	s_cbranch_vccnz .LBB28_116
; %bb.112:
	s_add_i32 s60, s60, 1
	s_cmp_eq_u32 s58, 2
	s_cbranch_scc1 .LBB28_117
; %bb.113:
	s_and_b32 s30, s60, 28
	v_mov_b32_e32 v2, 0
	s_mov_b32 s31, 0
	s_mov_b64 s[24:25], s[28:29]
	v_mov_b32_e32 v20, 0
	v_mov_b32_e32 v0, v22
.LBB28_114:                             ; =>This Inner Loop Header: Depth=1
	s_load_dwordx8 s[12:19], s[24:25], 0x4
	s_load_dwordx4 s[20:23], s[24:25], 0x24
	s_load_dwordx8 s[4:11], s[52:53], 0x0
	s_add_u32 s24, s24, 48
	s_addc_u32 s25, s25, 0
	s_waitcnt lgkmcnt(0)
	v_mul_hi_u32 v1, s13, v0
	s_add_i32 s31, s31, 4
	s_add_u32 s52, s52, 32
	s_addc_u32 s53, s53, 0
	v_add_u32_e32 v1, v0, v1
	v_lshrrev_b32_e32 v1, s14, v1
	v_mul_lo_u32 v3, v1, s12
	v_mul_hi_u32 v4, s16, v1
	s_cmp_eq_u32 s30, s31
	v_sub_u32_e32 v0, v0, v3
	v_add_u32_e32 v3, v1, v4
	v_mul_lo_u32 v4, v0, s4
	v_mul_lo_u32 v5, v0, s5
	v_lshrrev_b32_e32 v0, s17, v3
	v_mul_lo_u32 v3, v0, s15
	v_mul_hi_u32 v6, s19, v0
	v_sub_u32_e32 v1, v1, v3
	v_add_u32_e32 v3, v0, v6
	v_lshrrev_b32_e32 v3, s20, v3
	v_mul_hi_u32 v7, s22, v3
	v_mul_lo_u32 v8, v3, s18
	v_mul_lo_u32 v6, v1, s6
	;; [unrolled: 1-line block ×3, first 2 shown]
	v_sub_u32_e32 v8, v0, v8
	v_add_u32_e32 v0, v3, v7
	v_lshrrev_b32_e32 v0, s23, v0
	v_mul_lo_u32 v7, v0, s21
	v_mul_lo_u32 v9, v8, s8
	;; [unrolled: 1-line block ×3, first 2 shown]
	v_add3_u32 v4, v4, v20, v6
	v_sub_u32_e32 v3, v3, v7
	v_mul_lo_u32 v7, v3, s10
	v_mul_lo_u32 v3, v3, s11
	v_add3_u32 v1, v5, v2, v1
	v_add3_u32 v20, v9, v4, v7
	;; [unrolled: 1-line block ×3, first 2 shown]
	s_cbranch_scc0 .LBB28_114
	s_branch .LBB28_118
.LBB28_115:
                                        ; implicit-def: $vgpr20
                                        ; implicit-def: $vgpr2
	s_branch .LBB28_122
.LBB28_116:
	v_mov_b32_e32 v20, 0
	v_mov_b32_e32 v2, 0
	s_branch .LBB28_121
.LBB28_117:
	s_mov_b32 s30, 0
	v_mov_b32_e32 v20, 0
	v_mov_b32_e32 v2, 0
	;; [unrolled: 1-line block ×3, first 2 shown]
.LBB28_118:
	s_and_b32 s8, s60, 3
	s_cmp_eq_u32 s8, 0
	s_cbranch_scc1 .LBB28_121
; %bb.119:
	s_lshl_b32 s4, s30, 3
	s_add_u32 s4, s28, s4
	s_addc_u32 s5, s29, 0
	s_add_u32 s4, s4, 0xc4
	s_addc_u32 s5, s5, 0
	s_mul_i32 s6, s30, 12
	s_add_u32 s6, s28, s6
	s_addc_u32 s7, s29, 0
.LBB28_120:                             ; =>This Inner Loop Header: Depth=1
	s_load_dwordx2 s[10:11], s[6:7], 0x4
	s_load_dword s9, s[6:7], 0xc
	s_load_dwordx2 s[12:13], s[4:5], 0x0
	s_add_u32 s6, s6, 12
	s_addc_u32 s7, s7, 0
	s_waitcnt lgkmcnt(0)
	v_mul_hi_u32 v1, s11, v0
	s_add_u32 s4, s4, 8
	s_addc_u32 s5, s5, 0
	s_add_i32 s8, s8, -1
	v_add_u32_e32 v1, v0, v1
	v_lshrrev_b32_e32 v1, s9, v1
	v_mul_lo_u32 v3, v1, s10
	s_cmp_lg_u32 s8, 0
	v_sub_u32_e32 v0, v0, v3
	v_mad_u64_u32 v[20:21], s[10:11], v0, s12, v[20:21]
	v_mad_u64_u32 v[2:3], s[10:11], v0, s13, v[2:3]
	v_mov_b32_e32 v0, v1
	s_cbranch_scc1 .LBB28_120
.LBB28_121:
	s_cbranch_execnz .LBB28_124
.LBB28_122:
	s_waitcnt lgkmcnt(0)
	v_mul_hi_u32 v0, s45, v22
	s_andn2_b64 vcc, exec, s[50:51]
	v_add_u32_e32 v0, v22, v0
	v_lshrrev_b32_e32 v0, s46, v0
	v_mul_lo_u32 v1, v0, s44
	v_sub_u32_e32 v1, v22, v1
	v_mul_lo_u32 v20, v1, s40
	v_mul_lo_u32 v2, v1, s41
	s_cbranch_vccnz .LBB28_124
; %bb.123:
	v_mul_hi_u32 v1, s48, v0
	v_add_u32_e32 v1, v0, v1
	v_lshrrev_b32_e32 v1, s49, v1
	v_mul_lo_u32 v1, v1, s47
	v_sub_u32_e32 v0, v0, v1
	v_mad_u64_u32 v[20:21], s[4:5], v0, s42, v[20:21]
	v_mad_u64_u32 v[2:3], s[4:5], v0, s43, v[2:3]
.LBB28_124:
	s_getpc_b64 s[4:5]
	s_add_u32 s4, s4, _ZN2at6native6invokeIZZZNS0_16asin_kernel_cudaERNS_18TensorIteratorBaseEENKUlvE_clEvENKUlvE1_clEvEUlN3c107complexINS6_4HalfEEEE_j15function_traitsISA_EEENT1_11result_typeERKT_PrKPcPKT0_i@rel32@lo+4
	s_addc_u32 s5, s5, _ZN2at6native6invokeIZZZNS0_16asin_kernel_cudaERNS_18TensorIteratorBaseEENKUlvE_clEvENKUlvE1_clEvEUlN3c107complexINS6_4HalfEEEE_j15function_traitsISA_EEENT1_11result_typeERKT_PrKPcPKT0_i@rel32@hi+12
	s_waitcnt lgkmcnt(0)
	v_mov_b32_e32 v0, s38
	v_mov_b32_e32 v1, s39
	s_swappc_b64 s[30:31], s[4:5]
	global_store_dword v20, v0, s[36:37]
	s_or_b64 exec, exec, s[56:57]
                                        ; implicit-def: $vgpr0
                                        ; implicit-def: $vgpr22
	s_andn2_saveexec_b64 s[4:5], s[34:35]
	s_cbranch_execz .LBB28_101
	s_branch .LBB28_8
	.section	.rodata,"a",@progbits
	.p2align	6, 0x0
	.amdhsa_kernel _ZN2at6native32elementwise_kernel_manual_unrollILi128ELi4EZNS0_22gpu_kernel_impl_nocastIZZZNS0_16asin_kernel_cudaERNS_18TensorIteratorBaseEENKUlvE_clEvENKUlvE1_clEvEUlN3c107complexINS7_4HalfEEEE_EEvS4_RKT_EUlibE_EEviT1_
		.amdhsa_group_segment_fixed_size 0
		.amdhsa_private_segment_fixed_size 12
		.amdhsa_kernarg_size 360
		.amdhsa_user_sgpr_count 8
		.amdhsa_user_sgpr_private_segment_buffer 1
		.amdhsa_user_sgpr_dispatch_ptr 0
		.amdhsa_user_sgpr_queue_ptr 0
		.amdhsa_user_sgpr_kernarg_segment_ptr 1
		.amdhsa_user_sgpr_dispatch_id 0
		.amdhsa_user_sgpr_flat_scratch_init 1
		.amdhsa_user_sgpr_private_segment_size 0
		.amdhsa_uses_dynamic_stack 0
		.amdhsa_system_sgpr_private_segment_wavefront_offset 1
		.amdhsa_system_sgpr_workgroup_id_x 1
		.amdhsa_system_sgpr_workgroup_id_y 0
		.amdhsa_system_sgpr_workgroup_id_z 0
		.amdhsa_system_sgpr_workgroup_info 0
		.amdhsa_system_vgpr_workitem_id 0
		.amdhsa_next_free_vgpr 29
		.amdhsa_next_free_sgpr 64
		.amdhsa_reserve_vcc 1
		.amdhsa_reserve_flat_scratch 1
		.amdhsa_float_round_mode_32 0
		.amdhsa_float_round_mode_16_64 0
		.amdhsa_float_denorm_mode_32 3
		.amdhsa_float_denorm_mode_16_64 3
		.amdhsa_dx10_clamp 1
		.amdhsa_ieee_mode 1
		.amdhsa_fp16_overflow 0
		.amdhsa_exception_fp_ieee_invalid_op 0
		.amdhsa_exception_fp_denorm_src 0
		.amdhsa_exception_fp_ieee_div_zero 0
		.amdhsa_exception_fp_ieee_overflow 0
		.amdhsa_exception_fp_ieee_underflow 0
		.amdhsa_exception_fp_ieee_inexact 0
		.amdhsa_exception_int_div_zero 0
	.end_amdhsa_kernel
	.section	.text._ZN2at6native32elementwise_kernel_manual_unrollILi128ELi4EZNS0_22gpu_kernel_impl_nocastIZZZNS0_16asin_kernel_cudaERNS_18TensorIteratorBaseEENKUlvE_clEvENKUlvE1_clEvEUlN3c107complexINS7_4HalfEEEE_EEvS4_RKT_EUlibE_EEviT1_,"axG",@progbits,_ZN2at6native32elementwise_kernel_manual_unrollILi128ELi4EZNS0_22gpu_kernel_impl_nocastIZZZNS0_16asin_kernel_cudaERNS_18TensorIteratorBaseEENKUlvE_clEvENKUlvE1_clEvEUlN3c107complexINS7_4HalfEEEE_EEvS4_RKT_EUlibE_EEviT1_,comdat
.Lfunc_end28:
	.size	_ZN2at6native32elementwise_kernel_manual_unrollILi128ELi4EZNS0_22gpu_kernel_impl_nocastIZZZNS0_16asin_kernel_cudaERNS_18TensorIteratorBaseEENKUlvE_clEvENKUlvE1_clEvEUlN3c107complexINS7_4HalfEEEE_EEvS4_RKT_EUlibE_EEviT1_, .Lfunc_end28-_ZN2at6native32elementwise_kernel_manual_unrollILi128ELi4EZNS0_22gpu_kernel_impl_nocastIZZZNS0_16asin_kernel_cudaERNS_18TensorIteratorBaseEENKUlvE_clEvENKUlvE1_clEvEUlN3c107complexINS7_4HalfEEEE_EEvS4_RKT_EUlibE_EEviT1_
                                        ; -- End function
	.set _ZN2at6native32elementwise_kernel_manual_unrollILi128ELi4EZNS0_22gpu_kernel_impl_nocastIZZZNS0_16asin_kernel_cudaERNS_18TensorIteratorBaseEENKUlvE_clEvENKUlvE1_clEvEUlN3c107complexINS7_4HalfEEEE_EEvS4_RKT_EUlibE_EEviT1_.num_vgpr, max(29, .L_ZN2at6native6invokeIZZZNS0_16asin_kernel_cudaERNS_18TensorIteratorBaseEENKUlvE_clEvENKUlvE1_clEvEUlN3c107complexINS6_4HalfEEEE_j15function_traitsISA_EEENT1_11result_typeERKT_PrKPcPKT0_i.num_vgpr)
	.set _ZN2at6native32elementwise_kernel_manual_unrollILi128ELi4EZNS0_22gpu_kernel_impl_nocastIZZZNS0_16asin_kernel_cudaERNS_18TensorIteratorBaseEENKUlvE_clEvENKUlvE1_clEvEUlN3c107complexINS7_4HalfEEEE_EEvS4_RKT_EUlibE_EEviT1_.num_agpr, max(0, .L_ZN2at6native6invokeIZZZNS0_16asin_kernel_cudaERNS_18TensorIteratorBaseEENKUlvE_clEvENKUlvE1_clEvEUlN3c107complexINS6_4HalfEEEE_j15function_traitsISA_EEENT1_11result_typeERKT_PrKPcPKT0_i.num_agpr)
	.set _ZN2at6native32elementwise_kernel_manual_unrollILi128ELi4EZNS0_22gpu_kernel_impl_nocastIZZZNS0_16asin_kernel_cudaERNS_18TensorIteratorBaseEENKUlvE_clEvENKUlvE1_clEvEUlN3c107complexINS7_4HalfEEEE_EEvS4_RKT_EUlibE_EEviT1_.numbered_sgpr, max(64, .L_ZN2at6native6invokeIZZZNS0_16asin_kernel_cudaERNS_18TensorIteratorBaseEENKUlvE_clEvENKUlvE1_clEvEUlN3c107complexINS6_4HalfEEEE_j15function_traitsISA_EEENT1_11result_typeERKT_PrKPcPKT0_i.numbered_sgpr)
	.set _ZN2at6native32elementwise_kernel_manual_unrollILi128ELi4EZNS0_22gpu_kernel_impl_nocastIZZZNS0_16asin_kernel_cudaERNS_18TensorIteratorBaseEENKUlvE_clEvENKUlvE1_clEvEUlN3c107complexINS7_4HalfEEEE_EEvS4_RKT_EUlibE_EEviT1_.num_named_barrier, max(0, .L_ZN2at6native6invokeIZZZNS0_16asin_kernel_cudaERNS_18TensorIteratorBaseEENKUlvE_clEvENKUlvE1_clEvEUlN3c107complexINS6_4HalfEEEE_j15function_traitsISA_EEENT1_11result_typeERKT_PrKPcPKT0_i.num_named_barrier)
	.set _ZN2at6native32elementwise_kernel_manual_unrollILi128ELi4EZNS0_22gpu_kernel_impl_nocastIZZZNS0_16asin_kernel_cudaERNS_18TensorIteratorBaseEENKUlvE_clEvENKUlvE1_clEvEUlN3c107complexINS7_4HalfEEEE_EEvS4_RKT_EUlibE_EEviT1_.private_seg_size, 0+max(.L_ZN2at6native6invokeIZZZNS0_16asin_kernel_cudaERNS_18TensorIteratorBaseEENKUlvE_clEvENKUlvE1_clEvEUlN3c107complexINS6_4HalfEEEE_j15function_traitsISA_EEENT1_11result_typeERKT_PrKPcPKT0_i.private_seg_size)
	.set _ZN2at6native32elementwise_kernel_manual_unrollILi128ELi4EZNS0_22gpu_kernel_impl_nocastIZZZNS0_16asin_kernel_cudaERNS_18TensorIteratorBaseEENKUlvE_clEvENKUlvE1_clEvEUlN3c107complexINS7_4HalfEEEE_EEvS4_RKT_EUlibE_EEviT1_.uses_vcc, or(1, .L_ZN2at6native6invokeIZZZNS0_16asin_kernel_cudaERNS_18TensorIteratorBaseEENKUlvE_clEvENKUlvE1_clEvEUlN3c107complexINS6_4HalfEEEE_j15function_traitsISA_EEENT1_11result_typeERKT_PrKPcPKT0_i.uses_vcc)
	.set _ZN2at6native32elementwise_kernel_manual_unrollILi128ELi4EZNS0_22gpu_kernel_impl_nocastIZZZNS0_16asin_kernel_cudaERNS_18TensorIteratorBaseEENKUlvE_clEvENKUlvE1_clEvEUlN3c107complexINS7_4HalfEEEE_EEvS4_RKT_EUlibE_EEviT1_.uses_flat_scratch, or(1, .L_ZN2at6native6invokeIZZZNS0_16asin_kernel_cudaERNS_18TensorIteratorBaseEENKUlvE_clEvENKUlvE1_clEvEUlN3c107complexINS6_4HalfEEEE_j15function_traitsISA_EEENT1_11result_typeERKT_PrKPcPKT0_i.uses_flat_scratch)
	.set _ZN2at6native32elementwise_kernel_manual_unrollILi128ELi4EZNS0_22gpu_kernel_impl_nocastIZZZNS0_16asin_kernel_cudaERNS_18TensorIteratorBaseEENKUlvE_clEvENKUlvE1_clEvEUlN3c107complexINS7_4HalfEEEE_EEvS4_RKT_EUlibE_EEviT1_.has_dyn_sized_stack, or(0, .L_ZN2at6native6invokeIZZZNS0_16asin_kernel_cudaERNS_18TensorIteratorBaseEENKUlvE_clEvENKUlvE1_clEvEUlN3c107complexINS6_4HalfEEEE_j15function_traitsISA_EEENT1_11result_typeERKT_PrKPcPKT0_i.has_dyn_sized_stack)
	.set _ZN2at6native32elementwise_kernel_manual_unrollILi128ELi4EZNS0_22gpu_kernel_impl_nocastIZZZNS0_16asin_kernel_cudaERNS_18TensorIteratorBaseEENKUlvE_clEvENKUlvE1_clEvEUlN3c107complexINS7_4HalfEEEE_EEvS4_RKT_EUlibE_EEviT1_.has_recursion, or(0, .L_ZN2at6native6invokeIZZZNS0_16asin_kernel_cudaERNS_18TensorIteratorBaseEENKUlvE_clEvENKUlvE1_clEvEUlN3c107complexINS6_4HalfEEEE_j15function_traitsISA_EEENT1_11result_typeERKT_PrKPcPKT0_i.has_recursion)
	.set _ZN2at6native32elementwise_kernel_manual_unrollILi128ELi4EZNS0_22gpu_kernel_impl_nocastIZZZNS0_16asin_kernel_cudaERNS_18TensorIteratorBaseEENKUlvE_clEvENKUlvE1_clEvEUlN3c107complexINS7_4HalfEEEE_EEvS4_RKT_EUlibE_EEviT1_.has_indirect_call, or(0, .L_ZN2at6native6invokeIZZZNS0_16asin_kernel_cudaERNS_18TensorIteratorBaseEENKUlvE_clEvENKUlvE1_clEvEUlN3c107complexINS6_4HalfEEEE_j15function_traitsISA_EEENT1_11result_typeERKT_PrKPcPKT0_i.has_indirect_call)
	.section	.AMDGPU.csdata,"",@progbits
; Kernel info:
; codeLenInByte = 5824
; TotalNumSgprs: 70
; NumVgprs: 29
; ScratchSize: 12
; MemoryBound: 0
; FloatMode: 240
; IeeeMode: 1
; LDSByteSize: 0 bytes/workgroup (compile time only)
; SGPRBlocks: 8
; VGPRBlocks: 7
; NumSGPRsForWavesPerEU: 70
; NumVGPRsForWavesPerEU: 29
; Occupancy: 8
; WaveLimiterHint : 1
; COMPUTE_PGM_RSRC2:SCRATCH_EN: 1
; COMPUTE_PGM_RSRC2:USER_SGPR: 8
; COMPUTE_PGM_RSRC2:TRAP_HANDLER: 0
; COMPUTE_PGM_RSRC2:TGID_X_EN: 1
; COMPUTE_PGM_RSRC2:TGID_Y_EN: 0
; COMPUTE_PGM_RSRC2:TGID_Z_EN: 0
; COMPUTE_PGM_RSRC2:TIDIG_COMP_CNT: 0
	.text
	.p2align	2                               ; -- Begin function _ZN2at6native6invokeIZZZNS0_16asin_kernel_cudaERNS_18TensorIteratorBaseEENKUlvE_clEvENKUlvE1_clEvEUlN3c107complexINS6_4HalfEEEE_i15function_traitsISA_EEENT1_11result_typeERKT_PrKPcPKT0_PKNS6_10ScalarTypeEi
	.type	_ZN2at6native6invokeIZZZNS0_16asin_kernel_cudaERNS_18TensorIteratorBaseEENKUlvE_clEvENKUlvE1_clEvEUlN3c107complexINS6_4HalfEEEE_i15function_traitsISA_EEENT1_11result_typeERKT_PrKPcPKT0_PKNS6_10ScalarTypeEi,@function
_ZN2at6native6invokeIZZZNS0_16asin_kernel_cudaERNS_18TensorIteratorBaseEENKUlvE_clEvENKUlvE1_clEvEUlN3c107complexINS6_4HalfEEEE_i15function_traitsISA_EEENT1_11result_typeERKT_PrKPcPKT0_PKNS6_10ScalarTypeEi: ; @_ZN2at6native6invokeIZZZNS0_16asin_kernel_cudaERNS_18TensorIteratorBaseEENKUlvE_clEvENKUlvE1_clEvEUlN3c107complexINS6_4HalfEEEE_i15function_traitsISA_EEENT1_11result_typeERKT_PrKPcPKT0_PKNS6_10ScalarTypeEi
; %bb.0:
	s_waitcnt vmcnt(0) expcnt(0) lgkmcnt(0)
	v_mul_lo_u32 v2, v4, v2
	s_mov_b64 s[6:7], 0
	v_ashrrev_i32_e32 v4, 31, v2
	v_add_co_u32_e32 v0, vcc, v0, v2
	v_mov_b32_e32 v2, 10
	v_addc_co_u32_e32 v1, vcc, v1, v4, vcc
	v_cmp_gt_i16_sdwa s[4:5], v3, v2 src0_sel:BYTE_0 src1_sel:DWORD
                                        ; implicit-def: $vgpr2
	s_and_saveexec_b64 s[8:9], s[4:5]
	s_xor_b64 s[4:5], exec, s[8:9]
	s_cbranch_execnz .LBB29_4
; %bb.1:
	s_andn2_saveexec_b64 s[4:5], s[4:5]
	s_cbranch_execnz .LBB29_10
.LBB29_2:
	s_or_b64 exec, exec, s[4:5]
                                        ; implicit-def: $vgpr0
	s_and_saveexec_b64 s[8:9], s[6:7]
	s_cbranch_execnz .LBB29_51
.LBB29_3:
	s_or_b64 exec, exec, s[8:9]
	s_waitcnt vmcnt(0) lgkmcnt(0)
	s_setpc_b64 s[30:31]
.LBB29_4:
	v_mov_b32_e32 v2, 25
	v_cmp_gt_i16_sdwa s[10:11], v3, v2 src0_sel:BYTE_0 src1_sel:DWORD
	s_mov_b64 s[12:13], 0
	s_mov_b64 s[8:9], 0
                                        ; implicit-def: $vgpr2
	s_and_saveexec_b64 s[14:15], s[10:11]
	s_xor_b64 s[10:11], exec, s[14:15]
	s_cbranch_execnz .LBB29_150
; %bb.5:
	s_andn2_saveexec_b64 s[10:11], s[10:11]
	s_cbranch_execnz .LBB29_181
.LBB29_6:
	s_or_b64 exec, exec, s[10:11]
	s_and_saveexec_b64 s[10:11], s[12:13]
	s_cbranch_execnz .LBB29_204
.LBB29_7:
	s_or_b64 exec, exec, s[10:11]
	s_and_saveexec_b64 s[10:11], s[6:7]
	s_xor_b64 s[6:7], exec, s[10:11]
	s_cbranch_execz .LBB29_9
.LBB29_8:
	flat_load_ubyte v0, v[0:1]
	v_mov_b32_e32 v1, 0x3c00
	s_or_b64 s[8:9], s[8:9], exec
	s_waitcnt vmcnt(0) lgkmcnt(0)
	v_cmp_ne_u16_e32 vcc, 0, v0
	v_cndmask_b32_e32 v0, 0, v1, vcc
	v_and_b32_e32 v2, 0xffff, v0
.LBB29_9:
	s_or_b64 exec, exec, s[6:7]
	s_and_b64 s[6:7], s[8:9], exec
                                        ; implicit-def: $vgpr3
                                        ; implicit-def: $vgpr0_vgpr1
	s_andn2_saveexec_b64 s[4:5], s[4:5]
	s_cbranch_execz .LBB29_2
.LBB29_10:
	v_mov_b32_e32 v2, 4
	v_cmp_gt_i16_sdwa s[8:9], v3, v2 src0_sel:BYTE_0 src1_sel:DWORD
                                        ; implicit-def: $vgpr2
	s_and_saveexec_b64 s[10:11], s[8:9]
	s_xor_b64 s[8:9], exec, s[10:11]
	s_cbranch_execz .LBB29_32
; %bb.11:
	v_mov_b32_e32 v2, 7
	v_cmp_gt_i16_sdwa s[10:11], v3, v2 src0_sel:BYTE_0 src1_sel:DWORD
                                        ; implicit-def: $vgpr2
	s_and_saveexec_b64 s[12:13], s[10:11]
	s_xor_b64 s[10:11], exec, s[12:13]
	s_cbranch_execz .LBB29_21
; %bb.12:
	;; [unrolled: 7-line block ×4, first 2 shown]
	flat_load_dwordx4 v[0:3], v[0:1]
	s_mov_b32 s16, 0x5040100
	s_waitcnt vmcnt(0) lgkmcnt(0)
	v_cvt_f32_f64_e32 v0, v[0:1]
	v_cvt_f32_f64_e32 v1, v[2:3]
	v_cvt_f16_f32_e32 v0, v0
	v_cvt_f16_f32_e32 v1, v1
	v_perm_b32 v2, v1, v0, s16
                                        ; implicit-def: $vgpr0_vgpr1
.LBB29_15:
	s_andn2_saveexec_b64 s[14:15], s[14:15]
	s_cbranch_execz .LBB29_17
; %bb.16:
	flat_load_dwordx2 v[0:1], v[0:1]
	s_mov_b32 s16, 0x5040100
	s_waitcnt vmcnt(0) lgkmcnt(0)
	v_cvt_f16_f32_e32 v0, v0
	v_cvt_f16_f32_e32 v1, v1
	v_perm_b32 v2, v1, v0, s16
.LBB29_17:
	s_or_b64 exec, exec, s[14:15]
                                        ; implicit-def: $vgpr0_vgpr1
.LBB29_18:
	s_andn2_saveexec_b64 s[12:13], s[12:13]
	s_cbranch_execz .LBB29_20
; %bb.19:
	flat_load_dword v2, v[0:1]
.LBB29_20:
	s_or_b64 exec, exec, s[12:13]
                                        ; implicit-def: $vgpr0_vgpr1
                                        ; implicit-def: $vgpr3
.LBB29_21:
	s_andn2_saveexec_b64 s[10:11], s[10:11]
	s_cbranch_execz .LBB29_31
; %bb.22:
	s_waitcnt vmcnt(0) lgkmcnt(0)
	v_mov_b32_e32 v2, 5
	v_cmp_gt_i16_sdwa s[12:13], v3, v2 src0_sel:BYTE_0 src1_sel:DWORD
                                        ; implicit-def: $vgpr2
	s_and_saveexec_b64 s[14:15], s[12:13]
	s_xor_b64 s[12:13], exec, s[14:15]
	s_cbranch_execz .LBB29_28
; %bb.23:
	v_mov_b32_e32 v2, 6
	v_cmp_gt_i16_sdwa s[14:15], v3, v2 src0_sel:BYTE_0 src1_sel:DWORD
                                        ; implicit-def: $vgpr2
	s_and_saveexec_b64 s[16:17], s[14:15]
	s_xor_b64 s[14:15], exec, s[16:17]
	s_cbranch_execz .LBB29_25
; %bb.24:
	flat_load_dwordx2 v[0:1], v[0:1]
	s_movk_i32 s16, 0x1ff
	s_movk_i32 s17, 0xffe
	v_mov_b32_e32 v2, 0x7c00
	v_mov_b32_e32 v3, 0x7e00
	s_movk_i32 s18, 0x40f
	s_waitcnt vmcnt(0) lgkmcnt(0)
	v_and_or_b32 v0, v1, s16, v0
	v_cmp_ne_u32_e32 vcc, 0, v0
	v_lshrrev_b32_e32 v4, 8, v1
	v_bfe_u32 v5, v1, 20, 11
	v_cndmask_b32_e64 v0, 0, 1, vcc
	v_sub_u32_e32 v6, 0x3f1, v5
	v_and_or_b32 v0, v4, s17, v0
	v_add_u32_e32 v5, 0xfffffc10, v5
	v_med3_i32 v4, v6, 0, 13
	v_or_b32_e32 v6, 0x1000, v0
	v_cmp_ne_u32_e32 vcc, 0, v0
	v_lshl_or_b32 v7, v5, 12, v0
	v_cndmask_b32_e32 v0, v2, v3, vcc
	v_lshrrev_b32_e32 v3, v4, v6
	v_lshlrev_b32_e32 v4, v4, v3
	v_cmp_ne_u32_e32 vcc, v4, v6
	v_cndmask_b32_e64 v4, 0, 1, vcc
	v_or_b32_e32 v3, v3, v4
	v_cmp_gt_i32_e32 vcc, 1, v5
	v_cndmask_b32_e32 v3, v7, v3, vcc
	v_and_b32_e32 v4, 7, v3
	v_cmp_lt_i32_e32 vcc, 5, v4
	v_cndmask_b32_e64 v6, 0, 1, vcc
	v_cmp_eq_u32_e32 vcc, 3, v4
	v_cndmask_b32_e64 v4, 0, 1, vcc
	v_lshrrev_b32_e32 v3, 2, v3
	v_or_b32_e32 v4, v4, v6
	v_add_u32_e32 v3, v3, v4
	v_cmp_gt_i32_e32 vcc, 31, v5
	v_cndmask_b32_e32 v2, v2, v3, vcc
	v_cmp_eq_u32_e32 vcc, s18, v5
	v_lshrrev_b32_e32 v1, 16, v1
	v_cndmask_b32_e32 v0, v2, v0, vcc
	s_mov_b32 s16, 0x8000
	v_and_or_b32 v0, v1, s16, v0
	v_and_b32_e32 v2, 0xffff, v0
                                        ; implicit-def: $vgpr0_vgpr1
.LBB29_25:
	s_andn2_saveexec_b64 s[14:15], s[14:15]
	s_cbranch_execz .LBB29_27
; %bb.26:
	flat_load_dword v0, v[0:1]
	s_waitcnt vmcnt(0) lgkmcnt(0)
	v_cvt_f16_f32_e32 v2, v0
.LBB29_27:
	s_or_b64 exec, exec, s[14:15]
                                        ; implicit-def: $vgpr0_vgpr1
.LBB29_28:
	s_andn2_saveexec_b64 s[12:13], s[12:13]
	s_cbranch_execz .LBB29_30
; %bb.29:
	flat_load_ushort v0, v[0:1]
	s_waitcnt vmcnt(0) lgkmcnt(0)
	v_and_b32_e32 v2, 0xffff, v0
.LBB29_30:
	s_or_b64 exec, exec, s[12:13]
.LBB29_31:
	s_or_b64 exec, exec, s[10:11]
                                        ; implicit-def: $vgpr3
                                        ; implicit-def: $vgpr0_vgpr1
.LBB29_32:
	s_andn2_saveexec_b64 s[8:9], s[8:9]
	s_cbranch_execz .LBB29_50
; %bb.33:
	s_waitcnt vmcnt(0) lgkmcnt(0)
	v_mov_b32_e32 v2, 1
	v_cmp_gt_i16_sdwa s[10:11], v3, v2 src0_sel:BYTE_0 src1_sel:DWORD
                                        ; implicit-def: $vgpr2
	s_and_saveexec_b64 s[12:13], s[10:11]
	s_xor_b64 s[10:11], exec, s[12:13]
	s_cbranch_execz .LBB29_43
; %bb.34:
	v_mov_b32_e32 v2, 2
	v_cmp_gt_i16_sdwa s[12:13], v3, v2 src0_sel:BYTE_0 src1_sel:DWORD
                                        ; implicit-def: $vgpr2
	s_and_saveexec_b64 s[14:15], s[12:13]
	s_xor_b64 s[12:13], exec, s[14:15]
	s_cbranch_execz .LBB29_40
; %bb.35:
	;; [unrolled: 7-line block ×3, first 2 shown]
	flat_load_dwordx2 v[0:1], v[0:1]
	s_waitcnt vmcnt(0) lgkmcnt(0)
	v_xor_b32_e32 v3, v0, v1
	v_ffbh_i32_e32 v2, v1
	v_ashrrev_i32_e32 v3, 31, v3
	v_add_u32_e32 v2, -1, v2
	v_add_u32_e32 v3, 32, v3
	v_min_u32_e32 v2, v2, v3
	v_lshlrev_b64 v[0:1], v2, v[0:1]
	v_min_u32_e32 v0, 1, v0
	v_or_b32_e32 v0, v1, v0
	v_cvt_f32_i32_e32 v0, v0
	v_sub_u32_e32 v1, 32, v2
	v_ldexp_f32 v0, v0, v1
	v_cvt_f16_f32_e32 v2, v0
                                        ; implicit-def: $vgpr0_vgpr1
.LBB29_37:
	s_andn2_saveexec_b64 s[14:15], s[14:15]
	s_cbranch_execz .LBB29_39
; %bb.38:
	flat_load_dword v0, v[0:1]
	s_waitcnt vmcnt(0) lgkmcnt(0)
	v_cvt_f32_i32_e32 v0, v0
	v_cvt_f16_f32_e32 v2, v0
.LBB29_39:
	s_or_b64 exec, exec, s[14:15]
                                        ; implicit-def: $vgpr0_vgpr1
.LBB29_40:
	s_andn2_saveexec_b64 s[12:13], s[12:13]
	s_cbranch_execz .LBB29_42
; %bb.41:
	flat_load_ushort v0, v[0:1]
	s_waitcnt vmcnt(0) lgkmcnt(0)
	v_cvt_f16_i16_e32 v2, v0
.LBB29_42:
	s_or_b64 exec, exec, s[12:13]
                                        ; implicit-def: $vgpr0_vgpr1
                                        ; implicit-def: $vgpr3
.LBB29_43:
	s_andn2_saveexec_b64 s[10:11], s[10:11]
	s_cbranch_execz .LBB29_49
; %bb.44:
	v_mov_b32_e32 v2, 0
	v_cmp_gt_i16_sdwa s[12:13], v3, v2 src0_sel:BYTE_0 src1_sel:DWORD
                                        ; implicit-def: $vgpr2
	s_and_saveexec_b64 s[14:15], s[12:13]
	s_xor_b64 s[12:13], exec, s[14:15]
	s_cbranch_execz .LBB29_46
; %bb.45:
	flat_load_sbyte v0, v[0:1]
	s_waitcnt vmcnt(0) lgkmcnt(0)
	v_cvt_f16_i16_e32 v2, v0
                                        ; implicit-def: $vgpr0_vgpr1
.LBB29_46:
	s_andn2_saveexec_b64 s[12:13], s[12:13]
	s_cbranch_execz .LBB29_48
; %bb.47:
	flat_load_ubyte v0, v[0:1]
	s_waitcnt vmcnt(0) lgkmcnt(0)
	v_cvt_f16_u16_e32 v2, v0
.LBB29_48:
	s_or_b64 exec, exec, s[12:13]
.LBB29_49:
	s_or_b64 exec, exec, s[10:11]
.LBB29_50:
	s_or_b64 exec, exec, s[8:9]
	s_or_b64 s[6:7], s[6:7], exec
	s_or_b64 exec, exec, s[4:5]
                                        ; implicit-def: $vgpr0
	s_and_saveexec_b64 s[8:9], s[6:7]
	s_cbranch_execz .LBB29_3
.LBB29_51:
	s_waitcnt vmcnt(0) lgkmcnt(0)
	v_cvt_f32_f16_e32 v1, v2
	v_cvt_f32_f16_sdwa v0, v2 dst_sel:DWORD dst_unused:UNUSED_PAD src0_sel:WORD_1
	v_cmp_o_f16_sdwa s[4:5], v2, v2 src0_sel:WORD_1 src1_sel:DWORD
	s_and_saveexec_b64 s[6:7], s[4:5]
	s_xor_b64 s[10:11], exec, s[6:7]
	s_cbranch_execz .LBB29_135
; %bb.52:
	v_max_f32_e64 v5, |v0|, |v0|
	v_max_f32_e64 v3, |v1|, |v1|
	v_max_f32_e32 v6, v3, v5
	s_mov_b32 s4, 0x4b000000
	v_cmp_nlt_f32_e32 vcc, s4, v6
	s_and_saveexec_b64 s[4:5], vcc
	s_xor_b64 s[6:7], exec, s[4:5]
	s_cbranch_execz .LBB29_112
; %bb.53:
	v_mov_b32_e32 v3, 0
	v_cmp_neq_f16_sdwa s[4:5], v2, v3 src0_sel:WORD_1 src1_sel:DWORD
	v_cmp_neq_f16_e32 vcc, 0, v2
	s_or_b64 s[4:5], vcc, s[4:5]
	s_and_saveexec_b64 s[12:13], s[4:5]
	s_cbranch_execz .LBB29_111
; %bb.54:
	s_mov_b64 s[4:5], src_private_base
	s_lshr_b32 s4, s32, 6
	v_mov_b32_e32 v2, s4
	v_mov_b32_e32 v4, 0xd800000
	;; [unrolled: 1-line block ×3, first 2 shown]
	flat_store_dword v[2:3], v4
	s_waitcnt vmcnt(0)
	flat_load_dword v2, v[2:3] glc
	s_waitcnt vmcnt(0)
	s_lshr_b32 s4, s32, 6
	s_add_i32 s4, s4, 4
	s_mov_b32 s14, 0x395db3d7
	s_waitcnt lgkmcnt(0)
	v_add_f32_e32 v4, 1.0, v2
	v_mov_b32_e32 v2, s4
	v_mov_b32_e32 v3, s5
	flat_store_dword v[2:3], v4
	s_waitcnt vmcnt(0)
	flat_load_dword v2, v[2:3] glc
	s_waitcnt vmcnt(0)
	v_cmp_nlt_f32_e64 s[4:5], |v0|, s14
	v_cmp_nlt_f32_e64 s[14:15], |v1|, s14
	s_or_b64 s[4:5], s[14:15], s[4:5]
	s_and_saveexec_b64 s[14:15], s[4:5]
	s_cbranch_execz .LBB29_110
; %bb.55:
	v_add_f32_e64 v4, |v1|, 1.0
	s_waitcnt lgkmcnt(0)
	v_max_f32_e32 v2, v5, v4
	v_add_f32_e64 v3, |v1|, -1.0
	v_cvt_f64_f32_e32 v[6:7], v2
	v_max_f32_e64 v5, v5, |v3|
	v_cvt_f64_f32_e32 v[8:9], v5
	s_mov_b32 s18, 0x7f800000
	v_frexp_exp_i32_f64_e32 v6, v[6:7]
	v_cmp_neq_f32_e32 vcc, s18, v2
	v_frexp_exp_i32_f64_e32 v8, v[8:9]
	v_mov_b32_e32 v9, 0x7f800000
	s_mov_b32 s4, 0x41200000
	v_sub_u32_e32 v7, 0, v6
	v_ldexp_f32 v11, |v0|, v7
	v_sub_u32_e32 v10, 0, v8
	v_ldexp_f32 v7, v4, v7
	v_ldexp_f32 v12, |v0|, v10
	v_ldexp_f32 v10, |v3|, v10
	v_mul_f32_e32 v7, v7, v7
	v_fmac_f32_e32 v7, v11, v11
	v_mul_f32_e32 v10, v10, v10
	v_sqrt_f32_e32 v7, v7
	v_fmac_f32_e32 v10, v12, v12
	v_sqrt_f32_e32 v10, v10
	v_ldexp_f32 v6, v7, v6
	v_cndmask_b32_e32 v7, v9, v6, vcc
	v_ldexp_f32 v2, v10, v8
	v_cmp_neq_f32_e32 vcc, s18, v5
	v_cndmask_b32_e32 v5, v9, v2, vcc
	v_add_f32_e32 v2, v7, v5
	v_mul_f32_e32 v2, 0.5, v2
	v_cmp_ngt_f32_e32 vcc, 1.0, v2
	v_cndmask_b32_e32 v2, 1.0, v2, vcc
	v_cmp_ngt_f32_e32 vcc, s4, v2
                                        ; implicit-def: $vgpr8
	s_and_saveexec_b64 s[4:5], vcc
	s_xor_b64 s[16:17], exec, s[4:5]
	s_cbranch_execz .LBB29_57
; %bb.56:
	v_fma_f32 v6, v2, v2, -1.0
	s_mov_b32 s4, 0xf800000
	v_mul_f32_e32 v8, 0x4f800000, v6
	v_cmp_gt_f32_e32 vcc, s4, v6
	v_cndmask_b32_e32 v6, v6, v8, vcc
	v_sqrt_f32_e32 v8, v6
	v_add_u32_e32 v9, -1, v8
	v_fma_f32 v10, -v9, v8, v6
	v_cmp_ge_f32_e64 s[4:5], 0, v10
	v_add_u32_e32 v10, 1, v8
	v_cndmask_b32_e64 v9, v8, v9, s[4:5]
	v_fma_f32 v8, -v10, v8, v6
	v_cmp_lt_f32_e64 s[4:5], 0, v8
	v_cndmask_b32_e64 v8, v9, v10, s[4:5]
	v_mul_f32_e32 v9, 0x37800000, v8
	v_cndmask_b32_e32 v8, v8, v9, vcc
	v_mov_b32_e32 v9, 0x260
	v_cmp_class_f32_e32 vcc, v6, v9
	v_cndmask_b32_e32 v6, v8, v6, vcc
	v_add_f32_e32 v6, v2, v6
	s_mov_b32 s4, 0x800000
	v_cmp_gt_f32_e32 vcc, s4, v6
	v_cndmask_b32_e64 v8, 0, 32, vcc
	v_ldexp_f32 v6, v6, v8
	v_log_f32_e32 v6, v6
	s_mov_b32 s4, 0x3f317217
	v_mul_f32_e32 v8, 0x3f317217, v6
	v_fma_f32 v8, v6, s4, -v8
	v_fmac_f32_e32 v8, 0x3377d1cf, v6
	v_fmac_f32_e32 v8, 0x3f317217, v6
	v_cmp_lt_f32_e64 s[4:5], |v6|, s18
	v_cndmask_b32_e64 v6, v6, v8, s[4:5]
	v_mov_b32_e32 v8, 0x41b17218
	v_cndmask_b32_e32 v8, 0, v8, vcc
	v_sub_f32_e32 v8, v6, v8
.LBB29_57:
	s_or_saveexec_b64 s[16:17], s[16:17]
	v_and_b32_e32 v6, 0x7fffffff, v0
	s_xor_b64 exec, exec, s[16:17]
	s_cbranch_execz .LBB29_79
; %bb.58:
	s_mov_b32 s18, 0x25000000
	v_cmp_neq_f32_e64 s[4:5], |v1|, 1.0
	v_cmp_nlt_f32_e64 s[18:19], |v0|, s18
	s_or_b64 s[4:5], s[4:5], s[18:19]
                                        ; implicit-def: $vgpr8
	s_and_saveexec_b64 s[18:19], s[4:5]
	s_xor_b64 s[18:19], exec, s[18:19]
	s_cbranch_execz .LBB29_76
; %bb.59:
	s_brev_b32 s4, 44
	v_mul_f32_e64 v8, |v3|, s4
	v_cmp_ge_f32_e64 s[4:5], |v0|, v8
                                        ; implicit-def: $vgpr8
	s_and_saveexec_b64 s[20:21], s[4:5]
	s_xor_b64 s[20:21], exec, s[20:21]
	s_cbranch_execz .LBB29_69
; %bb.60:
	v_cmp_neq_f32_e32 vcc, 0, v4
	v_mov_b32_e32 v8, v6
	s_and_saveexec_b64 s[4:5], vcc
	s_cbranch_execz .LBB29_62
; %bb.61:
	v_mul_f32_e32 v8, v0, v0
	v_add_f32_e32 v9, v4, v7
	v_div_scale_f32 v10, s[22:23], v9, v9, v8
	v_div_scale_f32 v11, vcc, v8, v9, v8
	v_rcp_f32_e32 v12, v10
	v_fma_f32 v13, -v10, v12, 1.0
	v_fmac_f32_e32 v12, v13, v12
	v_mul_f32_e32 v13, v11, v12
	v_fma_f32 v14, -v10, v13, v11
	v_fmac_f32_e32 v13, v14, v12
	v_fma_f32 v10, -v10, v13, v11
	v_div_fmas_f32 v10, v10, v12, v13
	v_div_fixup_f32 v8, v10, v9, v8
.LBB29_62:
	s_or_b64 exec, exec, s[4:5]
	v_sub_f32_e64 v10, 1.0, |v1|
	v_cmp_ngt_f32_e32 vcc, 0, v10
                                        ; implicit-def: $vgpr9
	s_and_saveexec_b64 s[4:5], vcc
	s_xor_b64 s[4:5], exec, s[4:5]
	s_cbranch_execz .LBB29_66
; %bb.63:
	v_cmp_neq_f32_e32 vcc, 0, v10
	v_mov_b32_e32 v9, v6
	s_and_saveexec_b64 s[22:23], vcc
	s_cbranch_execz .LBB29_65
; %bb.64:
	v_mul_f32_e32 v9, v0, v0
	v_add_f32_e32 v10, v10, v5
	v_div_scale_f32 v11, s[24:25], v10, v10, v9
	v_div_scale_f32 v12, vcc, v9, v10, v9
	v_rcp_f32_e32 v13, v11
	v_fma_f32 v14, -v11, v13, 1.0
	v_fmac_f32_e32 v13, v14, v13
	v_mul_f32_e32 v14, v12, v13
	v_fma_f32 v15, -v11, v14, v12
	v_fmac_f32_e32 v14, v15, v13
	v_fma_f32 v11, -v11, v14, v12
	v_div_fmas_f32 v11, v11, v13, v14
	v_div_fixup_f32 v9, v11, v10, v9
.LBB29_65:
	s_or_b64 exec, exec, s[22:23]
                                        ; implicit-def: $vgpr10
.LBB29_66:
	s_andn2_saveexec_b64 s[4:5], s[4:5]
; %bb.67:
	v_sub_f32_e32 v9, v5, v10
; %bb.68:
	s_or_b64 exec, exec, s[4:5]
	v_mul_f32_e32 v9, 0.5, v9
	v_fmac_f32_e32 v9, 0.5, v8
	v_add_f32_e32 v8, 1.0, v2
	v_mul_f32_e32 v8, v8, v9
	s_mov_b32 s4, 0xf800000
	v_mul_f32_e32 v10, 0x4f800000, v8
	v_cmp_gt_f32_e32 vcc, s4, v8
	v_cndmask_b32_e32 v8, v8, v10, vcc
	v_sqrt_f32_e32 v10, v8
	v_add_u32_e32 v11, -1, v10
	v_fma_f32 v12, -v11, v10, v8
	v_cmp_ge_f32_e64 s[4:5], 0, v12
	v_add_u32_e32 v12, 1, v10
	v_cndmask_b32_e64 v11, v10, v11, s[4:5]
	v_fma_f32 v10, -v12, v10, v8
	v_cmp_lt_f32_e64 s[4:5], 0, v10
	v_cndmask_b32_e64 v10, v11, v12, s[4:5]
	v_mul_f32_e32 v11, 0x37800000, v10
	v_cndmask_b32_e32 v10, v10, v11, vcc
	v_mov_b32_e32 v11, 0x260
	v_cmp_class_f32_e32 vcc, v8, v11
	v_cndmask_b32_e32 v8, v10, v8, vcc
	v_add_f32_e32 v8, v9, v8
	v_add_f32_e32 v11, 1.0, v8
	v_cvt_f64_f32_e32 v[9:10], v11
	v_add_f32_e32 v12, -1.0, v11
	v_sub_f32_e32 v13, v12, v11
	v_sub_f32_e32 v12, v8, v12
	v_frexp_exp_i32_f64_e32 v9, v[9:10]
	v_add_f32_e32 v10, 1.0, v13
	v_add_f32_e32 v10, v12, v10
	v_frexp_mant_f32_e32 v12, v11
	s_mov_b32 s4, 0x3f2aaaab
	v_cmp_gt_f32_e32 vcc, s4, v12
	s_mov_b32 s4, 0x3f317218
	v_subbrev_co_u32_e32 v9, vcc, 0, v9, vcc
	v_sub_u32_e32 v12, 0, v9
	v_ldexp_f32 v11, v11, v12
	v_ldexp_f32 v10, v10, v12
	v_add_f32_e32 v12, -1.0, v11
	v_add_f32_e32 v15, 1.0, v11
	v_add_f32_e32 v13, 1.0, v12
	v_add_f32_e32 v16, -1.0, v15
	v_sub_f32_e32 v13, v11, v13
	v_sub_f32_e32 v11, v11, v16
	v_add_f32_e32 v13, v10, v13
	v_add_f32_e32 v10, v10, v11
	;; [unrolled: 1-line block ×3, first 2 shown]
	v_rcp_f32_e32 v16, v11
	v_add_f32_e32 v14, v12, v13
	v_sub_f32_e32 v12, v14, v12
	v_sub_f32_e32 v12, v13, v12
	;; [unrolled: 1-line block ×4, first 2 shown]
	v_mul_f32_e32 v13, v14, v16
	v_mul_f32_e32 v15, v11, v13
	v_fma_f32 v17, v13, v11, -v15
	v_fmac_f32_e32 v17, v13, v10
	v_add_f32_e32 v18, v15, v17
	v_sub_f32_e32 v19, v14, v18
	v_sub_f32_e32 v14, v14, v19
	;; [unrolled: 1-line block ×4, first 2 shown]
	v_add_f32_e32 v12, v12, v14
	v_sub_f32_e32 v14, v15, v17
	v_add_f32_e32 v12, v14, v12
	v_add_f32_e32 v14, v19, v12
	v_mul_f32_e32 v15, v16, v14
	v_mul_f32_e32 v17, v11, v15
	v_fma_f32 v11, v15, v11, -v17
	v_fmac_f32_e32 v11, v15, v10
	v_sub_f32_e32 v10, v19, v14
	v_add_f32_e32 v10, v12, v10
	v_add_f32_e32 v12, v17, v11
	v_sub_f32_e32 v18, v14, v12
	v_sub_f32_e32 v14, v14, v18
	;; [unrolled: 1-line block ×4, first 2 shown]
	v_add_f32_e32 v10, v10, v12
	v_sub_f32_e32 v11, v17, v11
	v_add_f32_e32 v10, v11, v10
	v_add_f32_e32 v11, v13, v15
	;; [unrolled: 1-line block ×3, first 2 shown]
	v_sub_f32_e32 v12, v11, v13
	v_mul_f32_e32 v10, v16, v10
	v_sub_f32_e32 v12, v15, v12
	v_add_f32_e32 v10, v12, v10
	v_cvt_f32_i32_e32 v9, v9
	v_add_f32_e32 v12, v11, v10
	v_mul_f32_e32 v13, v12, v12
	v_mov_b32_e32 v14, 0x3ecc95a3
	v_fmac_f32_e32 v14, 0x3e9b6dac, v13
	v_mov_b32_e32 v15, 0x3f2aaada
	v_fmac_f32_e32 v15, v13, v14
	v_mul_f32_e32 v14, 0x3f317218, v9
	v_fma_f32 v16, v9, s4, -v14
	v_fmac_f32_e32 v16, 0xb102e308, v9
	v_sub_f32_e32 v9, v12, v11
	v_sub_f32_e32 v9, v10, v9
	v_add_f32_e32 v10, v14, v16
	v_sub_f32_e32 v11, v10, v14
	v_ldexp_f32 v14, v12, 1
	v_mul_f32_e32 v12, v12, v13
	v_mul_f32_e32 v12, v12, v15
	v_add_f32_e32 v13, v14, v12
	v_sub_f32_e32 v14, v13, v14
	v_ldexp_f32 v9, v9, 1
	v_sub_f32_e32 v12, v12, v14
	v_add_f32_e32 v9, v9, v12
	v_add_f32_e32 v12, v13, v9
	v_sub_f32_e32 v13, v12, v13
	v_sub_f32_e32 v9, v9, v13
	v_add_f32_e32 v13, v10, v12
	v_sub_f32_e32 v14, v13, v10
	v_sub_f32_e32 v15, v13, v14
	;; [unrolled: 1-line block ×5, first 2 shown]
	v_add_f32_e32 v10, v12, v10
	v_add_f32_e32 v12, v11, v9
	v_sub_f32_e32 v14, v12, v11
	v_sub_f32_e32 v15, v12, v14
	;; [unrolled: 1-line block ×4, first 2 shown]
	v_add_f32_e32 v10, v12, v10
	v_add_f32_e32 v9, v9, v11
	;; [unrolled: 1-line block ×3, first 2 shown]
	v_sub_f32_e32 v12, v11, v13
	v_sub_f32_e32 v10, v10, v12
	v_add_f32_e32 v9, v9, v10
	s_mov_b32 s4, 0x7f800000
	v_add_f32_e32 v9, v11, v9
	v_mov_b32_e32 v10, 0x7f800000
	v_cmp_neq_f32_e32 vcc, s4, v8
	v_cndmask_b32_e32 v9, v10, v9, vcc
	v_mov_b32_e32 v10, 0x7fc00000
	v_cmp_ngt_f32_e32 vcc, -1.0, v8
	v_cndmask_b32_e32 v9, v10, v9, vcc
	v_mov_b32_e32 v10, 0xff800000
	v_cmp_neq_f32_e32 vcc, -1.0, v8
	s_mov_b32 s4, 0x33800000
	v_cndmask_b32_e32 v9, v10, v9, vcc
	v_cmp_lt_f32_e64 vcc, |v8|, s4
	v_cndmask_b32_e32 v8, v9, v8, vcc
.LBB29_69:
	s_andn2_saveexec_b64 s[20:21], s[20:21]
	s_cbranch_execz .LBB29_75
; %bb.70:
	v_cmp_nlt_f32_e64 s[4:5], |v1|, 1.0
                                        ; implicit-def: $vgpr8
	s_and_saveexec_b64 s[22:23], s[4:5]
	s_xor_b64 s[22:23], exec, s[22:23]
	s_cbranch_execz .LBB29_72
; %bb.71:
	v_mul_f32_e32 v8, v3, v4
	s_mov_b32 s4, 0xf800000
	v_mul_f32_e32 v9, 0x4f800000, v8
	v_cmp_gt_f32_e32 vcc, s4, v8
	v_cndmask_b32_e32 v8, v8, v9, vcc
	v_sqrt_f32_e32 v9, v8
	v_add_u32_e32 v10, -1, v9
	v_fma_f32 v11, -v10, v9, v8
	v_cmp_ge_f32_e64 s[4:5], 0, v11
	v_add_u32_e32 v11, 1, v9
	v_cndmask_b32_e64 v10, v9, v10, s[4:5]
	v_fma_f32 v9, -v11, v9, v8
	v_cmp_lt_f32_e64 s[4:5], 0, v9
	v_cndmask_b32_e64 v9, v10, v11, s[4:5]
	v_mul_f32_e32 v10, 0x37800000, v9
	v_cndmask_b32_e32 v9, v9, v10, vcc
	v_mov_b32_e32 v10, 0x260
	v_cmp_class_f32_e32 vcc, v8, v10
	v_cndmask_b32_e32 v8, v9, v8, vcc
	v_add_f32_e32 v8, v3, v8
	v_add_f32_e32 v11, 1.0, v8
	v_cvt_f64_f32_e32 v[9:10], v11
	v_add_f32_e32 v12, -1.0, v11
	v_sub_f32_e32 v13, v12, v11
	v_sub_f32_e32 v12, v8, v12
	v_frexp_exp_i32_f64_e32 v9, v[9:10]
	v_add_f32_e32 v10, 1.0, v13
	v_add_f32_e32 v10, v12, v10
	v_frexp_mant_f32_e32 v12, v11
	s_mov_b32 s4, 0x3f2aaaab
	v_cmp_gt_f32_e32 vcc, s4, v12
	s_mov_b32 s4, 0x3f317218
	v_subbrev_co_u32_e32 v9, vcc, 0, v9, vcc
	v_sub_u32_e32 v12, 0, v9
	v_ldexp_f32 v11, v11, v12
	v_ldexp_f32 v10, v10, v12
	v_add_f32_e32 v12, -1.0, v11
	v_add_f32_e32 v15, 1.0, v11
	v_add_f32_e32 v13, 1.0, v12
	v_add_f32_e32 v16, -1.0, v15
	v_sub_f32_e32 v13, v11, v13
	v_sub_f32_e32 v11, v11, v16
	v_add_f32_e32 v13, v10, v13
	v_add_f32_e32 v10, v10, v11
	;; [unrolled: 1-line block ×3, first 2 shown]
	v_rcp_f32_e32 v16, v11
	v_add_f32_e32 v14, v12, v13
	v_sub_f32_e32 v12, v14, v12
	v_sub_f32_e32 v12, v13, v12
	;; [unrolled: 1-line block ×4, first 2 shown]
	v_mul_f32_e32 v13, v14, v16
	v_mul_f32_e32 v15, v11, v13
	v_fma_f32 v17, v13, v11, -v15
	v_fmac_f32_e32 v17, v13, v10
	v_add_f32_e32 v18, v15, v17
	v_sub_f32_e32 v19, v14, v18
	v_sub_f32_e32 v14, v14, v19
	;; [unrolled: 1-line block ×4, first 2 shown]
	v_add_f32_e32 v12, v12, v14
	v_sub_f32_e32 v14, v15, v17
	v_add_f32_e32 v12, v14, v12
	v_add_f32_e32 v14, v19, v12
	v_mul_f32_e32 v15, v16, v14
	v_mul_f32_e32 v17, v11, v15
	v_fma_f32 v11, v15, v11, -v17
	v_fmac_f32_e32 v11, v15, v10
	v_sub_f32_e32 v10, v19, v14
	v_add_f32_e32 v10, v12, v10
	v_add_f32_e32 v12, v17, v11
	v_sub_f32_e32 v18, v14, v12
	v_sub_f32_e32 v14, v14, v18
	;; [unrolled: 1-line block ×4, first 2 shown]
	v_add_f32_e32 v10, v10, v12
	v_sub_f32_e32 v11, v17, v11
	v_add_f32_e32 v10, v11, v10
	v_add_f32_e32 v11, v13, v15
	;; [unrolled: 1-line block ×3, first 2 shown]
	v_sub_f32_e32 v12, v11, v13
	v_mul_f32_e32 v10, v16, v10
	v_sub_f32_e32 v12, v15, v12
	v_add_f32_e32 v10, v12, v10
	v_cvt_f32_i32_e32 v9, v9
	v_add_f32_e32 v12, v11, v10
	v_mul_f32_e32 v13, v12, v12
	v_mov_b32_e32 v14, 0x3ecc95a3
	v_fmac_f32_e32 v14, 0x3e9b6dac, v13
	v_mov_b32_e32 v15, 0x3f2aaada
	v_fmac_f32_e32 v15, v13, v14
	v_mul_f32_e32 v14, 0x3f317218, v9
	v_fma_f32 v16, v9, s4, -v14
	v_fmac_f32_e32 v16, 0xb102e308, v9
	v_sub_f32_e32 v9, v12, v11
	v_sub_f32_e32 v9, v10, v9
	v_add_f32_e32 v10, v14, v16
	v_sub_f32_e32 v11, v10, v14
	v_ldexp_f32 v14, v12, 1
	v_mul_f32_e32 v12, v12, v13
	v_mul_f32_e32 v12, v12, v15
	v_add_f32_e32 v13, v14, v12
	v_sub_f32_e32 v14, v13, v14
	v_ldexp_f32 v9, v9, 1
	v_sub_f32_e32 v12, v12, v14
	v_add_f32_e32 v9, v9, v12
	v_add_f32_e32 v12, v13, v9
	v_sub_f32_e32 v13, v12, v13
	v_sub_f32_e32 v9, v9, v13
	v_add_f32_e32 v13, v10, v12
	v_sub_f32_e32 v14, v13, v10
	v_sub_f32_e32 v15, v13, v14
	v_sub_f32_e32 v11, v16, v11
	v_sub_f32_e32 v10, v10, v15
	v_sub_f32_e32 v12, v12, v14
	v_add_f32_e32 v10, v12, v10
	v_add_f32_e32 v12, v11, v9
	v_sub_f32_e32 v14, v12, v11
	v_sub_f32_e32 v15, v12, v14
	;; [unrolled: 1-line block ×4, first 2 shown]
	v_add_f32_e32 v10, v12, v10
	v_add_f32_e32 v9, v9, v11
	;; [unrolled: 1-line block ×3, first 2 shown]
	v_sub_f32_e32 v12, v11, v13
	v_sub_f32_e32 v10, v10, v12
	v_add_f32_e32 v9, v9, v10
	s_mov_b32 s4, 0x7f800000
	v_add_f32_e32 v9, v11, v9
	v_mov_b32_e32 v10, 0x7f800000
	v_cmp_neq_f32_e32 vcc, s4, v8
	v_cndmask_b32_e32 v9, v10, v9, vcc
	v_mov_b32_e32 v10, 0x7fc00000
	v_cmp_ngt_f32_e32 vcc, -1.0, v8
	v_cndmask_b32_e32 v9, v10, v9, vcc
	v_mov_b32_e32 v10, 0xff800000
	v_cmp_neq_f32_e32 vcc, -1.0, v8
	s_mov_b32 s4, 0x33800000
	v_cndmask_b32_e32 v9, v10, v9, vcc
	v_cmp_lt_f32_e64 vcc, |v8|, s4
	v_cndmask_b32_e32 v8, v9, v8, vcc
.LBB29_72:
	s_andn2_saveexec_b64 s[22:23], s[22:23]
	s_cbranch_execz .LBB29_74
; %bb.73:
	v_sub_f32_e64 v8, 1.0, |v1|
	v_mul_f32_e32 v8, v8, v4
	s_mov_b32 s4, 0xf800000
	v_mul_f32_e32 v9, 0x4f800000, v8
	v_cmp_gt_f32_e32 vcc, s4, v8
	v_cndmask_b32_e32 v8, v8, v9, vcc
	v_sqrt_f32_e32 v9, v8
	v_add_u32_e32 v10, -1, v9
	v_fma_f32 v11, -v10, v9, v8
	v_cmp_ge_f32_e64 s[4:5], 0, v11
	v_add_u32_e32 v11, 1, v9
	v_cndmask_b32_e64 v10, v9, v10, s[4:5]
	v_fma_f32 v9, -v11, v9, v8
	v_cmp_lt_f32_e64 s[4:5], 0, v9
	v_cndmask_b32_e64 v9, v10, v11, s[4:5]
	v_mul_f32_e32 v10, 0x37800000, v9
	v_cndmask_b32_e32 v9, v9, v10, vcc
	v_mov_b32_e32 v10, 0x260
	v_cmp_class_f32_e32 vcc, v8, v10
	v_cndmask_b32_e32 v8, v9, v8, vcc
	v_and_b32_e32 v9, 0x7fffffff, v0
	v_div_scale_f32 v10, s[4:5], v8, v8, v9
	v_div_scale_f32 v9, vcc, v9, v8, v9
	v_rcp_f32_e32 v11, v10
	v_fma_f32 v12, -v10, v11, 1.0
	v_fmac_f32_e32 v11, v12, v11
	v_mul_f32_e32 v12, v9, v11
	v_fma_f32 v13, -v10, v12, v9
	v_fmac_f32_e32 v12, v13, v11
	v_fma_f32 v9, -v10, v12, v9
	v_div_fmas_f32 v9, v9, v11, v12
	v_div_fixup_f32 v8, v9, v8, |v0|
.LBB29_74:
	s_or_b64 exec, exec, s[22:23]
.LBB29_75:
	s_or_b64 exec, exec, s[20:21]
.LBB29_76:
	s_andn2_saveexec_b64 s[18:19], s[18:19]
	s_cbranch_execz .LBB29_78
; %bb.77:
	s_mov_b32 s4, 0xf800000
	s_mov_b32 s5, 0x4f800000
	v_mul_f32_e64 v8, |v0|, s5
	v_cmp_lt_f32_e64 vcc, |v0|, s4
	v_cndmask_b32_e64 v8, |v0|, v8, vcc
	v_sqrt_f32_e32 v9, v8
	v_add_u32_e32 v10, -1, v9
	v_fma_f32 v11, -v10, v9, v8
	v_cmp_ge_f32_e64 s[4:5], 0, v11
	v_add_u32_e32 v11, 1, v9
	v_cndmask_b32_e64 v10, v9, v10, s[4:5]
	v_fma_f32 v9, -v11, v9, v8
	v_cmp_lt_f32_e64 s[4:5], 0, v9
	v_cndmask_b32_e64 v9, v10, v11, s[4:5]
	v_mul_f32_e32 v10, 0x37800000, v9
	v_cndmask_b32_e32 v9, v9, v10, vcc
	v_mov_b32_e32 v10, 0x260
	v_cmp_class_f32_e32 vcc, v8, v10
	v_cndmask_b32_e32 v8, v9, v8, vcc
.LBB29_78:
	s_or_b64 exec, exec, s[18:19]
.LBB29_79:
	s_or_b64 exec, exec, s[16:17]
	s_mov_b32 s4, 0x21000000
	v_cmp_nlt_f32_e64 s[16:17], |v1|, s4
                                        ; implicit-def: $sgpr4_sgpr5
                                        ; implicit-def: $vgpr9
                                        ; implicit-def: $vgpr11
                                        ; implicit-def: $vgpr10
	s_and_saveexec_b64 s[18:19], s[16:17]
	s_xor_b64 s[16:17], exec, s[18:19]
	s_cbranch_execz .LBB29_103
; %bb.80:
	v_and_b32_e32 v10, 0x7fffffff, v1
	v_div_scale_f32 v9, s[4:5], v2, v2, v10
	v_div_scale_f32 v11, vcc, v10, v2, v10
	s_mov_b32 s4, 0x3f244674
	v_rcp_f32_e32 v12, v9
	v_fma_f32 v13, -v9, v12, 1.0
	v_fmac_f32_e32 v12, v13, v12
	v_mul_f32_e32 v13, v11, v12
	v_fma_f32 v14, -v9, v13, v11
	v_fmac_f32_e32 v13, v14, v12
	v_fma_f32 v9, -v9, v13, v11
	v_div_fmas_f32 v9, v9, v12, v13
                                        ; implicit-def: $vgpr11
	v_div_fixup_f32 v9, v9, v2, |v1|
	v_cmp_lt_f32_e32 vcc, s4, v9
	s_mov_b64 s[4:5], 0
	s_and_saveexec_b64 s[18:19], vcc
	s_cbranch_execz .LBB29_102
; %bb.81:
	s_mov_b32 s20, 0x30800000
	v_cmp_neq_f32_e64 s[4:5], |v1|, 1.0
	v_cmp_nlt_f32_e64 s[20:21], |v0|, s20
	s_or_b64 s[4:5], s[4:5], s[20:21]
                                        ; implicit-def: $vgpr11
	s_and_saveexec_b64 s[20:21], s[4:5]
	s_xor_b64 s[20:21], exec, s[20:21]
	s_cbranch_execz .LBB29_99
; %bb.82:
	s_brev_b32 s4, 44
	v_mul_f32_e64 v11, |v3|, s4
	v_cmp_ge_f32_e64 s[4:5], |v0|, v11
                                        ; implicit-def: $vgpr11
	s_and_saveexec_b64 s[22:23], s[4:5]
	s_xor_b64 s[22:23], exec, s[22:23]
	s_cbranch_execz .LBB29_92
; %bb.83:
	v_cmp_neq_f32_e32 vcc, 0, v4
	v_mov_b32_e32 v11, v6
	s_and_saveexec_b64 s[4:5], vcc
	s_cbranch_execz .LBB29_85
; %bb.84:
	v_mul_f32_e32 v11, v0, v0
	v_add_f32_e32 v4, v4, v7
	v_div_scale_f32 v7, s[24:25], v4, v4, v11
	v_div_scale_f32 v12, vcc, v11, v4, v11
	v_rcp_f32_e32 v13, v7
	v_fma_f32 v14, -v7, v13, 1.0
	v_fmac_f32_e32 v13, v14, v13
	v_mul_f32_e32 v14, v12, v13
	v_fma_f32 v15, -v7, v14, v12
	v_fmac_f32_e32 v14, v15, v13
	v_fma_f32 v7, -v7, v14, v12
	v_div_fmas_f32 v7, v7, v13, v14
	v_div_fixup_f32 v11, v7, v4, v11
.LBB29_85:
	s_or_b64 exec, exec, s[4:5]
	v_cmp_ngt_f32_e32 vcc, 0, v3
	s_and_saveexec_b64 s[4:5], vcc
	s_xor_b64 s[4:5], exec, s[4:5]
	s_cbranch_execz .LBB29_89
; %bb.86:
	v_cmp_neq_f32_e32 vcc, 0, v3
	s_and_saveexec_b64 s[24:25], vcc
	s_cbranch_execz .LBB29_88
; %bb.87:
	v_mul_f32_e32 v4, v0, v0
	v_add_f32_e32 v3, v3, v5
	v_div_scale_f32 v5, s[26:27], v3, v3, v4
	v_div_scale_f32 v6, vcc, v4, v3, v4
	v_rcp_f32_e32 v7, v5
	v_fma_f32 v12, -v5, v7, 1.0
	v_fmac_f32_e32 v7, v12, v7
	v_mul_f32_e32 v12, v6, v7
	v_fma_f32 v13, -v5, v12, v6
	v_fmac_f32_e32 v12, v13, v7
	v_fma_f32 v5, -v5, v12, v6
	v_div_fmas_f32 v5, v5, v7, v12
	v_div_fixup_f32 v6, v5, v3, v4
.LBB29_88:
	s_or_b64 exec, exec, s[24:25]
                                        ; implicit-def: $vgpr5
                                        ; implicit-def: $vgpr3
.LBB29_89:
	s_andn2_saveexec_b64 s[4:5], s[4:5]
; %bb.90:
	v_sub_f32_e32 v6, v5, v3
; %bb.91:
	s_or_b64 exec, exec, s[4:5]
	v_mul_f32_e32 v3, 0.5, v6
	v_fmac_f32_e32 v3, 0.5, v11
	v_add_f32_e64 v2, |v1|, v2
	v_mul_f32_e32 v2, v2, v3
	s_mov_b32 s4, 0xf800000
	v_mul_f32_e32 v3, 0x4f800000, v2
	v_cmp_gt_f32_e32 vcc, s4, v2
	v_cndmask_b32_e32 v2, v2, v3, vcc
	v_sqrt_f32_e32 v3, v2
	v_add_u32_e32 v4, -1, v3
	v_fma_f32 v5, -v4, v3, v2
	v_cmp_ge_f32_e64 s[4:5], 0, v5
	v_add_u32_e32 v5, 1, v3
	v_cndmask_b32_e64 v4, v3, v4, s[4:5]
	v_fma_f32 v3, -v5, v3, v2
	v_cmp_lt_f32_e64 s[4:5], 0, v3
	v_cndmask_b32_e64 v3, v4, v5, s[4:5]
	v_mul_f32_e32 v4, 0x37800000, v3
	v_cndmask_b32_e32 v3, v3, v4, vcc
	v_mov_b32_e32 v4, 0x260
	v_cmp_class_f32_e32 vcc, v2, v4
	v_cndmask_b32_e32 v11, v3, v2, vcc
                                        ; implicit-def: $vgpr4
                                        ; implicit-def: $vgpr3
.LBB29_92:
	s_andn2_saveexec_b64 s[22:23], s[22:23]
	s_cbranch_execz .LBB29_98
; %bb.93:
	v_cmp_ngt_f32_e64 s[4:5], |v1|, 1.0
                                        ; implicit-def: $vgpr11
	s_and_saveexec_b64 s[24:25], s[4:5]
	s_xor_b64 s[24:25], exec, s[24:25]
	s_cbranch_execz .LBB29_95
; %bb.94:
	v_sub_f32_e64 v2, 1.0, |v1|
	v_mul_f32_e32 v2, v2, v4
	s_mov_b32 s4, 0xf800000
	v_mul_f32_e32 v3, 0x4f800000, v2
	v_cmp_gt_f32_e32 vcc, s4, v2
	v_cndmask_b32_e32 v2, v2, v3, vcc
	v_sqrt_f32_e32 v3, v2
	v_add_u32_e32 v4, -1, v3
	v_fma_f32 v5, -v4, v3, v2
	v_cmp_ge_f32_e64 s[4:5], 0, v5
	v_add_u32_e32 v5, 1, v3
	v_cndmask_b32_e64 v4, v3, v4, s[4:5]
	v_fma_f32 v3, -v5, v3, v2
	v_cmp_lt_f32_e64 s[4:5], 0, v3
	v_cndmask_b32_e64 v3, v4, v5, s[4:5]
	v_mul_f32_e32 v4, 0x37800000, v3
	v_cndmask_b32_e32 v3, v3, v4, vcc
	v_mov_b32_e32 v4, 0x260
	v_cmp_class_f32_e32 vcc, v2, v4
	v_cndmask_b32_e32 v11, v3, v2, vcc
                                        ; implicit-def: $vgpr4
                                        ; implicit-def: $vgpr3
.LBB29_95:
	s_andn2_saveexec_b64 s[24:25], s[24:25]
	s_cbranch_execz .LBB29_97
; %bb.96:
	v_mul_f32_e32 v2, v4, v3
	s_mov_b32 s4, 0xf800000
	v_mul_f32_e32 v3, 0x4f800000, v2
	v_cmp_gt_f32_e32 vcc, s4, v2
	v_cndmask_b32_e32 v2, v2, v3, vcc
	v_sqrt_f32_e32 v3, v2
	s_mov_b32 s26, 0x57800000
	v_mul_f32_e64 v4, |v0|, s26
	v_mul_f32_e64 v4, |v1|, v4
	v_add_u32_e32 v5, -1, v3
	v_fma_f32 v6, -v5, v3, v2
	v_cmp_ge_f32_e64 s[4:5], 0, v6
	v_add_u32_e32 v6, 1, v3
	v_cndmask_b32_e64 v5, v3, v5, s[4:5]
	v_fma_f32 v3, -v6, v3, v2
	v_cmp_lt_f32_e64 s[4:5], 0, v3
	v_cndmask_b32_e64 v3, v5, v6, s[4:5]
	v_mul_f32_e32 v5, 0x37800000, v3
	v_cndmask_b32_e32 v3, v3, v5, vcc
	v_mov_b32_e32 v5, 0x260
	v_cmp_class_f32_e32 vcc, v2, v5
	v_cndmask_b32_e32 v2, v3, v2, vcc
	v_div_scale_f32 v3, s[4:5], v2, v2, v4
	v_div_scale_f32 v5, vcc, v4, v2, v4
	v_rcp_f32_e32 v6, v3
	v_fma_f32 v7, -v3, v6, 1.0
	v_fmac_f32_e32 v6, v7, v6
	v_mul_f32_e32 v7, v5, v6
	v_fma_f32 v10, -v3, v7, v5
	v_fmac_f32_e32 v7, v10, v6
	v_fma_f32 v3, -v3, v7, v5
	v_div_fmas_f32 v3, v3, v6, v7
	v_mul_f32_e64 v10, |v1|, s26
	v_div_fixup_f32 v11, v3, v2, v4
.LBB29_97:
	s_or_b64 exec, exec, s[24:25]
.LBB29_98:
	s_or_b64 exec, exec, s[22:23]
                                        ; implicit-def: $vgpr2
.LBB29_99:
	s_andn2_saveexec_b64 s[20:21], s[20:21]
	s_cbranch_execz .LBB29_101
; %bb.100:
	s_mov_b32 s22, 0xf800000
	s_mov_b32 s4, 0x4f800000
	v_mul_f32_e64 v3, |v0|, s4
	v_cmp_lt_f32_e64 vcc, |v0|, s22
	v_cndmask_b32_e64 v3, |v0|, v3, vcc
	v_sqrt_f32_e32 v4, v3
	v_add_f32_e32 v2, 1.0, v2
	v_mul_f32_e32 v2, 0.5, v2
	v_mov_b32_e32 v10, 1.0
	v_add_u32_e32 v5, -1, v4
	v_fma_f32 v6, -v5, v4, v3
	v_cmp_ge_f32_e64 s[4:5], 0, v6
	v_add_u32_e32 v6, 1, v4
	v_cndmask_b32_e64 v5, v4, v5, s[4:5]
	v_fma_f32 v4, -v6, v4, v3
	v_cmp_lt_f32_e64 s[4:5], 0, v4
	v_cndmask_b32_e64 v4, v5, v6, s[4:5]
	v_mul_f32_e32 v5, 0x37800000, v4
	v_cndmask_b32_e32 v4, v4, v5, vcc
	v_mul_f32_e32 v6, 0x4f800000, v2
	v_cmp_gt_f32_e32 vcc, s22, v2
	v_cndmask_b32_e32 v2, v2, v6, vcc
	v_sqrt_f32_e32 v6, v2
	v_mov_b32_e32 v5, 0x260
	v_cmp_class_f32_e64 s[4:5], v3, v5
	v_cndmask_b32_e64 v3, v4, v3, s[4:5]
	v_add_u32_e32 v4, -1, v6
	v_fma_f32 v7, -v4, v6, v2
	v_cmp_ge_f32_e64 s[4:5], 0, v7
	v_add_u32_e32 v7, 1, v6
	v_cndmask_b32_e64 v4, v6, v4, s[4:5]
	v_fma_f32 v6, -v7, v6, v2
	v_cmp_lt_f32_e64 s[4:5], 0, v6
	v_cndmask_b32_e64 v4, v4, v7, s[4:5]
	v_mul_f32_e32 v6, 0x37800000, v4
	v_cndmask_b32_e32 v4, v4, v6, vcc
	v_cmp_class_f32_e32 vcc, v2, v5
	v_cndmask_b32_e32 v2, v4, v2, vcc
	v_mul_f32_e32 v11, v3, v2
.LBB29_101:
	s_or_b64 exec, exec, s[20:21]
	s_mov_b64 s[4:5], exec
.LBB29_102:
	s_or_b64 exec, exec, s[18:19]
                                        ; implicit-def: $vgpr2
.LBB29_103:
	s_andn2_saveexec_b64 s[16:17], s[16:17]
; %bb.104:
	s_mov_b32 s18, 0x4b800000
	v_mul_f32_e32 v11, 0x4b800000, v2
	v_mul_f32_e64 v10, |v1|, s18
	s_or_b64 s[4:5], s[4:5], exec
                                        ; implicit-def: $vgpr9
; %bb.105:
	s_or_b64 exec, exec, s[16:17]
	s_xor_b64 s[4:5], s[4:5], -1
                                        ; implicit-def: $vgpr2
	s_and_saveexec_b64 s[16:17], s[4:5]
	s_xor_b64 s[4:5], exec, s[16:17]
	s_cbranch_execz .LBB29_107
; %bb.106:
	v_fma_f32 v2, |v9|, -0.5, 0.5
	v_mul_f32_e32 v3, v9, v9
	v_cmp_ge_f32_e64 vcc, |v9|, 0.5
	v_cndmask_b32_e32 v2, v3, v2, vcc
	v_mov_b32_e32 v3, 0x3c5fc5da
	v_fmac_f32_e32 v3, 0x3d1c21a7, v2
	v_mov_b32_e32 v4, 0x3d034c3c
	v_fmac_f32_e32 v4, v2, v3
	;; [unrolled: 2-line block ×4, first 2 shown]
	v_sqrt_f32_e32 v3, v2
	v_mov_b32_e32 v5, 0x3e2aaaac
	v_fmac_f32_e32 v5, v2, v4
	v_mul_f32_e32 v2, v2, v5
	v_fmac_f32_e32 v3, v3, v2
	v_add_f32_e32 v3, v3, v3
	v_sub_f32_e32 v3, 0x3fc90fdb, v3
	v_fma_f32 v2, |v9|, v2, |v9|
	v_cmp_lt_f32_e64 vcc, |v9|, 0.5
	v_cndmask_b32_e32 v2, v3, v2, vcc
	s_brev_b32 s16, -2
	v_bfi_b32 v2, s16, v2, v9
                                        ; implicit-def: $vgpr10
                                        ; implicit-def: $vgpr11
.LBB29_107:
	s_andn2_saveexec_b64 s[16:17], s[4:5]
	s_cbranch_execz .LBB29_109
; %bb.108:
	v_max_f32_e32 v2, v10, v10
	v_max_f32_e64 v3, |v11|, |v11|
	v_min_f32_e32 v4, v3, v2
	v_max_f32_e32 v2, v3, v2
	v_frexp_mant_f32_e32 v3, v2
	v_rcp_f32_e32 v3, v3
	v_frexp_exp_i32_f32_e32 v2, v2
	v_frexp_exp_i32_f32_e32 v5, v4
	v_frexp_mant_f32_e32 v4, v4
	v_mul_f32_e32 v3, v4, v3
	v_sub_u32_e32 v2, v5, v2
	v_ldexp_f32 v2, v3, v2
	v_mul_f32_e32 v3, v2, v2
	v_mov_b32_e32 v4, 0xbc7a590c
	v_fmac_f32_e32 v4, 0x3b2d2a58, v3
	v_mov_b32_e32 v5, 0x3d29fb3f
	v_fmac_f32_e32 v5, v3, v4
	;; [unrolled: 2-line block ×7, first 2 shown]
	v_mul_f32_e32 v3, v3, v4
	v_fmac_f32_e32 v2, v2, v3
	v_sub_f32_e32 v3, 0x3fc90fdb, v2
	v_cmp_gt_f32_e64 vcc, v10, |v11|
	v_cndmask_b32_e32 v2, v2, v3, vcc
	v_sub_f32_e32 v3, 0x40490fdb, v2
	v_cmp_gt_f32_e32 vcc, 0, v11
	v_cndmask_b32_e32 v2, v2, v3, vcc
	v_mov_b32_e32 v3, 0x40490fdb
	v_cmp_gt_i32_e64 s[4:5], 0, v11
	v_cndmask_b32_e64 v3, 0, v3, s[4:5]
	s_movk_i32 s4, 0x204
	v_mov_b32_e32 v4, 0x3f490fdb
	v_mov_b32_e32 v5, 0x4016cbe4
	v_cmp_class_f32_e64 s[18:19], v11, s4
	s_mov_b32 s4, 0x7f800000
	v_cndmask_b32_e32 v4, v4, v5, vcc
	v_cmp_eq_f32_e32 vcc, s4, v10
	v_cmp_eq_f32_e64 s[4:5], 0, v10
	v_cndmask_b32_e64 v2, |v2|, v3, s[4:5]
	s_and_b64 vcc, vcc, s[18:19]
	v_cndmask_b32_e32 v2, v2, v4, vcc
	v_mov_b32_e32 v3, 0x7fc00000
	v_cmp_o_f32_e32 vcc, v11, v11
	v_cndmask_b32_e32 v2, v3, v2, vcc
.LBB29_109:
	s_or_b64 exec, exec, s[16:17]
	s_brev_b32 s4, -2
	v_bfi_b32 v0, s4, v8, v0
	v_bfi_b32 v1, s4, v2, v1
.LBB29_110:
	s_or_b64 exec, exec, s[14:15]
.LBB29_111:
	s_or_b64 exec, exec, s[12:13]
                                        ; implicit-def: $vgpr2
                                        ; implicit-def: $vgpr5
                                        ; implicit-def: $vgpr3
                                        ; implicit-def: $vgpr6
.LBB29_112:
	s_andn2_saveexec_b64 s[12:13], s[6:7]
	s_cbranch_execz .LBB29_134
; %bb.113:
	v_mov_b32_e32 v4, 0
	s_waitcnt lgkmcnt(0)
	v_cmp_lt_i16_sdwa s[4:5], v2, v4 src0_sel:WORD_1 src1_sel:DWORD
                                        ; implicit-def: $vgpr7
                                        ; implicit-def: $vgpr4
	s_and_saveexec_b64 s[6:7], s[4:5]
	s_xor_b64 s[14:15], exec, s[6:7]
	s_cbranch_execz .LBB29_123
; %bb.114:
	v_cmp_gt_f32_e64 s[4:5], |v1|, -v0
	v_cndmask_b32_e64 v6, -v0, |v1|, s[4:5]
	s_mov_b32 s6, 0x7effffff
	v_cmp_nlt_f32_e32 vcc, s6, v6
                                        ; implicit-def: $vgpr4
                                        ; implicit-def: $vgpr5
	s_and_saveexec_b64 s[6:7], vcc
	s_xor_b64 s[16:17], exec, s[6:7]
	s_cbranch_execz .LBB29_120
; %bb.115:
	v_xor_b32_e32 v4, 0x80000000, v0
	s_mov_b32 s6, 0x5e000000
	v_cndmask_b32_e64 v7, |v1|, v4, s[4:5]
	v_cmp_nlt_f32_e32 vcc, s6, v6
	s_brev_b32 s6, 4
	v_cmp_ngt_f32_e64 s[6:7], s6, v7
	s_and_b64 s[6:7], vcc, s[6:7]
                                        ; implicit-def: $vgpr4
                                        ; implicit-def: $vgpr5
	s_and_saveexec_b64 s[18:19], s[6:7]
	s_xor_b64 s[18:19], exec, s[18:19]
	s_cbranch_execz .LBB29_117
; %bb.116:
	v_mul_f32_e32 v4, v7, v7
	v_fmac_f32_e32 v4, v6, v6
	s_mov_b32 s6, 0x800000
	v_cmp_gt_f32_e32 vcc, s6, v4
	v_cndmask_b32_e64 v5, 0, 32, vcc
	v_ldexp_f32 v4, v4, v5
	v_log_f32_e32 v4, v4
	s_mov_b32 s6, 0x3f317217
	v_mul_f32_e32 v5, 0x3f317217, v4
	v_fma_f32 v5, v4, s6, -v5
	v_fmac_f32_e32 v5, 0x3377d1cf, v4
	s_mov_b32 s6, 0x7f800000
	v_fmac_f32_e32 v5, 0x3f317217, v4
	v_cmp_lt_f32_e64 s[6:7], |v4|, s6
	v_cndmask_b32_e64 v4, v4, v5, s[6:7]
	v_mov_b32_e32 v5, 0x41b17218
	v_cndmask_b32_e32 v5, 0, v5, vcc
	v_sub_f32_e32 v4, v4, v5
	v_max_f32_e64 v5, -v0, -v0
	v_min_f32_e32 v6, v5, v3
	v_max_f32_e32 v3, v5, v3
	v_frexp_mant_f32_e32 v5, v3
	v_rcp_f32_e32 v5, v5
	v_frexp_exp_i32_f32_e32 v3, v3
	v_frexp_exp_i32_f32_e32 v7, v6
	v_frexp_mant_f32_e32 v6, v6
	v_mul_f32_e32 v5, v6, v5
	v_sub_u32_e32 v3, v7, v3
	v_ldexp_f32 v5, v5, v3
	v_mul_f32_e32 v3, v5, v5
	v_mov_b32_e32 v6, 0xbc7a590c
	v_fmac_f32_e32 v6, 0x3b2d2a58, v3
	v_mov_b32_e32 v7, 0x3d29fb3f
	v_fmac_f32_e32 v7, v3, v6
	;; [unrolled: 2-line block ×7, first 2 shown]
	v_mul_f32_e32 v3, v3, v6
	v_mul_f32_e32 v4, 0.5, v4
	v_fmac_f32_e32 v5, v5, v3
                                        ; implicit-def: $vgpr3
.LBB29_117:
	s_andn2_saveexec_b64 s[6:7], s[18:19]
	s_cbranch_execz .LBB29_119
; %bb.118:
	v_max_f32_e64 v6, -v0, -v0
	v_max_f32_e32 v7, v6, v3
	v_cvt_f64_f32_e32 v[4:5], v7
	v_min_f32_e32 v3, v6, v3
	s_mov_b32 s18, 0x7f800000
	v_cmp_neq_f32_e32 vcc, s18, v7
	v_frexp_exp_i32_f64_e32 v4, v[4:5]
	v_mov_b32_e32 v5, 0x7f800000
	s_mov_b32 s19, 0x800000
	v_frexp_mant_f32_e32 v10, v7
	s_mov_b32 s20, 0x3f317217
	v_mov_b32_e32 v8, 0x41b17218
	v_frexp_exp_i32_f32_e32 v11, v3
	v_frexp_mant_f32_e32 v3, v3
	v_sub_u32_e32 v6, 0, v4
	v_ldexp_f32 v9, -v0, v6
	v_ldexp_f32 v6, |v1|, v6
	v_mul_f32_e32 v6, v6, v6
	v_fmac_f32_e32 v6, v9, v9
	v_sqrt_f32_e32 v6, v6
	v_frexp_exp_i32_f32_e32 v9, v7
	v_ldexp_f32 v4, v6, v4
	v_cndmask_b32_e32 v4, v5, v4, vcc
	v_cmp_gt_f32_e32 vcc, s19, v4
	v_cndmask_b32_e64 v5, 0, 32, vcc
	v_ldexp_f32 v4, v4, v5
	v_log_f32_e32 v4, v4
	v_rcp_f32_e32 v5, v10
	v_cndmask_b32_e32 v6, 0, v8, vcc
	v_mul_f32_e32 v7, 0x3f317217, v4
	v_fma_f32 v7, v4, s20, -v7
	v_fmac_f32_e32 v7, 0x3377d1cf, v4
	v_fmac_f32_e32 v7, 0x3f317217, v4
	v_cmp_lt_f32_e64 vcc, |v4|, s18
	v_mul_f32_e32 v3, v3, v5
	v_sub_u32_e32 v5, v11, v9
	v_cndmask_b32_e32 v4, v4, v7, vcc
	v_ldexp_f32 v5, v3, v5
	v_sub_f32_e32 v4, v4, v6
	v_mul_f32_e32 v3, v5, v5
	v_mov_b32_e32 v6, 0xbc7a590c
	v_fmac_f32_e32 v6, 0x3b2d2a58, v3
	v_mov_b32_e32 v7, 0x3d29fb3f
	v_fmac_f32_e32 v7, v3, v6
	;; [unrolled: 2-line block ×7, first 2 shown]
	v_mul_f32_e32 v3, v3, v6
	v_fmac_f32_e32 v5, v5, v3
.LBB29_119:
	s_or_b64 exec, exec, s[6:7]
                                        ; implicit-def: $vgpr3
.LBB29_120:
	s_andn2_saveexec_b64 s[16:17], s[16:17]
	s_cbranch_execz .LBB29_122
; %bb.121:
	s_mov_b32 s18, 0xc02df854
	v_div_scale_f32 v4, s[6:7], s18, s18, v0
	v_div_scale_f32 v5, s[6:7], s18, s18, v1
	v_div_scale_f32 v6, vcc, v0, s18, v0
	v_div_scale_f32 v7, s[6:7], v1, s18, v1
	s_mov_b32 s19, 0x3f317217
	v_rcp_f32_e32 v8, v4
	v_rcp_f32_e32 v9, v5
	v_fma_f32 v10, -v4, v8, 1.0
	v_fmac_f32_e32 v8, v10, v8
	v_fma_f32 v11, -v5, v9, 1.0
	v_fmac_f32_e32 v9, v11, v9
	v_mul_f32_e32 v10, v6, v8
	v_mul_f32_e32 v11, v7, v9
	v_fma_f32 v12, -v4, v10, v6
	v_fma_f32 v13, -v5, v11, v7
	v_fmac_f32_e32 v10, v12, v8
	v_fmac_f32_e32 v11, v13, v9
	v_fma_f32 v4, -v4, v10, v6
	v_fma_f32 v5, -v5, v11, v7
	v_div_fmas_f32 v4, v4, v8, v10
	s_mov_b64 vcc, s[6:7]
	v_div_fmas_f32 v5, v5, v9, v11
	v_max_f32_e64 v8, -v0, -v0
	v_min_f32_e32 v14, v8, v3
	v_max_f32_e32 v3, v8, v3
	v_frexp_exp_i32_f32_e32 v8, v3
	v_frexp_mant_f32_e32 v3, v3
	v_rcp_f32_e32 v3, v3
	s_mov_b32 s6, 0x7f800000
	v_mov_b32_e32 v6, 0x7f800000
	s_mov_b32 s7, 0x800000
	v_mov_b32_e32 v7, 0x41b17218
	v_mov_b32_e32 v9, 0xbc7a590c
	;; [unrolled: 1-line block ×4, first 2 shown]
	v_div_fixup_f32 v15, v4, s18, v0
	v_mov_b32_e32 v12, 0x3dd931b2
	v_div_fixup_f32 v16, v5, s18, v1
	v_max_f32_e64 v17, |v15|, |v16|
	v_cvt_f64_f32_e32 v[4:5], v17
	v_cmp_neq_f32_e32 vcc, s6, v17
	v_mov_b32_e32 v13, 0xbe1160e6
	v_frexp_exp_i32_f64_e32 v4, v[4:5]
	v_frexp_exp_i32_f32_e32 v5, v14
	v_frexp_mant_f32_e32 v14, v14
	v_sub_u32_e32 v5, v5, v8
	v_mul_f32_e32 v3, v14, v3
	v_ldexp_f32 v5, v3, v5
	v_mul_f32_e32 v3, v5, v5
	v_fmac_f32_e32 v9, 0x3b2d2a58, v3
	v_sub_u32_e32 v8, 0, v4
	v_ldexp_f32 v14, |v15|, v8
	v_ldexp_f32 v8, |v16|, v8
	v_mul_f32_e32 v8, v8, v8
	v_fmac_f32_e32 v8, v14, v14
	v_sqrt_f32_e32 v8, v8
	v_fmac_f32_e32 v10, v3, v9
	v_fmac_f32_e32 v11, v3, v10
	;; [unrolled: 1-line block ×3, first 2 shown]
	v_ldexp_f32 v4, v8, v4
	v_cndmask_b32_e32 v4, v6, v4, vcc
	v_cmp_gt_f32_e32 vcc, s7, v4
	v_cndmask_b32_e64 v6, 0, 32, vcc
	v_ldexp_f32 v4, v4, v6
	v_log_f32_e32 v4, v4
	v_cndmask_b32_e32 v6, 0, v7, vcc
	v_fmac_f32_e32 v13, v3, v12
	v_mul_f32_e32 v7, 0x3f317217, v4
	v_fma_f32 v7, v4, s19, -v7
	v_fmac_f32_e32 v7, 0x3377d1cf, v4
	v_fmac_f32_e32 v7, 0x3f317217, v4
	v_cmp_lt_f32_e64 vcc, |v4|, s6
	v_cndmask_b32_e32 v4, v4, v7, vcc
	v_sub_f32_e32 v4, v4, v6
	v_mov_b32_e32 v6, 0x3e4cb8bf
	v_fmac_f32_e32 v6, v3, v13
	v_mov_b32_e32 v7, 0xbeaaaa62
	v_fmac_f32_e32 v7, v3, v6
	v_mul_f32_e32 v3, v3, v7
	v_add_f32_e32 v4, 1.0, v4
	v_fmac_f32_e32 v5, v5, v3
.LBB29_122:
	s_or_b64 exec, exec, s[16:17]
	v_sub_f32_e32 v3, 0x3fc90fdb, v5
	v_cndmask_b32_e64 v3, v5, v3, s[4:5]
	s_mov_b32 s4, 0xfc00
	s_movk_i32 s6, 0x204
	v_cmp_eq_f16_sdwa s[4:5], v2, s4 src0_sel:WORD_1 src1_sel:DWORD
	v_cmp_neq_f16_e32 vcc, 0, v2
	v_cmp_class_f32_e64 s[6:7], v1, s6
	v_cndmask_b32_e32 v2, 0, v3, vcc
	v_mov_b32_e32 v3, 0x3f490fdb
	s_and_b64 vcc, s[4:5], s[6:7]
	v_cndmask_b32_e32 v2, v2, v3, vcc
	v_xor_b32_e32 v3, 0x80000000, v1
	s_brev_b32 s4, -2
	v_bfi_b32 v7, s4, v2, v3
                                        ; implicit-def: $vgpr2
                                        ; implicit-def: $vgpr5
                                        ; implicit-def: $vgpr3
                                        ; implicit-def: $vgpr6
.LBB29_123:
	s_andn2_saveexec_b64 s[14:15], s[14:15]
	s_cbranch_execz .LBB29_133
; %bb.124:
	v_cmp_lt_f32_e64 s[4:5], |v0|, |v1|
	v_cndmask_b32_e64 v8, |v0|, |v1|, s[4:5]
	s_mov_b32 s6, 0x7effffff
	v_cmp_nlt_f32_e32 vcc, s6, v8
                                        ; implicit-def: $vgpr4
                                        ; implicit-def: $vgpr7
	s_and_saveexec_b64 s[6:7], vcc
	s_xor_b64 s[16:17], exec, s[6:7]
	s_cbranch_execz .LBB29_130
; %bb.125:
	s_mov_b32 s6, 0x5e000000
	v_cndmask_b32_e64 v9, |v1|, |v0|, s[4:5]
	v_cmp_nlt_f32_e32 vcc, s6, v8
	s_brev_b32 s6, 4
	v_cmp_ngt_f32_e64 s[6:7], s6, v9
	s_and_b64 s[6:7], vcc, s[6:7]
                                        ; implicit-def: $vgpr4
                                        ; implicit-def: $vgpr7
	s_and_saveexec_b64 s[18:19], s[6:7]
	s_xor_b64 s[18:19], exec, s[18:19]
	s_cbranch_execz .LBB29_127
; %bb.126:
	v_mul_f32_e32 v4, v9, v9
	v_fmac_f32_e32 v4, v8, v8
	s_mov_b32 s6, 0x800000
	v_cmp_gt_f32_e32 vcc, s6, v4
	v_cndmask_b32_e64 v7, 0, 32, vcc
	v_ldexp_f32 v4, v4, v7
	v_log_f32_e32 v4, v4
	s_mov_b32 s6, 0x3f317217
	v_min_f32_e32 v3, v5, v3
	v_frexp_mant_f32_e32 v5, v6
	v_mul_f32_e32 v7, 0x3f317217, v4
	v_fma_f32 v7, v4, s6, -v7
	v_fmac_f32_e32 v7, 0x3377d1cf, v4
	s_mov_b32 s6, 0x7f800000
	v_fmac_f32_e32 v7, 0x3f317217, v4
	v_cmp_lt_f32_e64 s[6:7], |v4|, s6
	v_rcp_f32_e32 v5, v5
	v_cndmask_b32_e64 v4, v4, v7, s[6:7]
	v_mov_b32_e32 v7, 0x41b17218
	v_cndmask_b32_e32 v7, 0, v7, vcc
	v_sub_f32_e32 v4, v4, v7
	v_frexp_exp_i32_f32_e32 v6, v6
	v_frexp_exp_i32_f32_e32 v7, v3
	v_frexp_mant_f32_e32 v3, v3
	v_mul_f32_e32 v3, v3, v5
	v_sub_u32_e32 v5, v7, v6
	v_ldexp_f32 v7, v3, v5
	v_mul_f32_e32 v3, v7, v7
	v_mov_b32_e32 v5, 0xbc7a590c
	v_fmac_f32_e32 v5, 0x3b2d2a58, v3
	v_mov_b32_e32 v6, 0x3d29fb3f
	v_fmac_f32_e32 v6, v3, v5
	;; [unrolled: 2-line block ×7, first 2 shown]
	v_mul_f32_e32 v3, v3, v5
	v_mul_f32_e32 v4, 0.5, v4
	v_fmac_f32_e32 v7, v7, v3
                                        ; implicit-def: $vgpr6
                                        ; implicit-def: $vgpr5
                                        ; implicit-def: $vgpr3
.LBB29_127:
	s_andn2_saveexec_b64 s[6:7], s[18:19]
	s_cbranch_execz .LBB29_129
; %bb.128:
	v_cvt_f64_f32_e32 v[7:8], v6
	v_min_f32_e32 v3, v5, v3
	s_mov_b32 s18, 0x7f800000
	v_cmp_neq_f32_e32 vcc, s18, v6
	v_frexp_exp_i32_f64_e32 v4, v[7:8]
	v_mov_b32_e32 v7, 0x7f800000
	s_mov_b32 s19, 0x800000
	v_frexp_mant_f32_e32 v10, v6
	v_rcp_f32_e32 v10, v10
	s_mov_b32 s20, 0x3f317217
	v_mov_b32_e32 v8, 0x41b17218
	v_sub_u32_e32 v5, 0, v4
	v_ldexp_f32 v9, |v0|, v5
	v_ldexp_f32 v5, |v1|, v5
	v_mul_f32_e32 v5, v5, v5
	v_fmac_f32_e32 v5, v9, v9
	v_sqrt_f32_e32 v5, v5
	v_frexp_exp_i32_f32_e32 v9, v6
	v_ldexp_f32 v4, v5, v4
	v_cndmask_b32_e32 v4, v7, v4, vcc
	v_cmp_gt_f32_e32 vcc, s19, v4
	v_cndmask_b32_e64 v5, 0, 32, vcc
	v_ldexp_f32 v4, v4, v5
	v_log_f32_e32 v4, v4
	v_frexp_exp_i32_f32_e32 v5, v3
	v_frexp_mant_f32_e32 v3, v3
	v_cndmask_b32_e32 v6, 0, v8, vcc
	v_mul_f32_e32 v7, 0x3f317217, v4
	v_fma_f32 v7, v4, s20, -v7
	v_fmac_f32_e32 v7, 0x3377d1cf, v4
	v_fmac_f32_e32 v7, 0x3f317217, v4
	v_cmp_lt_f32_e64 vcc, |v4|, s18
	v_mul_f32_e32 v3, v3, v10
	v_sub_u32_e32 v5, v5, v9
	v_cndmask_b32_e32 v4, v4, v7, vcc
	v_ldexp_f32 v7, v3, v5
	v_mul_f32_e32 v3, v7, v7
	v_mov_b32_e32 v5, 0xbc7a590c
	v_sub_f32_e32 v4, v4, v6
	v_fmac_f32_e32 v5, 0x3b2d2a58, v3
	v_mov_b32_e32 v6, 0x3d29fb3f
	v_fmac_f32_e32 v6, v3, v5
	v_mov_b32_e32 v5, 0xbd97d4d7
	;; [unrolled: 2-line block ×6, first 2 shown]
	v_fmac_f32_e32 v5, v3, v6
	v_mul_f32_e32 v3, v3, v5
	v_fmac_f32_e32 v7, v7, v3
.LBB29_129:
	s_or_b64 exec, exec, s[6:7]
                                        ; implicit-def: $vgpr5
                                        ; implicit-def: $vgpr3
                                        ; implicit-def: $vgpr6
.LBB29_130:
	s_andn2_saveexec_b64 s[16:17], s[16:17]
	s_cbranch_execz .LBB29_132
; %bb.131:
	s_mov_b32 s18, 0x402df854
	v_div_scale_f32 v4, s[6:7], s18, s18, v0
	v_div_scale_f32 v7, s[6:7], s18, s18, v1
	v_div_scale_f32 v8, vcc, v0, s18, v0
	v_div_scale_f32 v9, s[6:7], v1, s18, v1
	v_min_f32_e32 v5, v5, v3
	s_mov_b32 s19, 0x3f317217
	v_mov_b32_e32 v18, 0xbe1160e6
	v_mov_b32_e32 v19, 0x3e4cb8bf
	v_rcp_f32_e32 v10, v4
	v_rcp_f32_e32 v11, v7
	v_fma_f32 v12, -v4, v10, 1.0
	v_fmac_f32_e32 v10, v12, v10
	v_fma_f32 v13, -v7, v11, 1.0
	v_fmac_f32_e32 v11, v13, v11
	v_mul_f32_e32 v12, v8, v10
	v_mul_f32_e32 v13, v9, v11
	v_fma_f32 v14, -v4, v12, v8
	v_fma_f32 v15, -v7, v13, v9
	v_fmac_f32_e32 v12, v14, v10
	v_fmac_f32_e32 v13, v15, v11
	v_fma_f32 v4, -v4, v12, v8
	v_fma_f32 v7, -v7, v13, v9
	v_div_fmas_f32 v4, v4, v10, v12
	s_mov_b64 vcc, s[6:7]
	v_div_fmas_f32 v7, v7, v11, v13
	v_frexp_exp_i32_f32_e32 v10, v6
	v_frexp_mant_f32_e32 v6, v6
	v_rcp_f32_e32 v6, v6
	s_mov_b32 s6, 0x7f800000
	v_mov_b32_e32 v8, 0x7f800000
	s_mov_b32 s7, 0x800000
	v_mov_b32_e32 v11, 0xbc7a590c
	v_mov_b32_e32 v12, 0x3d29fb3f
	;; [unrolled: 1-line block ×5, first 2 shown]
	v_div_fixup_f32 v15, v4, s18, v0
	v_div_fixup_f32 v16, v7, s18, v1
	v_max_f32_e64 v17, v15, |v16|
	v_cvt_f64_f32_e32 v[3:4], v17
	v_cmp_neq_f32_e32 vcc, s6, v17
	v_frexp_exp_i32_f64_e32 v3, v[3:4]
	v_frexp_exp_i32_f32_e32 v4, v5
	v_frexp_mant_f32_e32 v5, v5
	v_sub_u32_e32 v4, v4, v10
	v_mul_f32_e32 v5, v5, v6
	v_ldexp_f32 v7, v5, v4
	v_mul_f32_e32 v5, v7, v7
	v_fmac_f32_e32 v11, 0x3b2d2a58, v5
	v_sub_u32_e32 v4, 0, v3
	v_ldexp_f32 v6, v15, v4
	v_ldexp_f32 v4, |v16|, v4
	v_mul_f32_e32 v4, v4, v4
	v_fmac_f32_e32 v4, v6, v6
	v_sqrt_f32_e32 v4, v4
	v_fmac_f32_e32 v12, v5, v11
	v_fmac_f32_e32 v13, v5, v12
	;; [unrolled: 1-line block ×3, first 2 shown]
	v_ldexp_f32 v3, v4, v3
	v_cndmask_b32_e32 v3, v8, v3, vcc
	v_cmp_gt_f32_e32 vcc, s7, v3
	v_cndmask_b32_e64 v4, 0, 32, vcc
	v_ldexp_f32 v3, v3, v4
	v_log_f32_e32 v3, v3
	v_cndmask_b32_e32 v4, 0, v9, vcc
	v_fmac_f32_e32 v18, v5, v14
	v_fmac_f32_e32 v19, v5, v18
	v_mul_f32_e32 v6, 0x3f317217, v3
	v_fma_f32 v6, v3, s19, -v6
	v_fmac_f32_e32 v6, 0x3377d1cf, v3
	v_fmac_f32_e32 v6, 0x3f317217, v3
	v_cmp_lt_f32_e64 vcc, |v3|, s6
	v_cndmask_b32_e32 v3, v3, v6, vcc
	v_sub_f32_e32 v3, v3, v4
	v_add_f32_e32 v4, 1.0, v3
	v_mov_b32_e32 v3, 0xbeaaaa62
	v_fmac_f32_e32 v3, v5, v19
	v_mul_f32_e32 v3, v5, v3
	v_fmac_f32_e32 v7, v7, v3
.LBB29_132:
	s_or_b64 exec, exec, s[16:17]
	v_sub_f32_e32 v3, 0x3fc90fdb, v7
	s_movk_i32 s6, 0x204
	v_cndmask_b32_e64 v3, v7, v3, s[4:5]
	v_cmp_neq_f16_e32 vcc, 0, v2
	v_cmp_class_f32_e64 s[4:5], v0, s6
	v_cmp_class_f32_e64 s[6:7], v1, s6
	v_cndmask_b32_e32 v2, 0, v3, vcc
	v_mov_b32_e32 v3, 0x3f490fdb
	s_and_b64 vcc, s[6:7], s[4:5]
	v_cndmask_b32_e32 v2, v2, v3, vcc
	s_brev_b32 s4, -2
	v_bfi_b32 v7, s4, v2, v1
.LBB29_133:
	s_or_b64 exec, exec, s[14:15]
	v_add_f32_e32 v2, 0x3f317218, v4
	s_brev_b32 s4, -2
	v_bfi_b32 v0, s4, v2, v0
	v_bfi_b32 v1, s4, v7, v1
.LBB29_134:
	s_or_b64 exec, exec, s[12:13]
                                        ; implicit-def: $vgpr2
.LBB29_135:
	s_andn2_saveexec_b64 s[4:5], s[10:11]
	s_cbranch_execz .LBB29_149
; %bb.136:
	s_mov_b32 s10, 0x7f800000
	v_cmp_neq_f32_e64 s[6:7], |v0|, s10
                                        ; implicit-def: $vgpr3
                                        ; implicit-def: $vgpr4
	s_and_saveexec_b64 s[12:13], s[6:7]
	s_xor_b64 s[6:7], exec, s[12:13]
	s_cbranch_execz .LBB29_146
; %bb.137:
	v_cmp_neq_f32_e64 s[10:11], |v1|, s10
                                        ; implicit-def: $vgpr3
                                        ; implicit-def: $vgpr4
	s_and_saveexec_b64 s[12:13], s[10:11]
	s_xor_b64 s[10:11], exec, s[12:13]
	s_cbranch_execz .LBB29_143
; %bb.138:
	s_waitcnt lgkmcnt(0)
	v_cmp_neq_f16_e32 vcc, 0, v2
                                        ; implicit-def: $vgpr3
	s_and_saveexec_b64 s[12:13], vcc
	s_xor_b64 s[12:13], exec, s[12:13]
; %bb.139:
	v_add_f32_e32 v0, 0, v0
	v_add_f32_e32 v3, v0, v1
                                        ; implicit-def: $vgpr0
                                        ; implicit-def: $vgpr1
; %bb.140:
	s_or_saveexec_b64 s[12:13], s[12:13]
	v_mov_b32_e32 v4, v3
	s_xor_b64 exec, exec, s[12:13]
; %bb.141:
	v_add_f32_e32 v4, v0, v0
	v_mov_b32_e32 v3, v1
; %bb.142:
	s_or_b64 exec, exec, s[12:13]
                                        ; implicit-def: $vgpr0
                                        ; implicit-def: $vgpr1
.LBB29_143:
	s_andn2_saveexec_b64 s[10:11], s[10:11]
; %bb.144:
	v_add_f32_e32 v3, v0, v0
	v_mov_b32_e32 v4, v1
; %bb.145:
	s_or_b64 exec, exec, s[10:11]
                                        ; implicit-def: $vgpr1
                                        ; implicit-def: $vgpr0
.LBB29_146:
	s_andn2_saveexec_b64 s[6:7], s[6:7]
; %bb.147:
	v_add_f32_e32 v3, v1, v1
	v_mov_b32_e32 v4, v0
; %bb.148:
	s_or_b64 exec, exec, s[6:7]
	v_mov_b32_e32 v0, v4
	v_mov_b32_e32 v1, v3
.LBB29_149:
	s_or_b64 exec, exec, s[4:5]
	v_cvt_f16_f32_e32 v1, v1
	v_cvt_f16_f32_sdwa v0, v0 dst_sel:WORD_1 dst_unused:UNUSED_PAD src0_sel:DWORD
	v_or_b32_e32 v0, v0, v1
	s_or_b64 exec, exec, s[8:9]
	s_waitcnt lgkmcnt(0)
	s_setpc_b64 s[30:31]
.LBB29_150:
	v_mov_b32_e32 v2, 28
	v_cmp_gt_i16_sdwa s[8:9], v3, v2 src0_sel:BYTE_0 src1_sel:DWORD
	s_mov_b64 s[14:15], 0
                                        ; implicit-def: $vgpr2
	s_and_saveexec_b64 s[16:17], s[8:9]
	s_xor_b64 s[8:9], exec, s[16:17]
	s_cbranch_execz .LBB29_166
; %bb.151:
	v_mov_b32_e32 v2, 43
	v_cmp_gt_i16_sdwa s[12:13], v3, v2 src0_sel:BYTE_0 src1_sel:DWORD
	s_mov_b64 s[16:17], 0
	s_mov_b64 s[18:19], 0
                                        ; implicit-def: $vgpr2
	s_and_saveexec_b64 s[14:15], s[12:13]
	s_xor_b64 s[12:13], exec, s[14:15]
	s_cbranch_execz .LBB29_161
; %bb.152:
	v_mov_b32_e32 v2, 45
	v_cmp_gt_i16_sdwa s[18:19], v3, v2 src0_sel:BYTE_0 src1_sel:DWORD
	s_mov_b64 s[14:15], 0
                                        ; implicit-def: $vgpr2
	s_and_saveexec_b64 s[20:21], s[18:19]
	s_xor_b64 s[18:19], exec, s[20:21]
	s_cbranch_execz .LBB29_156
; %bb.153:
	v_mov_b32_e32 v2, 46
	v_cmp_eq_u16_sdwa s[22:23], v3, v2 src0_sel:BYTE_0 src1_sel:DWORD
	s_mov_b64 s[20:21], -1
                                        ; implicit-def: $vgpr2
	s_and_saveexec_b64 s[16:17], s[22:23]
	s_cbranch_execz .LBB29_155
; %bb.154:
	flat_load_dword v2, v[0:1]
	s_mov_b32 s20, 0x5040100
	s_mov_b64 s[14:15], exec
	s_waitcnt vmcnt(0) lgkmcnt(0)
	v_and_b32_e32 v3, 0xffff0000, v2
	v_lshlrev_b32_e32 v2, 16, v2
	v_cvt_f16_f32_e32 v2, v2
	v_cvt_f16_f32_e32 v3, v3
	v_perm_b32 v2, v3, v2, s20
	s_xor_b64 s[20:21], exec, -1
.LBB29_155:
	s_or_b64 exec, exec, s[16:17]
	s_and_b64 s[16:17], s[14:15], exec
	s_and_b64 s[14:15], s[20:21], exec
                                        ; implicit-def: $vgpr3
.LBB29_156:
	s_andn2_saveexec_b64 s[18:19], s[18:19]
	s_cbranch_execz .LBB29_160
; %bb.157:
	v_mov_b32_e32 v2, 44
	v_cmp_eq_u16_sdwa s[26:27], v3, v2 src0_sel:BYTE_0 src1_sel:DWORD
	s_mov_b64 s[24:25], -1
	s_mov_b64 s[22:23], s[16:17]
                                        ; implicit-def: $vgpr2
	s_and_saveexec_b64 s[20:21], s[26:27]
	s_cbranch_execz .LBB29_159
; %bb.158:
	flat_load_ubyte v2, v[0:1]
	s_movk_i32 s24, 0xff
	v_mov_b32_e32 v4, 0x7e00
	s_or_b64 s[22:23], s[16:17], exec
	s_waitcnt vmcnt(0) lgkmcnt(0)
	v_lshlrev_b32_e32 v3, 23, v2
	v_cvt_f16_f32_e32 v3, v3
	v_cmp_ne_u32_e32 vcc, s24, v2
	s_xor_b64 s[24:25], exec, -1
	v_cndmask_b32_e32 v3, v4, v3, vcc
	v_cmp_ne_u32_e32 vcc, 0, v2
	v_cndmask_b32_e32 v2, 0, v3, vcc
	v_and_b32_e32 v2, 0xffff, v2
.LBB29_159:
	s_or_b64 exec, exec, s[20:21]
	s_andn2_b64 s[16:17], s[16:17], exec
	s_and_b64 s[20:21], s[22:23], exec
	s_or_b64 s[16:17], s[16:17], s[20:21]
	s_andn2_b64 s[14:15], s[14:15], exec
	s_and_b64 s[20:21], s[24:25], exec
	s_or_b64 s[14:15], s[14:15], s[20:21]
.LBB29_160:
	s_or_b64 exec, exec, s[18:19]
	s_and_b64 s[18:19], s[16:17], exec
	s_and_b64 s[16:17], s[14:15], exec
                                        ; implicit-def: $vgpr3
.LBB29_161:
	s_andn2_saveexec_b64 s[12:13], s[12:13]
	s_cbranch_execz .LBB29_165
; %bb.162:
	v_mov_b32_e32 v2, 29
	v_cmp_eq_u16_sdwa s[24:25], v3, v2 src0_sel:BYTE_0 src1_sel:DWORD
	s_mov_b64 s[20:21], -1
	s_mov_b64 s[22:23], s[18:19]
                                        ; implicit-def: $vgpr2
	s_and_saveexec_b64 s[14:15], s[24:25]
	s_cbranch_execz .LBB29_164
; %bb.163:
	flat_load_dwordx2 v[2:3], v[0:1]
	s_or_b64 s[22:23], s[18:19], exec
	s_xor_b64 s[20:21], exec, -1
	s_waitcnt vmcnt(0) lgkmcnt(0)
	v_ffbh_u32_e32 v4, v3
	v_min_u32_e32 v4, 32, v4
	v_lshlrev_b64 v[2:3], v4, v[2:3]
	v_min_u32_e32 v2, 1, v2
	v_or_b32_e32 v2, v3, v2
	v_cvt_f32_u32_e32 v2, v2
	v_sub_u32_e32 v3, 32, v4
	v_ldexp_f32 v2, v2, v3
	v_cvt_f16_f32_e32 v2, v2
.LBB29_164:
	s_or_b64 exec, exec, s[14:15]
	s_andn2_b64 s[14:15], s[18:19], exec
	s_and_b64 s[18:19], s[22:23], exec
	s_or_b64 s[18:19], s[14:15], s[18:19]
	s_andn2_b64 s[14:15], s[16:17], exec
	s_and_b64 s[16:17], s[20:21], exec
	s_or_b64 s[16:17], s[14:15], s[16:17]
.LBB29_165:
	s_or_b64 exec, exec, s[12:13]
	s_and_b64 s[14:15], s[18:19], exec
	s_and_b64 s[12:13], s[16:17], exec
                                        ; implicit-def: $vgpr3
.LBB29_166:
	s_andn2_saveexec_b64 s[8:9], s[8:9]
	s_cbranch_execz .LBB29_180
; %bb.167:
	v_mov_b32_e32 v2, 26
	v_cmp_gt_i16_sdwa s[16:17], v3, v2 src0_sel:BYTE_0 src1_sel:DWORD
                                        ; implicit-def: $vgpr2
	s_and_saveexec_b64 s[18:19], s[16:17]
	s_xor_b64 s[16:17], exec, s[18:19]
	s_cbranch_execz .LBB29_173
; %bb.168:
	v_mov_b32_e32 v2, 27
	v_cmp_gt_i16_sdwa s[18:19], v3, v2 src0_sel:BYTE_0 src1_sel:DWORD
                                        ; implicit-def: $vgpr2
	s_and_saveexec_b64 s[20:21], s[18:19]
	s_xor_b64 s[18:19], exec, s[20:21]
	s_cbranch_execz .LBB29_170
; %bb.169:
	flat_load_dword v2, v[0:1]
	s_waitcnt vmcnt(0) lgkmcnt(0)
	v_cvt_f32_u32_e32 v2, v2
	v_cvt_f16_f32_e32 v2, v2
.LBB29_170:
	s_andn2_saveexec_b64 s[18:19], s[18:19]
	s_cbranch_execz .LBB29_172
; %bb.171:
	flat_load_ushort v2, v[0:1]
	s_waitcnt vmcnt(0) lgkmcnt(0)
	v_cvt_f16_u16_e32 v2, v2
.LBB29_172:
	s_or_b64 exec, exec, s[18:19]
.LBB29_173:
	s_andn2_saveexec_b64 s[16:17], s[16:17]
	s_cbranch_execz .LBB29_179
; %bb.174:
	flat_load_ubyte v3, v[0:1]
	s_movk_i32 s18, 0x7f
	s_waitcnt vmcnt(0) lgkmcnt(0)
	v_cmp_lt_i16_e32 vcc, s18, v3
	s_mov_b64 s[18:19], 0
	s_and_saveexec_b64 s[20:21], vcc
	s_xor_b64 s[20:21], exec, s[20:21]
	s_cbranch_execnz .LBB29_205
; %bb.175:
	s_or_saveexec_b64 s[20:21], s[20:21]
	v_mov_b32_e32 v2, 0x7e00
	s_xor_b64 exec, exec, s[20:21]
	s_cbranch_execnz .LBB29_208
.LBB29_176:
	s_or_b64 exec, exec, s[20:21]
	s_and_saveexec_b64 s[20:21], s[18:19]
	s_cbranch_execz .LBB29_178
.LBB29_177:
	v_lshlrev_b32_e32 v2, 24, v3
	v_and_b32_e32 v3, 0xffff, v3
	v_and_b32_e32 v4, 7, v3
	v_ffbh_u32_e32 v6, v4
	v_min_u32_e32 v6, 32, v6
	v_subrev_u32_e32 v7, 28, v6
	v_bfe_u32 v5, v3, 3, 4
	v_lshlrev_b32_e32 v3, v7, v3
	v_sub_u32_e32 v6, 29, v6
	v_and_b32_e32 v3, 7, v3
	v_cmp_eq_u32_e32 vcc, 0, v5
	v_cndmask_b32_e32 v5, v5, v6, vcc
	v_cndmask_b32_e32 v3, v4, v3, vcc
	v_mov_b32_e32 v4, 0x3b800000
	v_lshlrev_b32_e32 v3, 20, v3
	v_and_b32_e32 v2, 0x80000000, v2
	v_lshl_add_u32 v4, v5, 23, v4
	v_or3_b32 v2, v2, v4, v3
	v_cvt_f16_f32_e32 v2, v2
.LBB29_178:
	s_or_b64 exec, exec, s[20:21]
.LBB29_179:
	s_or_b64 exec, exec, s[16:17]
	s_or_b64 s[14:15], s[14:15], exec
.LBB29_180:
	s_or_b64 exec, exec, s[8:9]
	s_and_b64 s[8:9], s[14:15], exec
	s_and_b64 s[12:13], s[12:13], exec
                                        ; implicit-def: $vgpr3
	s_andn2_saveexec_b64 s[10:11], s[10:11]
	s_cbranch_execz .LBB29_6
.LBB29_181:
	v_mov_b32_e32 v2, 22
	v_cmp_gt_i16_sdwa s[6:7], v3, v2 src0_sel:BYTE_0 src1_sel:DWORD
	s_mov_b64 s[14:15], s[8:9]
                                        ; implicit-def: $vgpr2
	s_and_saveexec_b64 s[16:17], s[6:7]
	s_xor_b64 s[6:7], exec, s[16:17]
	s_cbranch_execz .LBB29_195
; %bb.182:
	v_mov_b32_e32 v2, 23
	v_cmp_gt_i16_sdwa s[14:15], v3, v2 src0_sel:BYTE_0 src1_sel:DWORD
                                        ; implicit-def: $vgpr2
	s_and_saveexec_b64 s[16:17], s[14:15]
	s_xor_b64 s[14:15], exec, s[16:17]
	s_cbranch_execz .LBB29_192
; %bb.183:
	v_mov_b32_e32 v2, 24
	v_cmp_gt_i16_sdwa s[16:17], v3, v2 src0_sel:BYTE_0 src1_sel:DWORD
                                        ; implicit-def: $vgpr2
	s_and_saveexec_b64 s[18:19], s[16:17]
	s_xor_b64 s[16:17], exec, s[18:19]
	s_cbranch_execz .LBB29_189
; %bb.184:
	flat_load_ubyte v3, v[0:1]
	s_movk_i32 s18, 0x7f
	s_waitcnt vmcnt(0) lgkmcnt(0)
	v_cmp_lt_i16_e32 vcc, s18, v3
	s_mov_b64 s[18:19], 0
	s_and_saveexec_b64 s[20:21], vcc
	s_xor_b64 s[20:21], exec, s[20:21]
	s_cbranch_execnz .LBB29_209
; %bb.185:
	s_or_saveexec_b64 s[20:21], s[20:21]
	v_mov_b32_e32 v2, 0x7e00
	s_xor_b64 exec, exec, s[20:21]
	s_cbranch_execnz .LBB29_212
.LBB29_186:
	s_or_b64 exec, exec, s[20:21]
	s_and_saveexec_b64 s[20:21], s[18:19]
	s_cbranch_execz .LBB29_188
.LBB29_187:
	v_lshlrev_b32_e32 v2, 24, v3
	v_and_b32_e32 v3, 0xffff, v3
	v_and_b32_e32 v4, 3, v3
	v_ffbh_u32_e32 v6, v4
	v_min_u32_e32 v6, 32, v6
	v_subrev_u32_e32 v7, 29, v6
	v_bfe_u32 v5, v3, 2, 5
	v_lshlrev_b32_e32 v3, v7, v3
	v_sub_u32_e32 v6, 30, v6
	v_and_b32_e32 v3, 3, v3
	v_cmp_eq_u32_e32 vcc, 0, v5
	v_cndmask_b32_e32 v5, v5, v6, vcc
	v_cndmask_b32_e32 v3, v4, v3, vcc
	v_mov_b32_e32 v4, 0x37800000
	v_lshlrev_b32_e32 v3, 21, v3
	v_and_b32_e32 v2, 0x80000000, v2
	v_lshl_add_u32 v4, v5, 23, v4
	v_or3_b32 v2, v2, v4, v3
	v_cvt_f16_f32_e32 v2, v2
.LBB29_188:
	s_or_b64 exec, exec, s[20:21]
.LBB29_189:
	s_andn2_saveexec_b64 s[16:17], s[16:17]
	s_cbranch_execz .LBB29_191
; %bb.190:
	flat_load_ubyte v2, v[0:1]
	s_mov_b32 s18, 0x7f800000
	s_waitcnt vmcnt(0) lgkmcnt(0)
	v_lshlrev_b32_e32 v2, 24, v2
	v_and_b32_e32 v3, 0x7f000000, v2
	v_ffbh_u32_e32 v4, v3
	v_min_u32_e32 v4, 32, v4
	v_sub_u32_e64 v4, v4, 4 clamp
	v_lshlrev_b32_e32 v6, v4, v3
	v_lshlrev_b32_e32 v4, 23, v4
	v_lshrrev_b32_e32 v6, 4, v6
	v_add_u32_e32 v5, 0x1000000, v3
	v_sub_u32_e32 v4, v6, v4
	v_ashrrev_i32_e32 v5, 8, v5
	v_add_u32_e32 v4, 0x3c000000, v4
	v_and_or_b32 v4, v5, s18, v4
	v_cmp_ne_u32_e32 vcc, 0, v3
	v_cndmask_b32_e32 v3, 0, v4, vcc
	s_brev_b32 s18, 1
	v_and_or_b32 v2, v2, s18, v3
	v_cvt_f16_f32_e32 v2, v2
.LBB29_191:
	s_or_b64 exec, exec, s[16:17]
.LBB29_192:
	s_andn2_saveexec_b64 s[14:15], s[14:15]
	s_cbranch_execz .LBB29_194
; %bb.193:
	flat_load_ubyte v2, v[0:1]
	s_movk_i32 s16, 0x7f00
	s_brev_b32 s17, 16
	s_waitcnt vmcnt(0) lgkmcnt(0)
	v_lshlrev_b16_e32 v3, 8, v2
	v_lshlrev_b32_e32 v2, 25, v2
	v_lshrrev_b32_e32 v4, 4, v2
	v_and_or_b32 v5, v3, s16, 0.5
	v_or_b32_e32 v4, 0x70000000, v4
	v_add_f32_e32 v5, -0.5, v5
	v_mul_f32_e32 v4, 0x7800000, v4
	v_cmp_gt_u32_e32 vcc, s17, v2
	v_bfe_i32 v3, v3, 0, 16
	v_cndmask_b32_e32 v2, v4, v5, vcc
	s_brev_b32 s16, 1
	v_and_or_b32 v2, v3, s16, v2
	v_cvt_f16_f32_e32 v2, v2
.LBB29_194:
	s_or_b64 exec, exec, s[14:15]
	s_or_b64 s[14:15], s[8:9], exec
                                        ; implicit-def: $vgpr3
.LBB29_195:
	s_or_saveexec_b64 s[6:7], s[6:7]
	s_mov_b64 s[18:19], 0
	s_mov_b64 s[16:17], s[12:13]
	s_xor_b64 exec, exec, s[6:7]
	s_cbranch_execz .LBB29_203
; %bb.196:
	v_mov_b32_e32 v2, 14
	v_cmp_gt_i16_sdwa s[20:21], v3, v2 src0_sel:BYTE_0 src1_sel:DWORD
	s_mov_b64 s[16:17], s[12:13]
	s_mov_b64 s[18:19], s[14:15]
                                        ; implicit-def: $vgpr2
	s_and_saveexec_b64 s[22:23], s[20:21]
	s_xor_b64 s[20:21], exec, s[22:23]
	s_cbranch_execz .LBB29_200
; %bb.197:
	v_mov_b32_e32 v2, 15
	v_cmp_eq_u16_sdwa s[24:25], v3, v2 src0_sel:BYTE_0 src1_sel:DWORD
	s_mov_b64 s[16:17], -1
	s_mov_b64 s[18:19], s[14:15]
                                        ; implicit-def: $vgpr2
	s_and_saveexec_b64 s[22:23], s[24:25]
	s_cbranch_execz .LBB29_199
; %bb.198:
	flat_load_ushort v2, v[0:1]
	s_or_b64 s[18:19], s[14:15], exec
	s_xor_b64 s[16:17], exec, -1
	s_waitcnt vmcnt(0) lgkmcnt(0)
	v_lshlrev_b32_e32 v2, 16, v2
	v_cvt_f16_f32_e32 v2, v2
.LBB29_199:
	s_or_b64 exec, exec, s[22:23]
	s_andn2_b64 s[22:23], s[14:15], exec
	s_and_b64 s[18:19], s[18:19], exec
	s_or_b64 s[18:19], s[22:23], s[18:19]
	s_andn2_b64 s[22:23], s[12:13], exec
	s_and_b64 s[16:17], s[16:17], exec
	s_or_b64 s[16:17], s[22:23], s[16:17]
                                        ; implicit-def: $vgpr3
.LBB29_200:
	s_or_saveexec_b64 s[20:21], s[20:21]
	s_mov_b64 s[22:23], 0
	s_xor_b64 exec, exec, s[20:21]
; %bb.201:
	v_mov_b32_e32 v4, 11
	v_cmp_ne_u16_sdwa s[24:25], v3, v4 src0_sel:BYTE_0 src1_sel:DWORD
	s_andn2_b64 s[16:17], s[16:17], exec
	s_and_b64 s[24:25], s[24:25], exec
	s_mov_b64 s[22:23], exec
	s_or_b64 s[16:17], s[16:17], s[24:25]
; %bb.202:
	s_or_b64 exec, exec, s[20:21]
	s_andn2_b64 s[14:15], s[14:15], exec
	s_and_b64 s[18:19], s[18:19], exec
	s_andn2_b64 s[20:21], s[12:13], exec
	s_and_b64 s[16:17], s[16:17], exec
	s_or_b64 s[14:15], s[14:15], s[18:19]
	s_and_b64 s[18:19], s[22:23], exec
	s_or_b64 s[16:17], s[20:21], s[16:17]
.LBB29_203:
	s_or_b64 exec, exec, s[6:7]
	s_andn2_b64 s[6:7], s[8:9], exec
	s_and_b64 s[8:9], s[14:15], exec
	s_andn2_b64 s[12:13], s[12:13], exec
	s_and_b64 s[14:15], s[16:17], exec
	s_or_b64 s[8:9], s[6:7], s[8:9]
	s_and_b64 s[6:7], s[18:19], exec
	s_or_b64 s[12:13], s[12:13], s[14:15]
	s_or_b64 exec, exec, s[10:11]
	s_and_saveexec_b64 s[10:11], s[12:13]
	s_cbranch_execz .LBB29_7
.LBB29_204:
	s_trap 2
	; divergent unreachable
	s_andn2_b64 s[6:7], s[6:7], exec
	s_or_b64 exec, exec, s[10:11]
	s_and_saveexec_b64 s[10:11], s[6:7]
	s_xor_b64 s[6:7], exec, s[10:11]
	s_cbranch_execnz .LBB29_8
	s_branch .LBB29_9
.LBB29_205:
	s_movk_i32 s18, 0x80
	v_cmp_eq_u16_e32 vcc, s18, v3
	s_mov_b64 s[18:19], -1
	s_and_saveexec_b64 s[22:23], vcc
; %bb.206:
	s_xor_b64 s[18:19], exec, -1
; %bb.207:
	s_or_b64 exec, exec, s[22:23]
	s_and_b64 s[18:19], s[18:19], exec
	s_or_saveexec_b64 s[20:21], s[20:21]
	v_mov_b32_e32 v2, 0x7e00
	s_xor_b64 exec, exec, s[20:21]
	s_cbranch_execz .LBB29_176
.LBB29_208:
	v_cmp_ne_u16_e32 vcc, 0, v3
	s_andn2_b64 s[18:19], s[18:19], exec
	s_and_b64 s[22:23], vcc, exec
	v_mov_b32_e32 v2, 0
	s_or_b64 s[18:19], s[18:19], s[22:23]
	s_or_b64 exec, exec, s[20:21]
	s_and_saveexec_b64 s[20:21], s[18:19]
	s_cbranch_execnz .LBB29_177
	s_branch .LBB29_178
.LBB29_209:
	s_movk_i32 s18, 0x80
	v_cmp_eq_u16_e32 vcc, s18, v3
	s_mov_b64 s[18:19], -1
	s_and_saveexec_b64 s[22:23], vcc
; %bb.210:
	s_xor_b64 s[18:19], exec, -1
; %bb.211:
	s_or_b64 exec, exec, s[22:23]
	s_and_b64 s[18:19], s[18:19], exec
	s_or_saveexec_b64 s[20:21], s[20:21]
	v_mov_b32_e32 v2, 0x7e00
	s_xor_b64 exec, exec, s[20:21]
	s_cbranch_execz .LBB29_186
.LBB29_212:
	v_cmp_ne_u16_e32 vcc, 0, v3
	s_andn2_b64 s[18:19], s[18:19], exec
	s_and_b64 s[22:23], vcc, exec
	v_mov_b32_e32 v2, 0
	s_or_b64 s[18:19], s[18:19], s[22:23]
	s_or_b64 exec, exec, s[20:21]
	s_and_saveexec_b64 s[20:21], s[18:19]
	s_cbranch_execnz .LBB29_187
	s_branch .LBB29_188
.Lfunc_end29:
	.size	_ZN2at6native6invokeIZZZNS0_16asin_kernel_cudaERNS_18TensorIteratorBaseEENKUlvE_clEvENKUlvE1_clEvEUlN3c107complexINS6_4HalfEEEE_i15function_traitsISA_EEENT1_11result_typeERKT_PrKPcPKT0_PKNS6_10ScalarTypeEi, .Lfunc_end29-_ZN2at6native6invokeIZZZNS0_16asin_kernel_cudaERNS_18TensorIteratorBaseEENKUlvE_clEvENKUlvE1_clEvEUlN3c107complexINS6_4HalfEEEE_i15function_traitsISA_EEENT1_11result_typeERKT_PrKPcPKT0_PKNS6_10ScalarTypeEi
                                        ; -- End function
	.set .L_ZN2at6native6invokeIZZZNS0_16asin_kernel_cudaERNS_18TensorIteratorBaseEENKUlvE_clEvENKUlvE1_clEvEUlN3c107complexINS6_4HalfEEEE_i15function_traitsISA_EEENT1_11result_typeERKT_PrKPcPKT0_PKNS6_10ScalarTypeEi.num_vgpr, 20
	.set .L_ZN2at6native6invokeIZZZNS0_16asin_kernel_cudaERNS_18TensorIteratorBaseEENKUlvE_clEvENKUlvE1_clEvEUlN3c107complexINS6_4HalfEEEE_i15function_traitsISA_EEENT1_11result_typeERKT_PrKPcPKT0_PKNS6_10ScalarTypeEi.num_agpr, 0
	.set .L_ZN2at6native6invokeIZZZNS0_16asin_kernel_cudaERNS_18TensorIteratorBaseEENKUlvE_clEvENKUlvE1_clEvEUlN3c107complexINS6_4HalfEEEE_i15function_traitsISA_EEENT1_11result_typeERKT_PrKPcPKT0_PKNS6_10ScalarTypeEi.numbered_sgpr, 33
	.set .L_ZN2at6native6invokeIZZZNS0_16asin_kernel_cudaERNS_18TensorIteratorBaseEENKUlvE_clEvENKUlvE1_clEvEUlN3c107complexINS6_4HalfEEEE_i15function_traitsISA_EEENT1_11result_typeERKT_PrKPcPKT0_PKNS6_10ScalarTypeEi.num_named_barrier, 0
	.set .L_ZN2at6native6invokeIZZZNS0_16asin_kernel_cudaERNS_18TensorIteratorBaseEENKUlvE_clEvENKUlvE1_clEvEUlN3c107complexINS6_4HalfEEEE_i15function_traitsISA_EEENT1_11result_typeERKT_PrKPcPKT0_PKNS6_10ScalarTypeEi.private_seg_size, 12
	.set .L_ZN2at6native6invokeIZZZNS0_16asin_kernel_cudaERNS_18TensorIteratorBaseEENKUlvE_clEvENKUlvE1_clEvEUlN3c107complexINS6_4HalfEEEE_i15function_traitsISA_EEENT1_11result_typeERKT_PrKPcPKT0_PKNS6_10ScalarTypeEi.uses_vcc, 1
	.set .L_ZN2at6native6invokeIZZZNS0_16asin_kernel_cudaERNS_18TensorIteratorBaseEENKUlvE_clEvENKUlvE1_clEvEUlN3c107complexINS6_4HalfEEEE_i15function_traitsISA_EEENT1_11result_typeERKT_PrKPcPKT0_PKNS6_10ScalarTypeEi.uses_flat_scratch, 0
	.set .L_ZN2at6native6invokeIZZZNS0_16asin_kernel_cudaERNS_18TensorIteratorBaseEENKUlvE_clEvENKUlvE1_clEvEUlN3c107complexINS6_4HalfEEEE_i15function_traitsISA_EEENT1_11result_typeERKT_PrKPcPKT0_PKNS6_10ScalarTypeEi.has_dyn_sized_stack, 0
	.set .L_ZN2at6native6invokeIZZZNS0_16asin_kernel_cudaERNS_18TensorIteratorBaseEENKUlvE_clEvENKUlvE1_clEvEUlN3c107complexINS6_4HalfEEEE_i15function_traitsISA_EEENT1_11result_typeERKT_PrKPcPKT0_PKNS6_10ScalarTypeEi.has_recursion, 0
	.set .L_ZN2at6native6invokeIZZZNS0_16asin_kernel_cudaERNS_18TensorIteratorBaseEENKUlvE_clEvENKUlvE1_clEvEUlN3c107complexINS6_4HalfEEEE_i15function_traitsISA_EEENT1_11result_typeERKT_PrKPcPKT0_PKNS6_10ScalarTypeEi.has_indirect_call, 0
	.section	.AMDGPU.csdata,"",@progbits
; Function info:
; codeLenInByte = 10120
; TotalNumSgprs: 37
; NumVgprs: 20
; ScratchSize: 12
; MemoryBound: 1
	.section	.text._ZN2at6native32elementwise_kernel_manual_unrollILi128ELi4EZNS0_15gpu_kernel_implIZZZNS0_16asin_kernel_cudaERNS_18TensorIteratorBaseEENKUlvE_clEvENKUlvE1_clEvEUlN3c107complexINS7_4HalfEEEE_EEvS4_RKT_EUlibE_EEviT1_,"axG",@progbits,_ZN2at6native32elementwise_kernel_manual_unrollILi128ELi4EZNS0_15gpu_kernel_implIZZZNS0_16asin_kernel_cudaERNS_18TensorIteratorBaseEENKUlvE_clEvENKUlvE1_clEvEUlN3c107complexINS7_4HalfEEEE_EEvS4_RKT_EUlibE_EEviT1_,comdat
	.globl	_ZN2at6native32elementwise_kernel_manual_unrollILi128ELi4EZNS0_15gpu_kernel_implIZZZNS0_16asin_kernel_cudaERNS_18TensorIteratorBaseEENKUlvE_clEvENKUlvE1_clEvEUlN3c107complexINS7_4HalfEEEE_EEvS4_RKT_EUlibE_EEviT1_ ; -- Begin function _ZN2at6native32elementwise_kernel_manual_unrollILi128ELi4EZNS0_15gpu_kernel_implIZZZNS0_16asin_kernel_cudaERNS_18TensorIteratorBaseEENKUlvE_clEvENKUlvE1_clEvEUlN3c107complexINS7_4HalfEEEE_EEvS4_RKT_EUlibE_EEviT1_
	.p2align	8
	.type	_ZN2at6native32elementwise_kernel_manual_unrollILi128ELi4EZNS0_15gpu_kernel_implIZZZNS0_16asin_kernel_cudaERNS_18TensorIteratorBaseEENKUlvE_clEvENKUlvE1_clEvEUlN3c107complexINS7_4HalfEEEE_EEvS4_RKT_EUlibE_EEviT1_,@function
_ZN2at6native32elementwise_kernel_manual_unrollILi128ELi4EZNS0_15gpu_kernel_implIZZZNS0_16asin_kernel_cudaERNS_18TensorIteratorBaseEENKUlvE_clEvENKUlvE1_clEvEUlN3c107complexINS7_4HalfEEEE_EEvS4_RKT_EUlibE_EEviT1_: ; @_ZN2at6native32elementwise_kernel_manual_unrollILi128ELi4EZNS0_15gpu_kernel_implIZZZNS0_16asin_kernel_cudaERNS_18TensorIteratorBaseEENKUlvE_clEvENKUlvE1_clEvEUlN3c107complexINS7_4HalfEEEE_EEvS4_RKT_EUlibE_EEviT1_
; %bb.0:
	v_mov_b32_e32 v1, 0
	global_load_ushort v1, v1, s[4:5] offset:33
	s_load_dword s54, s[4:5], 0x0
	s_load_dwordx2 s[28:29], s[4:5], 0x18
	s_load_dwordx4 s[36:39], s[4:5], 0x8
	s_add_u32 flat_scratch_lo, s6, s9
	s_addc_u32 flat_scratch_hi, s7, 0
	v_lshl_or_b32 v20, s8, 9, v0
	s_add_u32 s0, s0, s9
	v_mov_b32_e32 v2, 8
	v_or_b32_e32 v25, 0x180, v20
	s_addc_u32 s1, s1, 0
	s_mov_b64 s[34:35], 0
	s_waitcnt lgkmcnt(0)
	v_cmp_le_i32_e32 vcc, s54, v25
	s_mov_b64 s[42:43], 0
	s_mov_b32 s32, 0
	s_waitcnt vmcnt(0)
	v_readfirstlane_b32 s33, v1
	v_lshrrev_b32_sdwa v21, v2, v1 dst_sel:DWORD dst_unused:UNUSED_PAD src0_sel:DWORD src1_sel:WORD_0
	s_and_saveexec_b64 s[4:5], vcc
	s_xor_b64 s[40:41], exec, s[4:5]
	s_cbranch_execz .LBB30_508
; %bb.1:
	v_cmp_gt_i32_e32 vcc, s54, v20
	s_mov_b64 s[4:5], -1
	s_mov_b64 s[48:49], 0
	s_and_saveexec_b64 s[44:45], vcc
	s_cbranch_execz .LBB30_124
; %bb.2:
	s_getpc_b64 s[4:5]
	s_add_u32 s4, s4, _ZN2at6native6invokeIZZZNS0_16asin_kernel_cudaERNS_18TensorIteratorBaseEENKUlvE_clEvENKUlvE1_clEvEUlN3c107complexINS6_4HalfEEEE_i15function_traitsISA_EEENT1_11result_typeERKT_PrKPcPKT0_PKNS6_10ScalarTypeEi@rel32@lo+4
	s_addc_u32 s5, s5, _ZN2at6native6invokeIZZZNS0_16asin_kernel_cudaERNS_18TensorIteratorBaseEENKUlvE_clEvENKUlvE1_clEvEUlN3c107complexINS6_4HalfEEEE_i15function_traitsISA_EEENT1_11result_typeERKT_PrKPcPKT0_PKNS6_10ScalarTypeEi@rel32@hi+12
	v_mov_b32_e32 v0, s38
	v_mov_b32_e32 v1, s39
	;; [unrolled: 1-line block ×5, first 2 shown]
	s_swappc_b64 s[30:31], s[4:5]
	v_mul_lo_u32 v1, v20, s28
	v_mov_b32_e32 v2, s37
	s_and_b32 s12, s33, 0xff
	s_cmp_lt_i32 s12, 11
	v_ashrrev_i32_e32 v3, 31, v1
	v_add_co_u32_e32 v1, vcc, s36, v1
	v_addc_co_u32_e32 v2, vcc, v2, v3, vcc
	s_cbranch_scc1 .LBB30_9
; %bb.3:
	s_and_b32 s13, 0xffff, s12
	s_cmp_gt_i32 s13, 25
	s_cbranch_scc0 .LBB30_12
; %bb.4:
	s_cmp_gt_i32 s13, 28
	s_cbranch_scc0 .LBB30_13
; %bb.5:
	;; [unrolled: 3-line block ×4, first 2 shown]
	s_mov_b64 s[8:9], 0
	s_mov_b64 s[4:5], -1
	s_cmp_eq_u32 s13, 46
	s_mov_b64 s[6:7], 0
	s_cbranch_scc0 .LBB30_16
; %bb.8:
	v_cvt_f32_f16_sdwa v4, v0 dst_sel:DWORD dst_unused:UNUSED_PAD src0_sel:WORD_1
	v_cvt_f32_f16_e32 v3, v0
	s_movk_i32 s4, 0x7fff
	v_cmp_o_f16_sdwa vcc, v0, v0 src0_sel:WORD_1 src1_sel:WORD_1
	v_bfe_u32 v6, v4, 16, 1
	v_bfe_u32 v5, v3, 16, 1
	v_add3_u32 v4, v4, v6, s4
	v_add3_u32 v3, v3, v5, s4
	v_and_b32_e32 v4, 0xffff0000, v4
	v_mov_b32_e32 v5, 0x7fc00000
	v_cndmask_b32_e32 v4, v5, v4, vcc
	v_cmp_o_f16_e32 vcc, v0, v0
	v_mov_b32_e32 v5, 0x7fc0
	v_cndmask_b32_sdwa v3, v5, v3, vcc dst_sel:DWORD dst_unused:UNUSED_PAD src0_sel:DWORD src1_sel:WORD_1
	v_or_b32_e32 v3, v4, v3
	global_store_dword v[1:2], v3, off
	s_mov_b64 s[6:7], -1
	s_mov_b64 s[4:5], 0
	s_branch .LBB30_16
.LBB30_9:
	s_mov_b64 s[4:5], 0
	s_mov_b64 s[6:7], 0
	s_cbranch_execnz .LBB30_84
.LBB30_10:
	s_andn2_b64 vcc, exec, s[6:7]
	s_cbranch_vccnz .LBB30_122
.LBB30_11:
	v_add_u32_e32 v20, 0x80, v20
	s_mov_b64 s[6:7], -1
	s_branch .LBB30_123
.LBB30_12:
	s_mov_b64 s[4:5], 0
	s_mov_b64 s[6:7], 0
	s_cbranch_execnz .LBB30_43
	s_branch .LBB30_83
.LBB30_13:
	s_mov_b64 s[8:9], -1
	s_mov_b64 s[4:5], 0
	s_mov_b64 s[6:7], 0
	s_branch .LBB30_26
.LBB30_14:
	s_mov_b64 s[8:9], -1
	s_mov_b64 s[4:5], 0
	s_mov_b64 s[6:7], 0
	s_branch .LBB30_22
.LBB30_15:
	s_mov_b64 s[8:9], -1
	s_mov_b64 s[4:5], 0
	s_mov_b64 s[6:7], 0
.LBB30_16:
	s_and_b64 vcc, exec, s[8:9]
	s_cbranch_vccz .LBB30_21
; %bb.17:
	s_cmp_eq_u32 s13, 44
	s_mov_b64 s[4:5], -1
	s_cbranch_scc0 .LBB30_21
; %bb.18:
	v_cvt_f32_f16_e32 v3, v0
	s_movk_i32 s4, 0xff
	v_mov_b32_e32 v5, 0xff
	v_bfe_u32 v4, v3, 23, 8
	v_cmp_ne_u32_e32 vcc, s4, v4
	s_and_saveexec_b64 s[6:7], vcc
; %bb.19:
	s_mov_b32 s4, 0x3fffff
	v_lshrrev_b32_e32 v5, 23, v3
	v_and_b32_e32 v6, 0x400000, v3
	v_and_or_b32 v3, v3, s4, v4
	v_cmp_ne_u32_e32 vcc, 0, v6
	v_cmp_ne_u32_e64 s[4:5], 0, v3
	s_and_b64 s[4:5], vcc, s[4:5]
	v_cndmask_b32_e64 v3, 0, 1, s[4:5]
	v_add_u32_e32 v5, v5, v3
; %bb.20:
	s_or_b64 exec, exec, s[6:7]
	s_mov_b64 s[6:7], -1
	s_mov_b64 s[4:5], 0
	global_store_byte v[1:2], v5, off
.LBB30_21:
	s_mov_b64 s[8:9], 0
.LBB30_22:
	s_and_b64 vcc, exec, s[8:9]
	s_cbranch_vccz .LBB30_25
; %bb.23:
	s_cmp_eq_u32 s13, 29
	s_mov_b64 s[4:5], -1
	s_cbranch_scc0 .LBB30_25
; %bb.24:
	v_cvt_f32_f16_e32 v3, v0
	v_mov_b32_e32 v4, 0
	s_mov_b64 s[6:7], -1
	s_mov_b64 s[4:5], 0
	v_cvt_u32_f32_e32 v3, v3
	s_mov_b64 s[8:9], 0
	global_store_dwordx2 v[1:2], v[3:4], off
	s_branch .LBB30_26
.LBB30_25:
	s_mov_b64 s[8:9], 0
.LBB30_26:
	s_and_b64 vcc, exec, s[8:9]
	s_cbranch_vccz .LBB30_42
; %bb.27:
	s_cmp_lt_i32 s13, 27
	s_mov_b64 s[6:7], -1
	s_cbranch_scc1 .LBB30_33
; %bb.28:
	s_cmp_gt_i32 s13, 27
	s_cbranch_scc0 .LBB30_30
; %bb.29:
	v_cvt_f32_f16_e32 v3, v0
	s_mov_b64 s[6:7], 0
	v_cvt_u32_f32_e32 v3, v3
	global_store_dword v[1:2], v3, off
.LBB30_30:
	s_andn2_b64 vcc, exec, s[6:7]
	s_cbranch_vccnz .LBB30_32
; %bb.31:
	v_cvt_u16_f16_e32 v3, v0
	global_store_short v[1:2], v3, off
.LBB30_32:
	s_mov_b64 s[6:7], 0
.LBB30_33:
	s_andn2_b64 vcc, exec, s[6:7]
	s_cbranch_vccnz .LBB30_41
; %bb.34:
	v_cvt_f32_f16_e32 v3, v0
	s_mov_b32 s6, 0x43800000
	v_mov_b32_e32 v5, 0x80
	v_and_b32_e32 v4, 0x7fffffff, v3
	v_cmp_gt_u32_e32 vcc, s6, v4
	s_and_saveexec_b64 s[6:7], vcc
	s_cbranch_execz .LBB30_40
; %bb.35:
	s_mov_b32 s8, 0x3bffffff
	v_cmp_lt_u32_e32 vcc, s8, v4
	s_mov_b64 s[8:9], 0
                                        ; implicit-def: $vgpr4
	s_and_saveexec_b64 s[10:11], vcc
	s_xor_b64 s[10:11], exec, s[10:11]
	s_cbranch_execz .LBB30_141
; %bb.36:
	v_bfe_u32 v4, v3, 20, 1
	s_mov_b32 s14, 0x487ffff
	v_add3_u32 v4, v3, v4, s14
	s_mov_b64 s[8:9], exec
	v_lshrrev_b32_e32 v4, 20, v4
	s_andn2_saveexec_b64 s[10:11], s[10:11]
	s_cbranch_execnz .LBB30_142
.LBB30_37:
	s_or_b64 exec, exec, s[10:11]
	v_mov_b32_e32 v5, 0
	s_and_saveexec_b64 s[10:11], s[8:9]
.LBB30_38:
	v_lshrrev_b32_e32 v3, 24, v3
	s_movk_i32 s8, 0x80
	v_and_or_b32 v5, v3, s8, v4
.LBB30_39:
	s_or_b64 exec, exec, s[10:11]
.LBB30_40:
	s_or_b64 exec, exec, s[6:7]
	global_store_byte v[1:2], v5, off
.LBB30_41:
	s_mov_b64 s[6:7], -1
.LBB30_42:
	s_branch .LBB30_83
.LBB30_43:
	s_cmp_gt_i32 s13, 22
	s_mov_b64 s[8:9], -1
	s_cbranch_scc0 .LBB30_75
; %bb.44:
	s_cmp_lt_i32 s13, 24
	s_mov_b64 s[6:7], -1
	s_cbranch_scc1 .LBB30_64
; %bb.45:
	s_cmp_gt_i32 s13, 24
	s_cbranch_scc0 .LBB30_53
; %bb.46:
	v_cvt_f32_f16_e32 v3, v0
	s_mov_b32 s6, 0x47800000
	v_mov_b32_e32 v5, 0x80
	v_and_b32_e32 v4, 0x7fffffff, v3
	v_cmp_gt_u32_e32 vcc, s6, v4
	s_and_saveexec_b64 s[6:7], vcc
	s_cbranch_execz .LBB30_52
; %bb.47:
	s_mov_b32 s8, 0x37ffffff
	v_cmp_lt_u32_e32 vcc, s8, v4
	s_mov_b64 s[8:9], 0
                                        ; implicit-def: $vgpr4
	s_and_saveexec_b64 s[10:11], vcc
	s_xor_b64 s[10:11], exec, s[10:11]
	s_cbranch_execz .LBB30_144
; %bb.48:
	v_bfe_u32 v4, v3, 21, 1
	s_mov_b32 s14, 0x88fffff
	v_add3_u32 v4, v3, v4, s14
	s_mov_b64 s[8:9], exec
	v_lshrrev_b32_e32 v4, 21, v4
	s_andn2_saveexec_b64 s[10:11], s[10:11]
	s_cbranch_execnz .LBB30_145
.LBB30_49:
	s_or_b64 exec, exec, s[10:11]
	v_mov_b32_e32 v5, 0
	s_and_saveexec_b64 s[10:11], s[8:9]
.LBB30_50:
	v_lshrrev_b32_e32 v3, 24, v3
	s_movk_i32 s8, 0x80
	v_and_or_b32 v5, v3, s8, v4
.LBB30_51:
	s_or_b64 exec, exec, s[10:11]
.LBB30_52:
	s_or_b64 exec, exec, s[6:7]
	s_mov_b64 s[6:7], 0
	global_store_byte v[1:2], v5, off
.LBB30_53:
	s_and_b64 vcc, exec, s[6:7]
	s_cbranch_vccz .LBB30_63
; %bb.54:
	v_cvt_f32_f16_e32 v3, v0
	s_mov_b32 s6, 0x43f00000
                                        ; implicit-def: $vgpr4
	v_and_b32_e32 v5, 0x7fffffff, v3
	v_cmp_gt_u32_e32 vcc, s6, v5
	s_and_saveexec_b64 s[6:7], vcc
	s_xor_b64 s[6:7], exec, s[6:7]
	s_cbranch_execz .LBB30_60
; %bb.55:
	s_mov_b32 s8, 0x3c7fffff
	v_cmp_lt_u32_e32 vcc, s8, v5
                                        ; implicit-def: $vgpr4
	s_and_saveexec_b64 s[8:9], vcc
	s_xor_b64 s[8:9], exec, s[8:9]
; %bb.56:
	v_bfe_u32 v4, v3, 20, 1
	s_mov_b32 s10, 0x407ffff
	v_add3_u32 v4, v3, v4, s10
	v_lshrrev_b32_e32 v5, 20, v4
	v_and_b32_e32 v4, 0xff00000, v4
	s_mov_b32 s10, 0x7f00000
	v_mov_b32_e32 v6, 0x7e
	v_cmp_ne_u32_e32 vcc, s10, v4
	v_cndmask_b32_e32 v4, v6, v5, vcc
; %bb.57:
	s_andn2_saveexec_b64 s[8:9], s[8:9]
; %bb.58:
	s_mov_b32 s10, 0x46800000
	v_add_f32_e64 v4, |v3|, s10
; %bb.59:
	s_or_b64 exec, exec, s[8:9]
                                        ; implicit-def: $vgpr5
.LBB30_60:
	s_andn2_saveexec_b64 s[6:7], s[6:7]
; %bb.61:
	s_mov_b32 s8, 0x7f800000
	v_mov_b32_e32 v4, 0x7e
	v_mov_b32_e32 v6, 0x7f
	v_cmp_lt_u32_e32 vcc, s8, v5
	v_cndmask_b32_e32 v4, v4, v6, vcc
; %bb.62:
	s_or_b64 exec, exec, s[6:7]
	v_lshrrev_b32_e32 v3, 24, v3
	s_movk_i32 s6, 0x80
	v_and_or_b32 v3, v3, s6, v4
	global_store_byte v[1:2], v3, off
.LBB30_63:
	s_mov_b64 s[6:7], 0
.LBB30_64:
	s_andn2_b64 vcc, exec, s[6:7]
	s_cbranch_vccnz .LBB30_74
; %bb.65:
	v_cvt_f32_f16_e32 v3, v0
	s_mov_b32 s6, 0x47800000
                                        ; implicit-def: $vgpr4
	v_and_b32_e32 v5, 0x7fffffff, v3
	v_cmp_gt_u32_e32 vcc, s6, v5
	s_and_saveexec_b64 s[6:7], vcc
	s_xor_b64 s[6:7], exec, s[6:7]
	s_cbranch_execz .LBB30_71
; %bb.66:
	s_mov_b32 s8, 0x387fffff
	v_cmp_lt_u32_e32 vcc, s8, v5
                                        ; implicit-def: $vgpr4
	s_and_saveexec_b64 s[8:9], vcc
	s_xor_b64 s[8:9], exec, s[8:9]
; %bb.67:
	v_bfe_u32 v4, v3, 21, 1
	s_mov_b32 s10, 0x80fffff
	v_add3_u32 v4, v3, v4, s10
	v_lshrrev_b32_e32 v4, 21, v4
; %bb.68:
	s_andn2_saveexec_b64 s[8:9], s[8:9]
; %bb.69:
	s_mov_b32 s10, 0x43000000
	v_add_f32_e64 v4, |v3|, s10
; %bb.70:
	s_or_b64 exec, exec, s[8:9]
                                        ; implicit-def: $vgpr5
.LBB30_71:
	s_andn2_saveexec_b64 s[6:7], s[6:7]
; %bb.72:
	s_mov_b32 s8, 0x7f800000
	v_mov_b32_e32 v4, 0x7c
	v_mov_b32_e32 v6, 0x7f
	v_cmp_lt_u32_e32 vcc, s8, v5
	v_cndmask_b32_e32 v4, v4, v6, vcc
; %bb.73:
	s_or_b64 exec, exec, s[6:7]
	v_lshrrev_b32_e32 v3, 24, v3
	s_movk_i32 s6, 0x80
	v_and_or_b32 v3, v3, s6, v4
	global_store_byte v[1:2], v3, off
.LBB30_74:
	s_mov_b64 s[8:9], 0
	s_mov_b64 s[6:7], -1
.LBB30_75:
	s_andn2_b64 vcc, exec, s[8:9]
	s_cbranch_vccnz .LBB30_83
; %bb.76:
	s_cmp_gt_i32 s13, 14
	s_mov_b64 s[8:9], -1
	s_cbranch_scc0 .LBB30_80
; %bb.77:
	s_cmp_eq_u32 s13, 15
	s_mov_b64 s[4:5], -1
	s_cbranch_scc0 .LBB30_79
; %bb.78:
	v_cvt_f32_f16_e32 v3, v0
	s_movk_i32 s4, 0x7fff
	v_cmp_o_f16_e32 vcc, v0, v0
	v_mov_b32_e32 v4, 0x7fc0
	v_bfe_u32 v5, v3, 16, 1
	v_add3_u32 v3, v3, v5, s4
	v_cndmask_b32_sdwa v3, v4, v3, vcc dst_sel:DWORD dst_unused:UNUSED_PAD src0_sel:DWORD src1_sel:WORD_1
	global_store_short v[1:2], v3, off
	s_mov_b64 s[6:7], -1
	s_mov_b64 s[4:5], 0
.LBB30_79:
	s_mov_b64 s[8:9], 0
.LBB30_80:
	s_and_b64 vcc, exec, s[8:9]
	s_cbranch_vccz .LBB30_83
; %bb.81:
	s_cmp_eq_u32 s13, 11
	s_mov_b64 s[4:5], -1
	s_cbranch_scc0 .LBB30_83
; %bb.82:
	v_and_b32_e32 v3, 0x7fff7fff, v0
	v_cmp_ne_u32_e32 vcc, 0, v3
	v_cndmask_b32_e64 v3, 0, 1, vcc
	s_mov_b64 s[6:7], -1
	s_mov_b64 s[4:5], 0
	global_store_byte v[1:2], v3, off
.LBB30_83:
	s_branch .LBB30_10
.LBB30_84:
	s_and_b32 s8, 0xffff, s12
	s_cmp_lt_i32 s8, 5
	s_mov_b64 s[6:7], -1
	s_cbranch_scc1 .LBB30_105
; %bb.85:
	s_cmp_lt_i32 s8, 8
	s_cbranch_scc1 .LBB30_95
; %bb.86:
	s_cmp_lt_i32 s8, 9
	s_cbranch_scc1 .LBB30_92
; %bb.87:
	v_cvt_f32_f16_sdwa v4, v0 dst_sel:DWORD dst_unused:UNUSED_PAD src0_sel:WORD_1
	s_cmp_gt_i32 s8, 9
	s_cbranch_scc0 .LBB30_89
; %bb.88:
	v_cvt_f32_f16_e32 v3, v0
	v_cvt_f64_f32_e32 v[7:8], v4
	s_mov_b64 s[6:7], 0
	v_cvt_f64_f32_e32 v[5:6], v3
	global_store_dwordx4 v[1:2], v[5:8], off
.LBB30_89:
	s_andn2_b64 vcc, exec, s[6:7]
	s_cbranch_vccnz .LBB30_91
; %bb.90:
	v_cvt_f32_f16_e32 v3, v0
	global_store_dwordx2 v[1:2], v[3:4], off
.LBB30_91:
	s_mov_b64 s[6:7], 0
.LBB30_92:
	s_andn2_b64 vcc, exec, s[6:7]
	s_cbranch_vccnz .LBB30_94
; %bb.93:
	global_store_dword v[1:2], v0, off
.LBB30_94:
	s_mov_b64 s[6:7], 0
.LBB30_95:
	s_andn2_b64 vcc, exec, s[6:7]
	s_cbranch_vccnz .LBB30_104
; %bb.96:
	s_cmp_lt_i32 s8, 6
	s_mov_b64 s[6:7], -1
	s_cbranch_scc1 .LBB30_102
; %bb.97:
	s_cmp_gt_i32 s8, 6
	s_cbranch_scc0 .LBB30_99
; %bb.98:
	v_cvt_f32_f16_e32 v3, v0
	s_mov_b64 s[6:7], 0
	v_cvt_f64_f32_e32 v[3:4], v3
	global_store_dwordx2 v[1:2], v[3:4], off
.LBB30_99:
	s_andn2_b64 vcc, exec, s[6:7]
	s_cbranch_vccnz .LBB30_101
; %bb.100:
	v_cvt_f32_f16_e32 v3, v0
	global_store_dword v[1:2], v3, off
.LBB30_101:
	s_mov_b64 s[6:7], 0
.LBB30_102:
	s_andn2_b64 vcc, exec, s[6:7]
	s_cbranch_vccnz .LBB30_104
; %bb.103:
	global_store_short v[1:2], v0, off
.LBB30_104:
	s_mov_b64 s[6:7], 0
.LBB30_105:
	s_andn2_b64 vcc, exec, s[6:7]
	s_cbranch_vccnz .LBB30_121
; %bb.106:
	s_cmp_lt_i32 s8, 2
	s_mov_b64 s[6:7], -1
	s_cbranch_scc1 .LBB30_116
; %bb.107:
	s_cmp_lt_i32 s8, 3
	s_cbranch_scc1 .LBB30_113
; %bb.108:
	s_cmp_gt_i32 s8, 3
	s_cbranch_scc0 .LBB30_110
; %bb.109:
	v_cvt_f32_f16_e32 v3, v0
	s_mov_b64 s[6:7], 0
	v_cvt_i32_f32_e32 v3, v3
	v_ashrrev_i32_e32 v4, 31, v3
	global_store_dwordx2 v[1:2], v[3:4], off
.LBB30_110:
	s_andn2_b64 vcc, exec, s[6:7]
	s_cbranch_vccnz .LBB30_112
; %bb.111:
	v_cvt_f32_f16_e32 v3, v0
	v_cvt_i32_f32_e32 v3, v3
	global_store_dword v[1:2], v3, off
.LBB30_112:
	s_mov_b64 s[6:7], 0
.LBB30_113:
	s_andn2_b64 vcc, exec, s[6:7]
	s_cbranch_vccnz .LBB30_115
; %bb.114:
	v_cvt_i16_f16_e32 v3, v0
	global_store_short v[1:2], v3, off
.LBB30_115:
	s_mov_b64 s[6:7], 0
.LBB30_116:
	s_andn2_b64 vcc, exec, s[6:7]
	s_cbranch_vccnz .LBB30_121
; %bb.117:
	s_cmp_gt_i32 s8, 0
	s_mov_b64 s[6:7], -1
	s_cbranch_scc0 .LBB30_119
; %bb.118:
	v_cvt_i16_f16_e32 v3, v0
	global_store_byte v[1:2], v3, off
	s_mov_b64 s[6:7], 0
.LBB30_119:
	s_andn2_b64 vcc, exec, s[6:7]
	s_cbranch_vccnz .LBB30_121
; %bb.120:
	v_cvt_f32_f16_e32 v0, v0
	v_cvt_i32_f32_e32 v0, v0
	global_store_byte v[1:2], v0, off
.LBB30_121:
	s_branch .LBB30_11
.LBB30_122:
	s_mov_b64 s[6:7], 0
                                        ; implicit-def: $vgpr20
.LBB30_123:
	s_and_b64 s[42:43], s[4:5], exec
	s_orn2_b64 s[4:5], s[6:7], exec
.LBB30_124:
	s_or_b64 exec, exec, s[44:45]
	s_mov_b64 s[6:7], 0
                                        ; implicit-def: $sgpr14
                                        ; implicit-def: $vgpr1_vgpr2
                                        ; implicit-def: $vgpr0
	s_and_saveexec_b64 s[44:45], s[4:5]
	s_cbranch_execz .LBB30_133
; %bb.125:
	v_cmp_gt_i32_e32 vcc, s54, v20
	s_mov_b64 s[8:9], -1
	s_mov_b64 s[46:47], s[42:43]
	s_and_saveexec_b64 s[48:49], vcc
	s_cbranch_execz .LBB30_256
; %bb.126:
	s_getpc_b64 s[4:5]
	s_add_u32 s4, s4, _ZN2at6native6invokeIZZZNS0_16asin_kernel_cudaERNS_18TensorIteratorBaseEENKUlvE_clEvENKUlvE1_clEvEUlN3c107complexINS6_4HalfEEEE_i15function_traitsISA_EEENT1_11result_typeERKT_PrKPcPKT0_PKNS6_10ScalarTypeEi@rel32@lo+4
	s_addc_u32 s5, s5, _ZN2at6native6invokeIZZZNS0_16asin_kernel_cudaERNS_18TensorIteratorBaseEENKUlvE_clEvENKUlvE1_clEvEUlN3c107complexINS6_4HalfEEEE_i15function_traitsISA_EEENT1_11result_typeERKT_PrKPcPKT0_PKNS6_10ScalarTypeEi@rel32@hi+12
	v_mov_b32_e32 v0, s38
	v_mov_b32_e32 v1, s39
	;; [unrolled: 1-line block ×5, first 2 shown]
	s_swappc_b64 s[30:31], s[4:5]
	v_mul_lo_u32 v1, v20, s28
	v_mov_b32_e32 v2, s37
	s_and_b32 s12, s33, 0xff
	s_cmp_lt_i32 s12, 11
	v_ashrrev_i32_e32 v3, 31, v1
	v_add_co_u32_e32 v1, vcc, s36, v1
	v_addc_co_u32_e32 v2, vcc, v2, v3, vcc
	s_cbranch_scc1 .LBB30_136
; %bb.127:
	s_and_b32 s13, 0xffff, s12
	s_cmp_gt_i32 s13, 25
	s_cbranch_scc0 .LBB30_139
; %bb.128:
	s_cmp_gt_i32 s13, 28
	s_cbranch_scc0 .LBB30_140
; %bb.129:
	;; [unrolled: 3-line block ×4, first 2 shown]
	s_mov_b64 s[8:9], 0
	s_mov_b64 s[4:5], -1
	s_cmp_eq_u32 s13, 46
	s_mov_b64 s[6:7], 0
	s_cbranch_scc0 .LBB30_147
; %bb.132:
	v_cvt_f32_f16_sdwa v4, v0 dst_sel:DWORD dst_unused:UNUSED_PAD src0_sel:WORD_1
	v_cvt_f32_f16_e32 v3, v0
	s_movk_i32 s4, 0x7fff
	v_cmp_o_f16_sdwa vcc, v0, v0 src0_sel:WORD_1 src1_sel:WORD_1
	v_bfe_u32 v6, v4, 16, 1
	v_bfe_u32 v5, v3, 16, 1
	v_add3_u32 v4, v4, v6, s4
	v_add3_u32 v3, v3, v5, s4
	v_and_b32_e32 v4, 0xffff0000, v4
	v_mov_b32_e32 v5, 0x7fc00000
	v_cndmask_b32_e32 v4, v5, v4, vcc
	v_cmp_o_f16_e32 vcc, v0, v0
	v_mov_b32_e32 v5, 0x7fc0
	v_cndmask_b32_sdwa v3, v5, v3, vcc dst_sel:DWORD dst_unused:UNUSED_PAD src0_sel:DWORD src1_sel:WORD_1
	v_or_b32_e32 v3, v4, v3
	global_store_dword v[1:2], v3, off
	s_mov_b64 s[6:7], -1
	s_mov_b64 s[4:5], 0
	s_branch .LBB30_147
.LBB30_133:
	s_or_b64 exec, exec, s[44:45]
	s_mov_b64 s[4:5], 0
	s_and_saveexec_b64 s[8:9], s[42:43]
	s_cbranch_execnz .LBB30_468
.LBB30_134:
	s_or_b64 exec, exec, s[8:9]
	s_and_saveexec_b64 s[8:9], s[48:49]
	s_xor_b64 s[8:9], exec, s[8:9]
	s_cbranch_execz .LBB30_469
.LBB30_135:
	v_and_b32_e32 v3, 0x7fff7fff, v0
	v_cmp_ne_u32_e32 vcc, 0, v3
	v_cndmask_b32_e64 v3, 0, 1, vcc
	global_store_byte v[1:2], v3, off
	s_or_b64 exec, exec, s[8:9]
	s_and_saveexec_b64 s[8:9], s[6:7]
	s_xor_b64 s[6:7], exec, s[8:9]
	s_cbranch_execz .LBB30_507
	s_branch .LBB30_470
.LBB30_136:
	s_mov_b64 s[6:7], 0
	s_mov_b64 s[4:5], s[42:43]
	s_cbranch_execnz .LBB30_216
.LBB30_137:
	s_andn2_b64 vcc, exec, s[6:7]
	s_cbranch_vccnz .LBB30_254
.LBB30_138:
	v_add_u32_e32 v20, 0x80, v20
	s_mov_b64 s[6:7], -1
	s_branch .LBB30_255
.LBB30_139:
	s_mov_b64 s[8:9], -1
	s_mov_b64 s[6:7], 0
	s_mov_b64 s[4:5], s[42:43]
	s_branch .LBB30_174
.LBB30_140:
	s_mov_b64 s[8:9], -1
	s_mov_b64 s[6:7], 0
	s_mov_b64 s[4:5], s[42:43]
	s_branch .LBB30_157
.LBB30_141:
	s_andn2_saveexec_b64 s[10:11], s[10:11]
	s_cbranch_execz .LBB30_37
.LBB30_142:
	s_mov_b32 s14, 0x46000000
	v_add_f32_e64 v4, |v3|, s14
	v_and_b32_e32 v4, 0xff, v4
	v_cmp_ne_u32_e32 vcc, 0, v4
	s_andn2_b64 s[8:9], s[8:9], exec
	s_and_b64 s[14:15], vcc, exec
	s_or_b64 s[8:9], s[8:9], s[14:15]
	s_or_b64 exec, exec, s[10:11]
	v_mov_b32_e32 v5, 0
	s_and_saveexec_b64 s[10:11], s[8:9]
	s_cbranch_execnz .LBB30_38
	s_branch .LBB30_39
.LBB30_143:
	s_mov_b64 s[8:9], -1
	s_mov_b64 s[6:7], 0
	s_mov_b64 s[4:5], s[42:43]
	s_branch .LBB30_153
.LBB30_144:
	s_andn2_saveexec_b64 s[10:11], s[10:11]
	s_cbranch_execz .LBB30_49
.LBB30_145:
	s_mov_b32 s14, 0x42800000
	v_add_f32_e64 v4, |v3|, s14
	v_and_b32_e32 v4, 0xff, v4
	v_cmp_ne_u32_e32 vcc, 0, v4
	s_andn2_b64 s[8:9], s[8:9], exec
	s_and_b64 s[14:15], vcc, exec
	s_or_b64 s[8:9], s[8:9], s[14:15]
	s_or_b64 exec, exec, s[10:11]
	v_mov_b32_e32 v5, 0
	s_and_saveexec_b64 s[10:11], s[8:9]
	s_cbranch_execnz .LBB30_50
	s_branch .LBB30_51
.LBB30_146:
	s_mov_b64 s[8:9], -1
	s_mov_b64 s[6:7], 0
	s_mov_b64 s[4:5], s[42:43]
.LBB30_147:
	s_and_b64 vcc, exec, s[8:9]
	s_cbranch_vccz .LBB30_152
; %bb.148:
	s_cmp_eq_u32 s13, 44
	s_mov_b64 s[4:5], -1
	s_cbranch_scc0 .LBB30_152
; %bb.149:
	v_cvt_f32_f16_e32 v3, v0
	s_movk_i32 s4, 0xff
	v_mov_b32_e32 v5, 0xff
	v_bfe_u32 v4, v3, 23, 8
	v_cmp_ne_u32_e32 vcc, s4, v4
	s_and_saveexec_b64 s[6:7], vcc
; %bb.150:
	s_mov_b32 s4, 0x3fffff
	v_lshrrev_b32_e32 v5, 23, v3
	v_and_b32_e32 v6, 0x400000, v3
	v_and_or_b32 v3, v3, s4, v4
	v_cmp_ne_u32_e32 vcc, 0, v6
	v_cmp_ne_u32_e64 s[4:5], 0, v3
	s_and_b64 s[4:5], vcc, s[4:5]
	v_cndmask_b32_e64 v3, 0, 1, s[4:5]
	v_add_u32_e32 v5, v5, v3
; %bb.151:
	s_or_b64 exec, exec, s[6:7]
	s_mov_b64 s[6:7], -1
	s_mov_b64 s[4:5], 0
	global_store_byte v[1:2], v5, off
.LBB30_152:
	s_mov_b64 s[8:9], 0
.LBB30_153:
	s_and_b64 vcc, exec, s[8:9]
	s_cbranch_vccz .LBB30_156
; %bb.154:
	s_cmp_eq_u32 s13, 29
	s_mov_b64 s[4:5], -1
	s_cbranch_scc0 .LBB30_156
; %bb.155:
	v_cvt_f32_f16_e32 v3, v0
	v_mov_b32_e32 v4, 0
	s_mov_b64 s[6:7], -1
	s_mov_b64 s[4:5], 0
	v_cvt_u32_f32_e32 v3, v3
	s_mov_b64 s[8:9], 0
	global_store_dwordx2 v[1:2], v[3:4], off
	s_branch .LBB30_157
.LBB30_156:
	s_mov_b64 s[8:9], 0
.LBB30_157:
	s_and_b64 vcc, exec, s[8:9]
	s_cbranch_vccz .LBB30_173
; %bb.158:
	s_cmp_lt_i32 s13, 27
	s_mov_b64 s[6:7], -1
	s_cbranch_scc1 .LBB30_164
; %bb.159:
	s_cmp_gt_i32 s13, 27
	s_cbranch_scc0 .LBB30_161
; %bb.160:
	v_cvt_f32_f16_e32 v3, v0
	s_mov_b64 s[6:7], 0
	v_cvt_u32_f32_e32 v3, v3
	global_store_dword v[1:2], v3, off
.LBB30_161:
	s_andn2_b64 vcc, exec, s[6:7]
	s_cbranch_vccnz .LBB30_163
; %bb.162:
	v_cvt_u16_f16_e32 v3, v0
	global_store_short v[1:2], v3, off
.LBB30_163:
	s_mov_b64 s[6:7], 0
.LBB30_164:
	s_andn2_b64 vcc, exec, s[6:7]
	s_cbranch_vccnz .LBB30_172
; %bb.165:
	v_cvt_f32_f16_e32 v3, v0
	s_mov_b32 s6, 0x43800000
	v_mov_b32_e32 v5, 0x80
	v_and_b32_e32 v4, 0x7fffffff, v3
	v_cmp_gt_u32_e32 vcc, s6, v4
	s_and_saveexec_b64 s[6:7], vcc
	s_cbranch_execz .LBB30_171
; %bb.166:
	s_mov_b32 s8, 0x3bffffff
	v_cmp_lt_u32_e32 vcc, s8, v4
	s_mov_b64 s[8:9], 0
                                        ; implicit-def: $vgpr4
	s_and_saveexec_b64 s[10:11], vcc
	s_xor_b64 s[10:11], exec, s[10:11]
	s_cbranch_execz .LBB30_268
; %bb.167:
	v_bfe_u32 v4, v3, 20, 1
	s_mov_b32 s14, 0x487ffff
	v_add3_u32 v4, v3, v4, s14
	s_mov_b64 s[8:9], exec
	v_lshrrev_b32_e32 v4, 20, v4
	s_andn2_saveexec_b64 s[10:11], s[10:11]
	s_cbranch_execnz .LBB30_269
.LBB30_168:
	s_or_b64 exec, exec, s[10:11]
	v_mov_b32_e32 v5, 0
	s_and_saveexec_b64 s[10:11], s[8:9]
.LBB30_169:
	v_lshrrev_b32_e32 v3, 24, v3
	s_movk_i32 s8, 0x80
	v_and_or_b32 v5, v3, s8, v4
.LBB30_170:
	s_or_b64 exec, exec, s[10:11]
.LBB30_171:
	s_or_b64 exec, exec, s[6:7]
	global_store_byte v[1:2], v5, off
.LBB30_172:
	s_mov_b64 s[6:7], -1
.LBB30_173:
	s_mov_b64 s[8:9], 0
.LBB30_174:
	s_and_b64 vcc, exec, s[8:9]
	s_cbranch_vccz .LBB30_215
; %bb.175:
	s_cmp_gt_i32 s13, 22
	s_mov_b64 s[8:9], -1
	s_cbranch_scc0 .LBB30_207
; %bb.176:
	s_cmp_lt_i32 s13, 24
	s_mov_b64 s[6:7], -1
	s_cbranch_scc1 .LBB30_196
; %bb.177:
	s_cmp_gt_i32 s13, 24
	s_cbranch_scc0 .LBB30_185
; %bb.178:
	v_cvt_f32_f16_e32 v3, v0
	s_mov_b32 s6, 0x47800000
	v_mov_b32_e32 v5, 0x80
	v_and_b32_e32 v4, 0x7fffffff, v3
	v_cmp_gt_u32_e32 vcc, s6, v4
	s_and_saveexec_b64 s[6:7], vcc
	s_cbranch_execz .LBB30_184
; %bb.179:
	s_mov_b32 s8, 0x37ffffff
	v_cmp_lt_u32_e32 vcc, s8, v4
	s_mov_b64 s[8:9], 0
                                        ; implicit-def: $vgpr4
	s_and_saveexec_b64 s[10:11], vcc
	s_xor_b64 s[10:11], exec, s[10:11]
	s_cbranch_execz .LBB30_271
; %bb.180:
	v_bfe_u32 v4, v3, 21, 1
	s_mov_b32 s14, 0x88fffff
	v_add3_u32 v4, v3, v4, s14
	s_mov_b64 s[8:9], exec
	v_lshrrev_b32_e32 v4, 21, v4
	s_andn2_saveexec_b64 s[10:11], s[10:11]
	s_cbranch_execnz .LBB30_272
.LBB30_181:
	s_or_b64 exec, exec, s[10:11]
	v_mov_b32_e32 v5, 0
	s_and_saveexec_b64 s[10:11], s[8:9]
.LBB30_182:
	v_lshrrev_b32_e32 v3, 24, v3
	s_movk_i32 s8, 0x80
	v_and_or_b32 v5, v3, s8, v4
.LBB30_183:
	s_or_b64 exec, exec, s[10:11]
.LBB30_184:
	s_or_b64 exec, exec, s[6:7]
	s_mov_b64 s[6:7], 0
	global_store_byte v[1:2], v5, off
.LBB30_185:
	s_and_b64 vcc, exec, s[6:7]
	s_cbranch_vccz .LBB30_195
; %bb.186:
	v_cvt_f32_f16_e32 v3, v0
	s_mov_b32 s6, 0x43f00000
                                        ; implicit-def: $vgpr4
	v_and_b32_e32 v5, 0x7fffffff, v3
	v_cmp_gt_u32_e32 vcc, s6, v5
	s_and_saveexec_b64 s[6:7], vcc
	s_xor_b64 s[6:7], exec, s[6:7]
	s_cbranch_execz .LBB30_192
; %bb.187:
	s_mov_b32 s8, 0x3c7fffff
	v_cmp_lt_u32_e32 vcc, s8, v5
                                        ; implicit-def: $vgpr4
	s_and_saveexec_b64 s[8:9], vcc
	s_xor_b64 s[8:9], exec, s[8:9]
; %bb.188:
	v_bfe_u32 v4, v3, 20, 1
	s_mov_b32 s10, 0x407ffff
	v_add3_u32 v4, v3, v4, s10
	v_lshrrev_b32_e32 v5, 20, v4
	v_and_b32_e32 v4, 0xff00000, v4
	s_mov_b32 s10, 0x7f00000
	v_mov_b32_e32 v6, 0x7e
	v_cmp_ne_u32_e32 vcc, s10, v4
	v_cndmask_b32_e32 v4, v6, v5, vcc
; %bb.189:
	s_andn2_saveexec_b64 s[8:9], s[8:9]
; %bb.190:
	s_mov_b32 s10, 0x46800000
	v_add_f32_e64 v4, |v3|, s10
; %bb.191:
	s_or_b64 exec, exec, s[8:9]
                                        ; implicit-def: $vgpr5
.LBB30_192:
	s_andn2_saveexec_b64 s[6:7], s[6:7]
; %bb.193:
	s_mov_b32 s8, 0x7f800000
	v_mov_b32_e32 v4, 0x7e
	v_mov_b32_e32 v6, 0x7f
	v_cmp_lt_u32_e32 vcc, s8, v5
	v_cndmask_b32_e32 v4, v4, v6, vcc
; %bb.194:
	s_or_b64 exec, exec, s[6:7]
	v_lshrrev_b32_e32 v3, 24, v3
	s_movk_i32 s6, 0x80
	v_and_or_b32 v3, v3, s6, v4
	global_store_byte v[1:2], v3, off
.LBB30_195:
	s_mov_b64 s[6:7], 0
.LBB30_196:
	s_andn2_b64 vcc, exec, s[6:7]
	s_cbranch_vccnz .LBB30_206
; %bb.197:
	v_cvt_f32_f16_e32 v3, v0
	s_mov_b32 s6, 0x47800000
                                        ; implicit-def: $vgpr4
	v_and_b32_e32 v5, 0x7fffffff, v3
	v_cmp_gt_u32_e32 vcc, s6, v5
	s_and_saveexec_b64 s[6:7], vcc
	s_xor_b64 s[6:7], exec, s[6:7]
	s_cbranch_execz .LBB30_203
; %bb.198:
	s_mov_b32 s8, 0x387fffff
	v_cmp_lt_u32_e32 vcc, s8, v5
                                        ; implicit-def: $vgpr4
	s_and_saveexec_b64 s[8:9], vcc
	s_xor_b64 s[8:9], exec, s[8:9]
; %bb.199:
	v_bfe_u32 v4, v3, 21, 1
	s_mov_b32 s10, 0x80fffff
	v_add3_u32 v4, v3, v4, s10
	v_lshrrev_b32_e32 v4, 21, v4
; %bb.200:
	s_andn2_saveexec_b64 s[8:9], s[8:9]
; %bb.201:
	s_mov_b32 s10, 0x43000000
	v_add_f32_e64 v4, |v3|, s10
; %bb.202:
	s_or_b64 exec, exec, s[8:9]
                                        ; implicit-def: $vgpr5
.LBB30_203:
	s_andn2_saveexec_b64 s[6:7], s[6:7]
; %bb.204:
	s_mov_b32 s8, 0x7f800000
	v_mov_b32_e32 v4, 0x7c
	v_mov_b32_e32 v6, 0x7f
	v_cmp_lt_u32_e32 vcc, s8, v5
	v_cndmask_b32_e32 v4, v4, v6, vcc
; %bb.205:
	s_or_b64 exec, exec, s[6:7]
	v_lshrrev_b32_e32 v3, 24, v3
	s_movk_i32 s6, 0x80
	v_and_or_b32 v3, v3, s6, v4
	global_store_byte v[1:2], v3, off
.LBB30_206:
	s_mov_b64 s[8:9], 0
	s_mov_b64 s[6:7], -1
.LBB30_207:
	s_andn2_b64 vcc, exec, s[8:9]
	s_cbranch_vccnz .LBB30_215
; %bb.208:
	s_cmp_gt_i32 s13, 14
	s_mov_b64 s[8:9], -1
	s_cbranch_scc0 .LBB30_212
; %bb.209:
	s_cmp_eq_u32 s13, 15
	s_mov_b64 s[4:5], -1
	s_cbranch_scc0 .LBB30_211
; %bb.210:
	v_cvt_f32_f16_e32 v3, v0
	s_movk_i32 s4, 0x7fff
	v_cmp_o_f16_e32 vcc, v0, v0
	v_mov_b32_e32 v4, 0x7fc0
	v_bfe_u32 v5, v3, 16, 1
	v_add3_u32 v3, v3, v5, s4
	v_cndmask_b32_sdwa v3, v4, v3, vcc dst_sel:DWORD dst_unused:UNUSED_PAD src0_sel:DWORD src1_sel:WORD_1
	global_store_short v[1:2], v3, off
	s_mov_b64 s[6:7], -1
	s_mov_b64 s[4:5], 0
.LBB30_211:
	s_mov_b64 s[8:9], 0
.LBB30_212:
	s_and_b64 vcc, exec, s[8:9]
	s_cbranch_vccz .LBB30_215
; %bb.213:
	s_cmp_eq_u32 s13, 11
	s_mov_b64 s[4:5], -1
	s_cbranch_scc0 .LBB30_215
; %bb.214:
	v_and_b32_e32 v3, 0x7fff7fff, v0
	v_cmp_ne_u32_e32 vcc, 0, v3
	v_cndmask_b32_e64 v3, 0, 1, vcc
	s_mov_b64 s[6:7], -1
	s_mov_b64 s[4:5], 0
	global_store_byte v[1:2], v3, off
.LBB30_215:
	s_branch .LBB30_137
.LBB30_216:
	s_and_b32 s8, 0xffff, s12
	s_cmp_lt_i32 s8, 5
	s_mov_b64 s[6:7], -1
	s_cbranch_scc1 .LBB30_237
; %bb.217:
	s_cmp_lt_i32 s8, 8
	s_cbranch_scc1 .LBB30_227
; %bb.218:
	s_cmp_lt_i32 s8, 9
	s_cbranch_scc1 .LBB30_224
; %bb.219:
	v_cvt_f32_f16_sdwa v4, v0 dst_sel:DWORD dst_unused:UNUSED_PAD src0_sel:WORD_1
	s_cmp_gt_i32 s8, 9
	s_cbranch_scc0 .LBB30_221
; %bb.220:
	v_cvt_f32_f16_e32 v3, v0
	v_cvt_f64_f32_e32 v[7:8], v4
	s_mov_b64 s[6:7], 0
	v_cvt_f64_f32_e32 v[5:6], v3
	global_store_dwordx4 v[1:2], v[5:8], off
.LBB30_221:
	s_andn2_b64 vcc, exec, s[6:7]
	s_cbranch_vccnz .LBB30_223
; %bb.222:
	v_cvt_f32_f16_e32 v3, v0
	global_store_dwordx2 v[1:2], v[3:4], off
.LBB30_223:
	s_mov_b64 s[6:7], 0
.LBB30_224:
	s_andn2_b64 vcc, exec, s[6:7]
	s_cbranch_vccnz .LBB30_226
; %bb.225:
	global_store_dword v[1:2], v0, off
.LBB30_226:
	s_mov_b64 s[6:7], 0
.LBB30_227:
	s_andn2_b64 vcc, exec, s[6:7]
	s_cbranch_vccnz .LBB30_236
; %bb.228:
	s_cmp_lt_i32 s8, 6
	s_mov_b64 s[6:7], -1
	s_cbranch_scc1 .LBB30_234
; %bb.229:
	s_cmp_gt_i32 s8, 6
	s_cbranch_scc0 .LBB30_231
; %bb.230:
	v_cvt_f32_f16_e32 v3, v0
	s_mov_b64 s[6:7], 0
	v_cvt_f64_f32_e32 v[3:4], v3
	global_store_dwordx2 v[1:2], v[3:4], off
.LBB30_231:
	s_andn2_b64 vcc, exec, s[6:7]
	s_cbranch_vccnz .LBB30_233
; %bb.232:
	v_cvt_f32_f16_e32 v3, v0
	global_store_dword v[1:2], v3, off
.LBB30_233:
	s_mov_b64 s[6:7], 0
.LBB30_234:
	s_andn2_b64 vcc, exec, s[6:7]
	s_cbranch_vccnz .LBB30_236
; %bb.235:
	global_store_short v[1:2], v0, off
.LBB30_236:
	s_mov_b64 s[6:7], 0
.LBB30_237:
	s_andn2_b64 vcc, exec, s[6:7]
	s_cbranch_vccnz .LBB30_253
; %bb.238:
	s_cmp_lt_i32 s8, 2
	s_mov_b64 s[6:7], -1
	s_cbranch_scc1 .LBB30_248
; %bb.239:
	s_cmp_lt_i32 s8, 3
	s_cbranch_scc1 .LBB30_245
; %bb.240:
	s_cmp_gt_i32 s8, 3
	s_cbranch_scc0 .LBB30_242
; %bb.241:
	v_cvt_f32_f16_e32 v3, v0
	s_mov_b64 s[6:7], 0
	v_cvt_i32_f32_e32 v3, v3
	v_ashrrev_i32_e32 v4, 31, v3
	global_store_dwordx2 v[1:2], v[3:4], off
.LBB30_242:
	s_andn2_b64 vcc, exec, s[6:7]
	s_cbranch_vccnz .LBB30_244
; %bb.243:
	v_cvt_f32_f16_e32 v3, v0
	v_cvt_i32_f32_e32 v3, v3
	global_store_dword v[1:2], v3, off
.LBB30_244:
	s_mov_b64 s[6:7], 0
.LBB30_245:
	s_andn2_b64 vcc, exec, s[6:7]
	s_cbranch_vccnz .LBB30_247
; %bb.246:
	v_cvt_i16_f16_e32 v3, v0
	global_store_short v[1:2], v3, off
.LBB30_247:
	s_mov_b64 s[6:7], 0
.LBB30_248:
	s_andn2_b64 vcc, exec, s[6:7]
	s_cbranch_vccnz .LBB30_253
; %bb.249:
	s_cmp_gt_i32 s8, 0
	s_mov_b64 s[6:7], -1
	s_cbranch_scc0 .LBB30_251
; %bb.250:
	v_cvt_i16_f16_e32 v3, v0
	s_mov_b64 s[6:7], 0
	global_store_byte v[1:2], v3, off
.LBB30_251:
	s_andn2_b64 vcc, exec, s[6:7]
	s_cbranch_vccnz .LBB30_253
; %bb.252:
	v_cvt_f32_f16_e32 v0, v0
	v_cvt_i32_f32_e32 v0, v0
	global_store_byte v[1:2], v0, off
.LBB30_253:
	s_branch .LBB30_138
.LBB30_254:
	s_mov_b64 s[6:7], 0
                                        ; implicit-def: $vgpr20
.LBB30_255:
	s_andn2_b64 s[8:9], s[42:43], exec
	s_and_b64 s[4:5], s[4:5], exec
	s_or_b64 s[46:47], s[8:9], s[4:5]
	s_orn2_b64 s[8:9], s[6:7], exec
.LBB30_256:
	s_or_b64 exec, exec, s[48:49]
	s_mov_b64 s[4:5], 0
	s_mov_b64 s[6:7], 0
                                        ; implicit-def: $sgpr14
                                        ; implicit-def: $vgpr1_vgpr2
                                        ; implicit-def: $vgpr0
	s_and_saveexec_b64 s[48:49], s[8:9]
	s_cbranch_execz .LBB30_467
; %bb.257:
	v_cmp_gt_i32_e32 vcc, s54, v20
	s_mov_b64 s[6:7], -1
	s_mov_b64 s[52:53], s[46:47]
	s_and_saveexec_b64 s[50:51], vcc
	s_cbranch_execz .LBB30_386
; %bb.258:
	s_getpc_b64 s[4:5]
	s_add_u32 s4, s4, _ZN2at6native6invokeIZZZNS0_16asin_kernel_cudaERNS_18TensorIteratorBaseEENKUlvE_clEvENKUlvE1_clEvEUlN3c107complexINS6_4HalfEEEE_i15function_traitsISA_EEENT1_11result_typeERKT_PrKPcPKT0_PKNS6_10ScalarTypeEi@rel32@lo+4
	s_addc_u32 s5, s5, _ZN2at6native6invokeIZZZNS0_16asin_kernel_cudaERNS_18TensorIteratorBaseEENKUlvE_clEvENKUlvE1_clEvEUlN3c107complexINS6_4HalfEEEE_i15function_traitsISA_EEENT1_11result_typeERKT_PrKPcPKT0_PKNS6_10ScalarTypeEi@rel32@hi+12
	v_mov_b32_e32 v0, s38
	v_mov_b32_e32 v1, s39
	;; [unrolled: 1-line block ×5, first 2 shown]
	s_swappc_b64 s[30:31], s[4:5]
	v_mul_lo_u32 v1, v20, s28
	v_mov_b32_e32 v2, s37
	s_and_b32 s12, s33, 0xff
	s_cmp_lt_i32 s12, 11
	v_ashrrev_i32_e32 v3, 31, v1
	v_add_co_u32_e32 v1, vcc, s36, v1
	v_addc_co_u32_e32 v2, vcc, v2, v3, vcc
	s_cbranch_scc1 .LBB30_265
; %bb.259:
	s_and_b32 s13, 0xffff, s12
	s_cmp_gt_i32 s13, 25
	s_cbranch_scc0 .LBB30_266
; %bb.260:
	s_cmp_gt_i32 s13, 28
	s_cbranch_scc0 .LBB30_267
; %bb.261:
	;; [unrolled: 3-line block ×4, first 2 shown]
	s_mov_b64 s[8:9], 0
	s_mov_b64 s[4:5], -1
	s_cmp_eq_u32 s13, 46
	s_mov_b64 s[6:7], 0
	s_cbranch_scc0 .LBB30_274
; %bb.264:
	v_cvt_f32_f16_sdwa v4, v0 dst_sel:DWORD dst_unused:UNUSED_PAD src0_sel:WORD_1
	v_cvt_f32_f16_e32 v3, v0
	s_movk_i32 s4, 0x7fff
	v_cmp_o_f16_sdwa vcc, v0, v0 src0_sel:WORD_1 src1_sel:WORD_1
	v_bfe_u32 v6, v4, 16, 1
	v_bfe_u32 v5, v3, 16, 1
	v_add3_u32 v4, v4, v6, s4
	v_add3_u32 v3, v3, v5, s4
	v_and_b32_e32 v4, 0xffff0000, v4
	v_mov_b32_e32 v5, 0x7fc00000
	v_cndmask_b32_e32 v4, v5, v4, vcc
	v_cmp_o_f16_e32 vcc, v0, v0
	v_mov_b32_e32 v5, 0x7fc0
	v_cndmask_b32_sdwa v3, v5, v3, vcc dst_sel:DWORD dst_unused:UNUSED_PAD src0_sel:DWORD src1_sel:WORD_1
	v_or_b32_e32 v3, v4, v3
	global_store_dword v[1:2], v3, off
	s_mov_b64 s[6:7], -1
	s_mov_b64 s[4:5], 0
	s_branch .LBB30_274
.LBB30_265:
	s_mov_b64 s[8:9], -1
	s_mov_b64 s[6:7], 0
	s_mov_b64 s[4:5], s[46:47]
	s_branch .LBB30_343
.LBB30_266:
	s_mov_b64 s[8:9], -1
	s_mov_b64 s[6:7], 0
	s_mov_b64 s[4:5], s[46:47]
	s_branch .LBB30_301
.LBB30_267:
	s_mov_b64 s[8:9], -1
	s_mov_b64 s[6:7], 0
	s_mov_b64 s[4:5], s[46:47]
	s_branch .LBB30_284
.LBB30_268:
	s_andn2_saveexec_b64 s[10:11], s[10:11]
	s_cbranch_execz .LBB30_168
.LBB30_269:
	s_mov_b32 s14, 0x46000000
	v_add_f32_e64 v4, |v3|, s14
	v_and_b32_e32 v4, 0xff, v4
	v_cmp_ne_u32_e32 vcc, 0, v4
	s_andn2_b64 s[8:9], s[8:9], exec
	s_and_b64 s[14:15], vcc, exec
	s_or_b64 s[8:9], s[8:9], s[14:15]
	s_or_b64 exec, exec, s[10:11]
	v_mov_b32_e32 v5, 0
	s_and_saveexec_b64 s[10:11], s[8:9]
	s_cbranch_execnz .LBB30_169
	s_branch .LBB30_170
.LBB30_270:
	s_mov_b64 s[8:9], -1
	s_mov_b64 s[6:7], 0
	s_mov_b64 s[4:5], s[46:47]
	s_branch .LBB30_280
.LBB30_271:
	s_andn2_saveexec_b64 s[10:11], s[10:11]
	s_cbranch_execz .LBB30_181
.LBB30_272:
	s_mov_b32 s14, 0x42800000
	v_add_f32_e64 v4, |v3|, s14
	v_and_b32_e32 v4, 0xff, v4
	v_cmp_ne_u32_e32 vcc, 0, v4
	s_andn2_b64 s[8:9], s[8:9], exec
	s_and_b64 s[14:15], vcc, exec
	s_or_b64 s[8:9], s[8:9], s[14:15]
	s_or_b64 exec, exec, s[10:11]
	v_mov_b32_e32 v5, 0
	s_and_saveexec_b64 s[10:11], s[8:9]
	s_cbranch_execnz .LBB30_182
	s_branch .LBB30_183
.LBB30_273:
	s_mov_b64 s[8:9], -1
	s_mov_b64 s[6:7], 0
	s_mov_b64 s[4:5], s[46:47]
.LBB30_274:
	s_and_b64 vcc, exec, s[8:9]
	s_cbranch_vccz .LBB30_279
; %bb.275:
	s_cmp_eq_u32 s13, 44
	s_mov_b64 s[4:5], -1
	s_cbranch_scc0 .LBB30_279
; %bb.276:
	v_cvt_f32_f16_e32 v3, v0
	s_movk_i32 s4, 0xff
	v_mov_b32_e32 v5, 0xff
	v_bfe_u32 v4, v3, 23, 8
	v_cmp_ne_u32_e32 vcc, s4, v4
	s_and_saveexec_b64 s[6:7], vcc
; %bb.277:
	s_mov_b32 s4, 0x3fffff
	v_lshrrev_b32_e32 v5, 23, v3
	v_and_b32_e32 v6, 0x400000, v3
	v_and_or_b32 v3, v3, s4, v4
	v_cmp_ne_u32_e32 vcc, 0, v6
	v_cmp_ne_u32_e64 s[4:5], 0, v3
	s_and_b64 s[4:5], vcc, s[4:5]
	v_cndmask_b32_e64 v3, 0, 1, s[4:5]
	v_add_u32_e32 v5, v5, v3
; %bb.278:
	s_or_b64 exec, exec, s[6:7]
	s_mov_b64 s[6:7], -1
	s_mov_b64 s[4:5], 0
	global_store_byte v[1:2], v5, off
.LBB30_279:
	s_mov_b64 s[8:9], 0
.LBB30_280:
	s_and_b64 vcc, exec, s[8:9]
	s_cbranch_vccz .LBB30_283
; %bb.281:
	s_cmp_eq_u32 s13, 29
	s_mov_b64 s[4:5], -1
	s_cbranch_scc0 .LBB30_283
; %bb.282:
	v_cvt_f32_f16_e32 v3, v0
	v_mov_b32_e32 v4, 0
	s_mov_b64 s[6:7], -1
	s_mov_b64 s[4:5], 0
	v_cvt_u32_f32_e32 v3, v3
	s_mov_b64 s[8:9], 0
	global_store_dwordx2 v[1:2], v[3:4], off
	s_branch .LBB30_284
.LBB30_283:
	s_mov_b64 s[8:9], 0
.LBB30_284:
	s_and_b64 vcc, exec, s[8:9]
	s_cbranch_vccz .LBB30_300
; %bb.285:
	s_cmp_lt_i32 s13, 27
	s_mov_b64 s[6:7], -1
	s_cbranch_scc1 .LBB30_291
; %bb.286:
	s_cmp_gt_i32 s13, 27
	s_cbranch_scc0 .LBB30_288
; %bb.287:
	v_cvt_f32_f16_e32 v3, v0
	s_mov_b64 s[6:7], 0
	v_cvt_u32_f32_e32 v3, v3
	global_store_dword v[1:2], v3, off
.LBB30_288:
	s_andn2_b64 vcc, exec, s[6:7]
	s_cbranch_vccnz .LBB30_290
; %bb.289:
	v_cvt_u16_f16_e32 v3, v0
	global_store_short v[1:2], v3, off
.LBB30_290:
	s_mov_b64 s[6:7], 0
.LBB30_291:
	s_andn2_b64 vcc, exec, s[6:7]
	s_cbranch_vccnz .LBB30_299
; %bb.292:
	v_cvt_f32_f16_e32 v3, v0
	s_mov_b32 s6, 0x43800000
	v_mov_b32_e32 v5, 0x80
	v_and_b32_e32 v4, 0x7fffffff, v3
	v_cmp_gt_u32_e32 vcc, s6, v4
	s_and_saveexec_b64 s[6:7], vcc
	s_cbranch_execz .LBB30_298
; %bb.293:
	s_mov_b32 s8, 0x3bffffff
	v_cmp_lt_u32_e32 vcc, s8, v4
	s_mov_b64 s[8:9], 0
                                        ; implicit-def: $vgpr4
	s_and_saveexec_b64 s[10:11], vcc
	s_xor_b64 s[10:11], exec, s[10:11]
	s_cbranch_execz .LBB30_998
; %bb.294:
	v_bfe_u32 v4, v3, 20, 1
	s_mov_b32 s14, 0x487ffff
	v_add3_u32 v4, v3, v4, s14
	s_mov_b64 s[8:9], exec
	v_lshrrev_b32_e32 v4, 20, v4
	s_andn2_saveexec_b64 s[10:11], s[10:11]
	s_cbranch_execnz .LBB30_999
.LBB30_295:
	s_or_b64 exec, exec, s[10:11]
	v_mov_b32_e32 v5, 0
	s_and_saveexec_b64 s[10:11], s[8:9]
.LBB30_296:
	v_lshrrev_b32_e32 v3, 24, v3
	s_movk_i32 s8, 0x80
	v_and_or_b32 v5, v3, s8, v4
.LBB30_297:
	s_or_b64 exec, exec, s[10:11]
.LBB30_298:
	s_or_b64 exec, exec, s[6:7]
	global_store_byte v[1:2], v5, off
.LBB30_299:
	s_mov_b64 s[6:7], -1
.LBB30_300:
	s_mov_b64 s[8:9], 0
.LBB30_301:
	s_and_b64 vcc, exec, s[8:9]
	s_cbranch_vccz .LBB30_342
; %bb.302:
	s_cmp_gt_i32 s13, 22
	s_mov_b64 s[8:9], -1
	s_cbranch_scc0 .LBB30_334
; %bb.303:
	s_cmp_lt_i32 s13, 24
	s_mov_b64 s[6:7], -1
	s_cbranch_scc1 .LBB30_323
; %bb.304:
	s_cmp_gt_i32 s13, 24
	s_cbranch_scc0 .LBB30_312
; %bb.305:
	v_cvt_f32_f16_e32 v3, v0
	s_mov_b32 s6, 0x47800000
	v_mov_b32_e32 v5, 0x80
	v_and_b32_e32 v4, 0x7fffffff, v3
	v_cmp_gt_u32_e32 vcc, s6, v4
	s_and_saveexec_b64 s[6:7], vcc
	s_cbranch_execz .LBB30_311
; %bb.306:
	s_mov_b32 s8, 0x37ffffff
	v_cmp_lt_u32_e32 vcc, s8, v4
	s_mov_b64 s[8:9], 0
                                        ; implicit-def: $vgpr4
	s_and_saveexec_b64 s[10:11], vcc
	s_xor_b64 s[10:11], exec, s[10:11]
	s_cbranch_execz .LBB30_1005
; %bb.307:
	v_bfe_u32 v4, v3, 21, 1
	s_mov_b32 s14, 0x88fffff
	v_add3_u32 v4, v3, v4, s14
	s_mov_b64 s[8:9], exec
	v_lshrrev_b32_e32 v4, 21, v4
	s_andn2_saveexec_b64 s[10:11], s[10:11]
	s_cbranch_execnz .LBB30_1006
.LBB30_308:
	s_or_b64 exec, exec, s[10:11]
	v_mov_b32_e32 v5, 0
	s_and_saveexec_b64 s[10:11], s[8:9]
.LBB30_309:
	v_lshrrev_b32_e32 v3, 24, v3
	s_movk_i32 s8, 0x80
	v_and_or_b32 v5, v3, s8, v4
.LBB30_310:
	s_or_b64 exec, exec, s[10:11]
.LBB30_311:
	s_or_b64 exec, exec, s[6:7]
	s_mov_b64 s[6:7], 0
	global_store_byte v[1:2], v5, off
.LBB30_312:
	s_and_b64 vcc, exec, s[6:7]
	s_cbranch_vccz .LBB30_322
; %bb.313:
	v_cvt_f32_f16_e32 v3, v0
	s_mov_b32 s6, 0x43f00000
                                        ; implicit-def: $vgpr4
	v_and_b32_e32 v5, 0x7fffffff, v3
	v_cmp_gt_u32_e32 vcc, s6, v5
	s_and_saveexec_b64 s[6:7], vcc
	s_xor_b64 s[6:7], exec, s[6:7]
	s_cbranch_execz .LBB30_319
; %bb.314:
	s_mov_b32 s8, 0x3c7fffff
	v_cmp_lt_u32_e32 vcc, s8, v5
                                        ; implicit-def: $vgpr4
	s_and_saveexec_b64 s[8:9], vcc
	s_xor_b64 s[8:9], exec, s[8:9]
; %bb.315:
	v_bfe_u32 v4, v3, 20, 1
	s_mov_b32 s10, 0x407ffff
	v_add3_u32 v4, v3, v4, s10
	v_lshrrev_b32_e32 v5, 20, v4
	v_and_b32_e32 v4, 0xff00000, v4
	s_mov_b32 s10, 0x7f00000
	v_mov_b32_e32 v6, 0x7e
	v_cmp_ne_u32_e32 vcc, s10, v4
	v_cndmask_b32_e32 v4, v6, v5, vcc
; %bb.316:
	s_andn2_saveexec_b64 s[8:9], s[8:9]
; %bb.317:
	s_mov_b32 s10, 0x46800000
	v_add_f32_e64 v4, |v3|, s10
; %bb.318:
	s_or_b64 exec, exec, s[8:9]
                                        ; implicit-def: $vgpr5
.LBB30_319:
	s_andn2_saveexec_b64 s[6:7], s[6:7]
; %bb.320:
	s_mov_b32 s8, 0x7f800000
	v_mov_b32_e32 v4, 0x7e
	v_mov_b32_e32 v6, 0x7f
	v_cmp_lt_u32_e32 vcc, s8, v5
	v_cndmask_b32_e32 v4, v4, v6, vcc
; %bb.321:
	s_or_b64 exec, exec, s[6:7]
	v_lshrrev_b32_e32 v3, 24, v3
	s_movk_i32 s6, 0x80
	v_and_or_b32 v3, v3, s6, v4
	global_store_byte v[1:2], v3, off
.LBB30_322:
	s_mov_b64 s[6:7], 0
.LBB30_323:
	s_andn2_b64 vcc, exec, s[6:7]
	s_cbranch_vccnz .LBB30_333
; %bb.324:
	v_cvt_f32_f16_e32 v3, v0
	s_mov_b32 s6, 0x47800000
                                        ; implicit-def: $vgpr4
	v_and_b32_e32 v5, 0x7fffffff, v3
	v_cmp_gt_u32_e32 vcc, s6, v5
	s_and_saveexec_b64 s[6:7], vcc
	s_xor_b64 s[6:7], exec, s[6:7]
	s_cbranch_execz .LBB30_330
; %bb.325:
	s_mov_b32 s8, 0x387fffff
	v_cmp_lt_u32_e32 vcc, s8, v5
                                        ; implicit-def: $vgpr4
	s_and_saveexec_b64 s[8:9], vcc
	s_xor_b64 s[8:9], exec, s[8:9]
; %bb.326:
	v_bfe_u32 v4, v3, 21, 1
	s_mov_b32 s10, 0x80fffff
	v_add3_u32 v4, v3, v4, s10
	v_lshrrev_b32_e32 v4, 21, v4
; %bb.327:
	s_andn2_saveexec_b64 s[8:9], s[8:9]
; %bb.328:
	s_mov_b32 s10, 0x43000000
	v_add_f32_e64 v4, |v3|, s10
; %bb.329:
	s_or_b64 exec, exec, s[8:9]
                                        ; implicit-def: $vgpr5
.LBB30_330:
	s_andn2_saveexec_b64 s[6:7], s[6:7]
; %bb.331:
	s_mov_b32 s8, 0x7f800000
	v_mov_b32_e32 v4, 0x7c
	v_mov_b32_e32 v6, 0x7f
	v_cmp_lt_u32_e32 vcc, s8, v5
	v_cndmask_b32_e32 v4, v4, v6, vcc
; %bb.332:
	s_or_b64 exec, exec, s[6:7]
	v_lshrrev_b32_e32 v3, 24, v3
	s_movk_i32 s6, 0x80
	v_and_or_b32 v3, v3, s6, v4
	global_store_byte v[1:2], v3, off
.LBB30_333:
	s_mov_b64 s[8:9], 0
	s_mov_b64 s[6:7], -1
.LBB30_334:
	s_andn2_b64 vcc, exec, s[8:9]
	s_cbranch_vccnz .LBB30_342
; %bb.335:
	s_cmp_gt_i32 s13, 14
	s_mov_b64 s[8:9], -1
	s_cbranch_scc0 .LBB30_339
; %bb.336:
	s_cmp_eq_u32 s13, 15
	s_mov_b64 s[4:5], -1
	s_cbranch_scc0 .LBB30_338
; %bb.337:
	v_cvt_f32_f16_e32 v3, v0
	s_movk_i32 s4, 0x7fff
	v_cmp_o_f16_e32 vcc, v0, v0
	v_mov_b32_e32 v4, 0x7fc0
	v_bfe_u32 v5, v3, 16, 1
	v_add3_u32 v3, v3, v5, s4
	v_cndmask_b32_sdwa v3, v4, v3, vcc dst_sel:DWORD dst_unused:UNUSED_PAD src0_sel:DWORD src1_sel:WORD_1
	global_store_short v[1:2], v3, off
	s_mov_b64 s[6:7], -1
	s_mov_b64 s[4:5], 0
.LBB30_338:
	s_mov_b64 s[8:9], 0
.LBB30_339:
	s_and_b64 vcc, exec, s[8:9]
	s_cbranch_vccz .LBB30_342
; %bb.340:
	s_cmp_eq_u32 s13, 11
	s_mov_b64 s[4:5], -1
	s_cbranch_scc0 .LBB30_342
; %bb.341:
	v_and_b32_e32 v3, 0x7fff7fff, v0
	v_cmp_ne_u32_e32 vcc, 0, v3
	v_cndmask_b32_e64 v3, 0, 1, vcc
	s_mov_b64 s[6:7], -1
	s_mov_b64 s[4:5], 0
	global_store_byte v[1:2], v3, off
.LBB30_342:
	s_mov_b64 s[8:9], 0
.LBB30_343:
	s_and_b64 vcc, exec, s[8:9]
	s_cbranch_vccz .LBB30_382
; %bb.344:
	s_and_b32 s8, 0xffff, s12
	s_cmp_lt_i32 s8, 5
	s_mov_b64 s[6:7], -1
	s_cbranch_scc1 .LBB30_365
; %bb.345:
	s_cmp_lt_i32 s8, 8
	s_cbranch_scc1 .LBB30_355
; %bb.346:
	s_cmp_lt_i32 s8, 9
	s_cbranch_scc1 .LBB30_352
; %bb.347:
	v_cvt_f32_f16_sdwa v4, v0 dst_sel:DWORD dst_unused:UNUSED_PAD src0_sel:WORD_1
	s_cmp_gt_i32 s8, 9
	s_cbranch_scc0 .LBB30_349
; %bb.348:
	v_cvt_f32_f16_e32 v3, v0
	v_cvt_f64_f32_e32 v[7:8], v4
	s_mov_b64 s[6:7], 0
	v_cvt_f64_f32_e32 v[5:6], v3
	global_store_dwordx4 v[1:2], v[5:8], off
.LBB30_349:
	s_andn2_b64 vcc, exec, s[6:7]
	s_cbranch_vccnz .LBB30_351
; %bb.350:
	v_cvt_f32_f16_e32 v3, v0
	global_store_dwordx2 v[1:2], v[3:4], off
.LBB30_351:
	s_mov_b64 s[6:7], 0
.LBB30_352:
	s_andn2_b64 vcc, exec, s[6:7]
	s_cbranch_vccnz .LBB30_354
; %bb.353:
	global_store_dword v[1:2], v0, off
.LBB30_354:
	s_mov_b64 s[6:7], 0
.LBB30_355:
	s_andn2_b64 vcc, exec, s[6:7]
	s_cbranch_vccnz .LBB30_364
; %bb.356:
	s_cmp_lt_i32 s8, 6
	s_mov_b64 s[6:7], -1
	s_cbranch_scc1 .LBB30_362
; %bb.357:
	s_cmp_gt_i32 s8, 6
	s_cbranch_scc0 .LBB30_359
; %bb.358:
	v_cvt_f32_f16_e32 v3, v0
	s_mov_b64 s[6:7], 0
	v_cvt_f64_f32_e32 v[3:4], v3
	global_store_dwordx2 v[1:2], v[3:4], off
.LBB30_359:
	s_andn2_b64 vcc, exec, s[6:7]
	s_cbranch_vccnz .LBB30_361
; %bb.360:
	v_cvt_f32_f16_e32 v3, v0
	global_store_dword v[1:2], v3, off
.LBB30_361:
	s_mov_b64 s[6:7], 0
.LBB30_362:
	s_andn2_b64 vcc, exec, s[6:7]
	s_cbranch_vccnz .LBB30_364
; %bb.363:
	global_store_short v[1:2], v0, off
.LBB30_364:
	s_mov_b64 s[6:7], 0
.LBB30_365:
	s_andn2_b64 vcc, exec, s[6:7]
	s_cbranch_vccnz .LBB30_381
; %bb.366:
	s_cmp_lt_i32 s8, 2
	s_mov_b64 s[6:7], -1
	s_cbranch_scc1 .LBB30_376
; %bb.367:
	s_cmp_lt_i32 s8, 3
	s_cbranch_scc1 .LBB30_373
; %bb.368:
	s_cmp_gt_i32 s8, 3
	s_cbranch_scc0 .LBB30_370
; %bb.369:
	v_cvt_f32_f16_e32 v3, v0
	s_mov_b64 s[6:7], 0
	v_cvt_i32_f32_e32 v3, v3
	v_ashrrev_i32_e32 v4, 31, v3
	global_store_dwordx2 v[1:2], v[3:4], off
.LBB30_370:
	s_andn2_b64 vcc, exec, s[6:7]
	s_cbranch_vccnz .LBB30_372
; %bb.371:
	v_cvt_f32_f16_e32 v3, v0
	v_cvt_i32_f32_e32 v3, v3
	global_store_dword v[1:2], v3, off
.LBB30_372:
	s_mov_b64 s[6:7], 0
.LBB30_373:
	s_andn2_b64 vcc, exec, s[6:7]
	s_cbranch_vccnz .LBB30_375
; %bb.374:
	v_cvt_i16_f16_e32 v3, v0
	global_store_short v[1:2], v3, off
.LBB30_375:
	s_mov_b64 s[6:7], 0
.LBB30_376:
	s_andn2_b64 vcc, exec, s[6:7]
	s_cbranch_vccnz .LBB30_381
; %bb.377:
	s_cmp_gt_i32 s8, 0
	s_mov_b64 s[6:7], -1
	s_cbranch_scc0 .LBB30_379
; %bb.378:
	v_cvt_i16_f16_e32 v3, v0
	s_mov_b64 s[6:7], 0
	global_store_byte v[1:2], v3, off
.LBB30_379:
	s_andn2_b64 vcc, exec, s[6:7]
	s_cbranch_vccnz .LBB30_381
; %bb.380:
	v_cvt_f32_f16_e32 v0, v0
	v_cvt_i32_f32_e32 v0, v0
	global_store_byte v[1:2], v0, off
.LBB30_381:
	s_mov_b64 s[6:7], -1
.LBB30_382:
	s_andn2_b64 vcc, exec, s[6:7]
	s_cbranch_vccnz .LBB30_384
; %bb.383:
	v_add_u32_e32 v20, 0x80, v20
	s_mov_b64 s[6:7], -1
	s_branch .LBB30_385
.LBB30_384:
	s_mov_b64 s[6:7], 0
                                        ; implicit-def: $vgpr20
.LBB30_385:
	s_andn2_b64 s[8:9], s[46:47], exec
	s_and_b64 s[4:5], s[4:5], exec
	s_or_b64 s[52:53], s[8:9], s[4:5]
	s_orn2_b64 s[6:7], s[6:7], exec
.LBB30_386:
	s_or_b64 exec, exec, s[50:51]
	s_mov_b64 s[4:5], 0
	s_mov_b64 s[10:11], 0
                                        ; implicit-def: $sgpr14
                                        ; implicit-def: $vgpr1_vgpr2
                                        ; implicit-def: $vgpr0
	s_and_saveexec_b64 s[50:51], s[6:7]
	s_cbranch_execz .LBB30_466
; %bb.387:
	v_cmp_gt_i32_e32 vcc, s54, v20
	s_mov_b64 s[6:7], 0
	s_mov_b64 s[8:9], s[52:53]
                                        ; implicit-def: $sgpr14
                                        ; implicit-def: $vgpr1_vgpr2
                                        ; implicit-def: $vgpr0
	s_and_saveexec_b64 s[54:55], vcc
	s_cbranch_execz .LBB30_465
; %bb.388:
	s_getpc_b64 s[4:5]
	s_add_u32 s4, s4, _ZN2at6native6invokeIZZZNS0_16asin_kernel_cudaERNS_18TensorIteratorBaseEENKUlvE_clEvENKUlvE1_clEvEUlN3c107complexINS6_4HalfEEEE_i15function_traitsISA_EEENT1_11result_typeERKT_PrKPcPKT0_PKNS6_10ScalarTypeEi@rel32@lo+4
	s_addc_u32 s5, s5, _ZN2at6native6invokeIZZZNS0_16asin_kernel_cudaERNS_18TensorIteratorBaseEENKUlvE_clEvENKUlvE1_clEvEUlN3c107complexINS6_4HalfEEEE_i15function_traitsISA_EEENT1_11result_typeERKT_PrKPcPKT0_PKNS6_10ScalarTypeEi@rel32@hi+12
	v_mov_b32_e32 v0, s38
	v_mov_b32_e32 v1, s39
	;; [unrolled: 1-line block ×5, first 2 shown]
	s_swappc_b64 s[30:31], s[4:5]
	v_mul_lo_u32 v1, v20, s28
	v_mov_b32_e32 v2, s37
	s_and_b32 s14, s33, 0xff
	s_cmp_lt_i32 s14, 11
	v_ashrrev_i32_e32 v3, 31, v1
	v_add_co_u32_e32 v1, vcc, s36, v1
	v_addc_co_u32_e32 v2, vcc, v2, v3, vcc
	s_cbranch_scc1 .LBB30_405
; %bb.389:
	s_and_b32 s15, 0xffff, s14
	s_mov_b64 s[8:9], -1
	s_cmp_gt_i32 s15, 25
	s_mov_b64 s[4:5], s[52:53]
	s_cbranch_scc0 .LBB30_423
; %bb.390:
	s_mov_b64 s[6:7], -1
	s_cmp_gt_i32 s15, 28
	s_mov_b64 s[4:5], s[52:53]
	s_cbranch_scc0 .LBB30_407
; %bb.391:
	s_cmp_gt_i32 s15, 43
	s_mov_b64 s[4:5], s[52:53]
	s_cbranch_scc0 .LBB30_402
; %bb.392:
	;; [unrolled: 4-line block ×3, first 2 shown]
	s_cmp_eq_u32 s15, 46
	s_mov_b64 s[4:5], -1
	s_cbranch_scc0 .LBB30_395
; %bb.394:
	v_cvt_f32_f16_sdwa v4, v0 dst_sel:DWORD dst_unused:UNUSED_PAD src0_sel:WORD_1
	v_cvt_f32_f16_e32 v3, v0
	s_movk_i32 s4, 0x7fff
	v_cmp_o_f16_sdwa vcc, v0, v0 src0_sel:WORD_1 src1_sel:WORD_1
	v_bfe_u32 v6, v4, 16, 1
	v_bfe_u32 v5, v3, 16, 1
	v_add3_u32 v4, v4, v6, s4
	v_add3_u32 v3, v3, v5, s4
	v_and_b32_e32 v4, 0xffff0000, v4
	v_mov_b32_e32 v5, 0x7fc00000
	v_cndmask_b32_e32 v4, v5, v4, vcc
	v_cmp_o_f16_e32 vcc, v0, v0
	v_mov_b32_e32 v5, 0x7fc0
	v_cndmask_b32_sdwa v3, v5, v3, vcc dst_sel:DWORD dst_unused:UNUSED_PAD src0_sel:DWORD src1_sel:WORD_1
	v_or_b32_e32 v3, v4, v3
	global_store_dword v[1:2], v3, off
	s_mov_b64 s[4:5], 0
.LBB30_395:
	s_mov_b64 s[6:7], 0
.LBB30_396:
	s_and_b64 vcc, exec, s[6:7]
	s_cbranch_vccz .LBB30_401
; %bb.397:
	s_cmp_eq_u32 s15, 44
	s_mov_b64 s[4:5], -1
	s_cbranch_scc0 .LBB30_401
; %bb.398:
	v_cvt_f32_f16_e32 v3, v0
	s_movk_i32 s4, 0xff
	v_mov_b32_e32 v5, 0xff
	v_bfe_u32 v4, v3, 23, 8
	v_cmp_ne_u32_e32 vcc, s4, v4
	s_and_saveexec_b64 s[6:7], vcc
; %bb.399:
	s_mov_b32 s4, 0x3fffff
	v_lshrrev_b32_e32 v5, 23, v3
	v_and_b32_e32 v6, 0x400000, v3
	v_and_or_b32 v3, v3, s4, v4
	v_cmp_ne_u32_e32 vcc, 0, v6
	v_cmp_ne_u32_e64 s[4:5], 0, v3
	s_and_b64 s[4:5], vcc, s[4:5]
	v_cndmask_b32_e64 v3, 0, 1, s[4:5]
	v_add_u32_e32 v5, v5, v3
; %bb.400:
	s_or_b64 exec, exec, s[6:7]
	s_mov_b64 s[4:5], 0
	global_store_byte v[1:2], v5, off
.LBB30_401:
	s_mov_b64 s[6:7], 0
.LBB30_402:
	s_and_b64 vcc, exec, s[6:7]
	s_cbranch_vccz .LBB30_406
; %bb.403:
	s_cmp_eq_u32 s15, 29
	s_mov_b64 s[4:5], -1
	s_cbranch_scc0 .LBB30_406
; %bb.404:
	v_cvt_f32_f16_e32 v3, v0
	v_mov_b32_e32 v4, 0
	s_mov_b64 s[4:5], 0
	s_mov_b64 s[6:7], 0
	v_cvt_u32_f32_e32 v3, v3
	global_store_dwordx2 v[1:2], v[3:4], off
	s_branch .LBB30_407
.LBB30_405:
	s_mov_b64 s[8:9], 0
	s_mov_b64 s[6:7], -1
	s_mov_b64 s[4:5], s[52:53]
	s_branch .LBB30_464
.LBB30_406:
	s_mov_b64 s[6:7], 0
.LBB30_407:
	s_and_b64 vcc, exec, s[6:7]
	s_cbranch_vccz .LBB30_422
; %bb.408:
	s_cmp_lt_i32 s15, 27
	s_mov_b64 s[6:7], -1
	s_cbranch_scc1 .LBB30_414
; %bb.409:
	s_cmp_gt_i32 s15, 27
	s_cbranch_scc0 .LBB30_411
; %bb.410:
	v_cvt_f32_f16_e32 v3, v0
	s_mov_b64 s[6:7], 0
	v_cvt_u32_f32_e32 v3, v3
	global_store_dword v[1:2], v3, off
.LBB30_411:
	s_andn2_b64 vcc, exec, s[6:7]
	s_cbranch_vccnz .LBB30_413
; %bb.412:
	v_cvt_u16_f16_e32 v3, v0
	global_store_short v[1:2], v3, off
.LBB30_413:
	s_mov_b64 s[6:7], 0
.LBB30_414:
	s_andn2_b64 vcc, exec, s[6:7]
	s_cbranch_vccnz .LBB30_422
; %bb.415:
	v_cvt_f32_f16_e32 v3, v0
	s_mov_b32 s6, 0x43800000
	v_mov_b32_e32 v5, 0x80
	v_and_b32_e32 v4, 0x7fffffff, v3
	v_cmp_gt_u32_e32 vcc, s6, v4
	s_and_saveexec_b64 s[6:7], vcc
	s_cbranch_execz .LBB30_421
; %bb.416:
	s_mov_b32 s8, 0x3bffffff
	v_cmp_lt_u32_e32 vcc, s8, v4
	s_mov_b64 s[8:9], 0
                                        ; implicit-def: $vgpr4
	s_and_saveexec_b64 s[10:11], vcc
	s_xor_b64 s[10:11], exec, s[10:11]
	s_cbranch_execz .LBB30_1007
; %bb.417:
	v_bfe_u32 v4, v3, 20, 1
	s_mov_b32 s12, 0x487ffff
	v_add3_u32 v4, v3, v4, s12
	s_mov_b64 s[8:9], exec
	v_lshrrev_b32_e32 v4, 20, v4
	s_andn2_saveexec_b64 s[10:11], s[10:11]
	s_cbranch_execnz .LBB30_1008
.LBB30_418:
	s_or_b64 exec, exec, s[10:11]
	v_mov_b32_e32 v5, 0
	s_and_saveexec_b64 s[10:11], s[8:9]
.LBB30_419:
	v_lshrrev_b32_e32 v3, 24, v3
	s_movk_i32 s8, 0x80
	v_and_or_b32 v5, v3, s8, v4
.LBB30_420:
	s_or_b64 exec, exec, s[10:11]
.LBB30_421:
	s_or_b64 exec, exec, s[6:7]
	global_store_byte v[1:2], v5, off
.LBB30_422:
	s_mov_b64 s[8:9], 0
.LBB30_423:
	s_mov_b64 s[6:7], 0
	s_and_b64 vcc, exec, s[8:9]
	s_cbranch_vccz .LBB30_463
; %bb.424:
	s_cmp_gt_i32 s15, 22
	s_mov_b64 s[8:9], -1
	s_cbranch_scc0 .LBB30_456
; %bb.425:
	s_cmp_lt_i32 s15, 24
	s_cbranch_scc1 .LBB30_445
; %bb.426:
	s_cmp_gt_i32 s15, 24
	s_cbranch_scc0 .LBB30_434
; %bb.427:
	v_cvt_f32_f16_e32 v3, v0
	s_mov_b32 s8, 0x47800000
	v_mov_b32_e32 v5, 0x80
	v_and_b32_e32 v4, 0x7fffffff, v3
	v_cmp_gt_u32_e32 vcc, s8, v4
	s_and_saveexec_b64 s[8:9], vcc
	s_cbranch_execz .LBB30_433
; %bb.428:
	s_mov_b32 s10, 0x37ffffff
	v_cmp_lt_u32_e32 vcc, s10, v4
	s_mov_b64 s[10:11], 0
                                        ; implicit-def: $vgpr4
	s_and_saveexec_b64 s[12:13], vcc
	s_xor_b64 s[12:13], exec, s[12:13]
	s_cbranch_execz .LBB30_1011
; %bb.429:
	v_bfe_u32 v4, v3, 21, 1
	s_mov_b32 s16, 0x88fffff
	v_add3_u32 v4, v3, v4, s16
	s_mov_b64 s[10:11], exec
	v_lshrrev_b32_e32 v4, 21, v4
	s_andn2_saveexec_b64 s[12:13], s[12:13]
	s_cbranch_execnz .LBB30_1012
.LBB30_430:
	s_or_b64 exec, exec, s[12:13]
	v_mov_b32_e32 v5, 0
	s_and_saveexec_b64 s[12:13], s[10:11]
.LBB30_431:
	v_lshrrev_b32_e32 v3, 24, v3
	s_movk_i32 s10, 0x80
	v_and_or_b32 v5, v3, s10, v4
.LBB30_432:
	s_or_b64 exec, exec, s[12:13]
.LBB30_433:
	s_or_b64 exec, exec, s[8:9]
	s_mov_b64 s[8:9], 0
	global_store_byte v[1:2], v5, off
.LBB30_434:
	s_and_b64 vcc, exec, s[8:9]
	s_cbranch_vccz .LBB30_444
; %bb.435:
	v_cvt_f32_f16_e32 v3, v0
	s_mov_b32 s8, 0x43f00000
                                        ; implicit-def: $vgpr4
	v_and_b32_e32 v5, 0x7fffffff, v3
	v_cmp_gt_u32_e32 vcc, s8, v5
	s_and_saveexec_b64 s[8:9], vcc
	s_xor_b64 s[8:9], exec, s[8:9]
	s_cbranch_execz .LBB30_441
; %bb.436:
	s_mov_b32 s10, 0x3c7fffff
	v_cmp_lt_u32_e32 vcc, s10, v5
                                        ; implicit-def: $vgpr4
	s_and_saveexec_b64 s[10:11], vcc
	s_xor_b64 s[10:11], exec, s[10:11]
; %bb.437:
	v_bfe_u32 v4, v3, 20, 1
	s_mov_b32 s12, 0x407ffff
	v_add3_u32 v4, v3, v4, s12
	v_lshrrev_b32_e32 v5, 20, v4
	v_and_b32_e32 v4, 0xff00000, v4
	s_mov_b32 s12, 0x7f00000
	v_mov_b32_e32 v6, 0x7e
	v_cmp_ne_u32_e32 vcc, s12, v4
	v_cndmask_b32_e32 v4, v6, v5, vcc
; %bb.438:
	s_andn2_saveexec_b64 s[10:11], s[10:11]
; %bb.439:
	s_mov_b32 s12, 0x46800000
	v_add_f32_e64 v4, |v3|, s12
; %bb.440:
	s_or_b64 exec, exec, s[10:11]
                                        ; implicit-def: $vgpr5
.LBB30_441:
	s_andn2_saveexec_b64 s[8:9], s[8:9]
; %bb.442:
	s_mov_b32 s10, 0x7f800000
	v_mov_b32_e32 v4, 0x7e
	v_mov_b32_e32 v6, 0x7f
	v_cmp_lt_u32_e32 vcc, s10, v5
	v_cndmask_b32_e32 v4, v4, v6, vcc
; %bb.443:
	s_or_b64 exec, exec, s[8:9]
	v_lshrrev_b32_e32 v3, 24, v3
	s_movk_i32 s8, 0x80
	v_and_or_b32 v3, v3, s8, v4
	global_store_byte v[1:2], v3, off
.LBB30_444:
	s_mov_b64 s[8:9], 0
.LBB30_445:
	s_andn2_b64 vcc, exec, s[8:9]
	s_cbranch_vccnz .LBB30_455
; %bb.446:
	v_cvt_f32_f16_e32 v3, v0
	s_mov_b32 s8, 0x47800000
                                        ; implicit-def: $vgpr4
	v_and_b32_e32 v5, 0x7fffffff, v3
	v_cmp_gt_u32_e32 vcc, s8, v5
	s_and_saveexec_b64 s[8:9], vcc
	s_xor_b64 s[8:9], exec, s[8:9]
	s_cbranch_execz .LBB30_452
; %bb.447:
	s_mov_b32 s10, 0x387fffff
	v_cmp_lt_u32_e32 vcc, s10, v5
                                        ; implicit-def: $vgpr4
	s_and_saveexec_b64 s[10:11], vcc
	s_xor_b64 s[10:11], exec, s[10:11]
; %bb.448:
	v_bfe_u32 v4, v3, 21, 1
	s_mov_b32 s12, 0x80fffff
	v_add3_u32 v4, v3, v4, s12
	v_lshrrev_b32_e32 v4, 21, v4
; %bb.449:
	s_andn2_saveexec_b64 s[10:11], s[10:11]
; %bb.450:
	s_mov_b32 s12, 0x43000000
	v_add_f32_e64 v4, |v3|, s12
; %bb.451:
	s_or_b64 exec, exec, s[10:11]
                                        ; implicit-def: $vgpr5
.LBB30_452:
	s_andn2_saveexec_b64 s[8:9], s[8:9]
; %bb.453:
	s_mov_b32 s10, 0x7f800000
	v_mov_b32_e32 v4, 0x7c
	v_mov_b32_e32 v6, 0x7f
	v_cmp_lt_u32_e32 vcc, s10, v5
	v_cndmask_b32_e32 v4, v4, v6, vcc
; %bb.454:
	s_or_b64 exec, exec, s[8:9]
	v_lshrrev_b32_e32 v3, 24, v3
	s_movk_i32 s8, 0x80
	v_and_or_b32 v3, v3, s8, v4
	global_store_byte v[1:2], v3, off
.LBB30_455:
	s_mov_b64 s[8:9], 0
.LBB30_456:
	s_andn2_b64 vcc, exec, s[8:9]
	s_mov_b64 s[8:9], 0
	s_cbranch_vccnz .LBB30_464
; %bb.457:
	s_cmp_gt_i32 s15, 14
	s_mov_b64 s[10:11], -1
	s_cbranch_scc0 .LBB30_461
; %bb.458:
	s_cmp_eq_u32 s15, 15
	s_mov_b64 s[4:5], -1
	s_cbranch_scc0 .LBB30_460
; %bb.459:
	v_cvt_f32_f16_e32 v3, v0
	s_movk_i32 s4, 0x7fff
	v_cmp_o_f16_e32 vcc, v0, v0
	v_mov_b32_e32 v4, 0x7fc0
	v_bfe_u32 v5, v3, 16, 1
	v_add3_u32 v3, v3, v5, s4
	v_cndmask_b32_sdwa v3, v4, v3, vcc dst_sel:DWORD dst_unused:UNUSED_PAD src0_sel:DWORD src1_sel:WORD_1
	global_store_short v[1:2], v3, off
	s_mov_b64 s[4:5], 0
.LBB30_460:
	s_mov_b64 s[10:11], 0
.LBB30_461:
	s_and_b64 vcc, exec, s[10:11]
	s_cbranch_vccz .LBB30_464
; %bb.462:
	s_cmp_lg_u32 s15, 11
	s_cselect_b64 s[10:11], -1, 0
	s_andn2_b64 s[4:5], s[4:5], exec
	s_and_b64 s[10:11], s[10:11], exec
	s_mov_b64 s[8:9], -1
	s_or_b64 s[4:5], s[4:5], s[10:11]
	s_branch .LBB30_464
.LBB30_463:
	s_mov_b64 s[8:9], 0
.LBB30_464:
	s_and_b64 s[10:11], s[6:7], exec
	s_and_b64 s[6:7], s[8:9], exec
	s_andn2_b64 s[8:9], s[52:53], exec
	s_and_b64 s[4:5], s[4:5], exec
	s_or_b64 s[8:9], s[8:9], s[4:5]
.LBB30_465:
	s_or_b64 exec, exec, s[54:55]
	s_and_b64 s[4:5], s[6:7], exec
	s_andn2_b64 s[6:7], s[52:53], exec
	s_and_b64 s[8:9], s[8:9], exec
	s_and_b64 s[10:11], s[10:11], exec
	s_or_b64 s[52:53], s[6:7], s[8:9]
.LBB30_466:
	s_or_b64 exec, exec, s[50:51]
	s_and_b64 s[6:7], s[10:11], exec
	s_andn2_b64 s[8:9], s[46:47], exec
	s_and_b64 s[10:11], s[52:53], exec
	s_and_b64 s[4:5], s[4:5], exec
	s_or_b64 s[46:47], s[8:9], s[10:11]
.LBB30_467:
	s_or_b64 exec, exec, s[48:49]
	s_and_b64 s[48:49], s[4:5], exec
	s_andn2_b64 s[4:5], s[42:43], exec
	s_and_b64 s[8:9], s[46:47], exec
	s_and_b64 s[6:7], s[6:7], exec
	s_or_b64 s[42:43], s[4:5], s[8:9]
	s_or_b64 exec, exec, s[44:45]
	s_mov_b64 s[4:5], 0
	s_and_saveexec_b64 s[8:9], s[42:43]
	s_cbranch_execz .LBB30_134
.LBB30_468:
	s_mov_b64 s[4:5], exec
	s_andn2_b64 s[48:49], s[48:49], exec
	s_trap 2
	s_or_b64 exec, exec, s[8:9]
	s_and_saveexec_b64 s[8:9], s[48:49]
	s_xor_b64 s[8:9], exec, s[8:9]
	s_cbranch_execnz .LBB30_135
.LBB30_469:
	s_or_b64 exec, exec, s[8:9]
	s_and_saveexec_b64 s[8:9], s[6:7]
	s_xor_b64 s[6:7], exec, s[8:9]
	s_cbranch_execz .LBB30_507
.LBB30_470:
	s_sext_i32_i16 s10, s14
	s_cmp_lt_i32 s10, 5
	s_mov_b64 s[8:9], -1
	s_cbranch_scc1 .LBB30_491
; %bb.471:
	s_cmp_lt_i32 s10, 8
	s_cbranch_scc1 .LBB30_481
; %bb.472:
	s_cmp_lt_i32 s10, 9
	s_cbranch_scc1 .LBB30_478
; %bb.473:
	v_cvt_f32_f16_sdwa v4, v0 dst_sel:DWORD dst_unused:UNUSED_PAD src0_sel:WORD_1
	s_cmp_gt_i32 s10, 9
	s_cbranch_scc0 .LBB30_475
; %bb.474:
	v_cvt_f32_f16_e32 v3, v0
	v_cvt_f64_f32_e32 v[7:8], v4
	s_mov_b64 s[8:9], 0
	v_cvt_f64_f32_e32 v[5:6], v3
	global_store_dwordx4 v[1:2], v[5:8], off
.LBB30_475:
	s_andn2_b64 vcc, exec, s[8:9]
	s_cbranch_vccnz .LBB30_477
; %bb.476:
	v_cvt_f32_f16_e32 v3, v0
	global_store_dwordx2 v[1:2], v[3:4], off
.LBB30_477:
	s_mov_b64 s[8:9], 0
.LBB30_478:
	s_andn2_b64 vcc, exec, s[8:9]
	s_cbranch_vccnz .LBB30_480
; %bb.479:
	global_store_dword v[1:2], v0, off
.LBB30_480:
	s_mov_b64 s[8:9], 0
.LBB30_481:
	s_andn2_b64 vcc, exec, s[8:9]
	s_cbranch_vccnz .LBB30_490
; %bb.482:
	s_sext_i32_i16 s10, s14
	s_cmp_lt_i32 s10, 6
	s_mov_b64 s[8:9], -1
	s_cbranch_scc1 .LBB30_488
; %bb.483:
	s_cmp_gt_i32 s10, 6
	s_cbranch_scc0 .LBB30_485
; %bb.484:
	v_cvt_f32_f16_e32 v3, v0
	s_mov_b64 s[8:9], 0
	v_cvt_f64_f32_e32 v[3:4], v3
	global_store_dwordx2 v[1:2], v[3:4], off
.LBB30_485:
	s_andn2_b64 vcc, exec, s[8:9]
	s_cbranch_vccnz .LBB30_487
; %bb.486:
	v_cvt_f32_f16_e32 v3, v0
	global_store_dword v[1:2], v3, off
.LBB30_487:
	s_mov_b64 s[8:9], 0
.LBB30_488:
	s_andn2_b64 vcc, exec, s[8:9]
	s_cbranch_vccnz .LBB30_490
; %bb.489:
	global_store_short v[1:2], v0, off
.LBB30_490:
	s_mov_b64 s[8:9], 0
.LBB30_491:
	s_andn2_b64 vcc, exec, s[8:9]
	s_cbranch_vccnz .LBB30_507
; %bb.492:
	s_sext_i32_i16 s10, s14
	s_cmp_lt_i32 s10, 2
	s_mov_b64 s[8:9], -1
	s_cbranch_scc1 .LBB30_502
; %bb.493:
	s_cmp_lt_i32 s10, 3
	s_cbranch_scc1 .LBB30_499
; %bb.494:
	s_cmp_gt_i32 s10, 3
	s_cbranch_scc0 .LBB30_496
; %bb.495:
	v_cvt_f32_f16_e32 v3, v0
	s_mov_b64 s[8:9], 0
	v_cvt_i32_f32_e32 v3, v3
	v_ashrrev_i32_e32 v4, 31, v3
	global_store_dwordx2 v[1:2], v[3:4], off
.LBB30_496:
	s_andn2_b64 vcc, exec, s[8:9]
	s_cbranch_vccnz .LBB30_498
; %bb.497:
	v_cvt_f32_f16_e32 v3, v0
	v_cvt_i32_f32_e32 v3, v3
	global_store_dword v[1:2], v3, off
.LBB30_498:
	s_mov_b64 s[8:9], 0
.LBB30_499:
	s_andn2_b64 vcc, exec, s[8:9]
	s_cbranch_vccnz .LBB30_501
; %bb.500:
	v_cvt_i16_f16_e32 v3, v0
	global_store_short v[1:2], v3, off
.LBB30_501:
	s_mov_b64 s[8:9], 0
.LBB30_502:
	s_andn2_b64 vcc, exec, s[8:9]
	s_cbranch_vccnz .LBB30_507
; %bb.503:
	s_sext_i32_i16 s8, s14
	s_cmp_gt_i32 s8, 0
	s_mov_b64 s[8:9], -1
	s_cbranch_scc0 .LBB30_505
; %bb.504:
	v_cvt_i16_f16_e32 v3, v0
	s_mov_b64 s[8:9], 0
	global_store_byte v[1:2], v3, off
.LBB30_505:
	s_andn2_b64 vcc, exec, s[8:9]
	s_cbranch_vccnz .LBB30_507
; %bb.506:
	v_cvt_f32_f16_e32 v0, v0
	v_cvt_i32_f32_e32 v0, v0
	global_store_byte v[1:2], v0, off
.LBB30_507:
	s_or_b64 exec, exec, s[6:7]
	s_and_b64 s[42:43], s[4:5], exec
                                        ; implicit-def: $vgpr20
                                        ; implicit-def: $vgpr21
                                        ; implicit-def: $vgpr25
.LBB30_508:
	s_or_saveexec_b64 s[40:41], s[40:41]
	s_mov_b64 s[4:5], 0
                                        ; implicit-def: $sgpr16
                                        ; implicit-def: $vgpr1_vgpr2
                                        ; implicit-def: $vgpr0
	s_xor_b64 exec, exec, s[40:41]
	s_cbranch_execz .LBB30_941
; %bb.509:
	s_getpc_b64 s[34:35]
	s_add_u32 s34, s34, _ZN2at6native6invokeIZZZNS0_16asin_kernel_cudaERNS_18TensorIteratorBaseEENKUlvE_clEvENKUlvE1_clEvEUlN3c107complexINS6_4HalfEEEE_i15function_traitsISA_EEENT1_11result_typeERKT_PrKPcPKT0_PKNS6_10ScalarTypeEi@rel32@lo+4
	s_addc_u32 s35, s35, _ZN2at6native6invokeIZZZNS0_16asin_kernel_cudaERNS_18TensorIteratorBaseEENKUlvE_clEvENKUlvE1_clEvEUlN3c107complexINS6_4HalfEEEE_i15function_traitsISA_EEENT1_11result_typeERKT_PrKPcPKT0_PKNS6_10ScalarTypeEi@rel32@hi+12
	v_mov_b32_e32 v0, s38
	v_mov_b32_e32 v1, s39
	;; [unrolled: 1-line block ×5, first 2 shown]
	v_add_u32_e32 v22, 0x80, v20
	v_add_u32_e32 v26, 0x100, v20
	s_swappc_b64 s[30:31], s[34:35]
	v_mov_b32_e32 v24, v0
	v_mov_b32_e32 v0, s38
	v_mov_b32_e32 v1, s39
	v_mov_b32_e32 v2, s29
	v_mov_b32_e32 v3, v21
	v_mov_b32_e32 v4, v22
	s_swappc_b64 s[30:31], s[34:35]
	v_mov_b32_e32 v23, v0
	v_mov_b32_e32 v0, s38
	v_mov_b32_e32 v1, s39
	v_mov_b32_e32 v2, s29
	v_mov_b32_e32 v3, v21
	v_mov_b32_e32 v4, v26
	;; [unrolled: 7-line block ×3, first 2 shown]
	s_swappc_b64 s[30:31], s[34:35]
	v_mul_lo_u32 v5, s28, v20
	v_mov_b32_e32 v2, s37
	s_and_b32 s16, s33, 0xff
	s_cmp_lt_i32 s16, 11
	v_ashrrev_i32_e32 v3, 31, v5
	v_add_co_u32_e32 v1, vcc, s36, v5
	v_addc_co_u32_e32 v2, vcc, v2, v3, vcc
	s_cbranch_scc1 .LBB30_588
; %bb.510:
	s_and_b32 s14, 0xffff, s16
	s_mov_b64 s[6:7], -1
	s_mov_b64 s[8:9], 0
	s_cmp_gt_i32 s14, 25
	s_mov_b64 s[10:11], 0
	s_mov_b64 s[4:5], 0
	s_cbranch_scc0 .LBB30_543
; %bb.511:
	s_cmp_gt_i32 s14, 28
	s_cbranch_scc0 .LBB30_526
; %bb.512:
	s_cmp_gt_i32 s14, 43
	;; [unrolled: 3-line block ×3, first 2 shown]
	s_cbranch_scc0 .LBB30_516
; %bb.514:
	s_mov_b64 s[4:5], -1
	s_mov_b64 s[6:7], 0
	s_cmp_eq_u32 s14, 46
	s_cbranch_scc0 .LBB30_516
; %bb.515:
	v_cvt_f32_f16_sdwa v4, v24 dst_sel:DWORD dst_unused:UNUSED_PAD src0_sel:WORD_1
	v_cvt_f32_f16_e32 v3, v24
	s_movk_i32 s4, 0x7fff
	v_cmp_o_f16_sdwa vcc, v24, v24 src0_sel:WORD_1 src1_sel:WORD_1
	v_bfe_u32 v7, v4, 16, 1
	v_bfe_u32 v6, v3, 16, 1
	v_add3_u32 v4, v4, v7, s4
	v_add3_u32 v3, v3, v6, s4
	v_and_b32_e32 v4, 0xffff0000, v4
	v_mov_b32_e32 v6, 0x7fc00000
	v_cndmask_b32_e32 v4, v6, v4, vcc
	v_cmp_o_f16_e32 vcc, v24, v24
	v_mov_b32_e32 v6, 0x7fc0
	v_cndmask_b32_sdwa v3, v6, v3, vcc dst_sel:DWORD dst_unused:UNUSED_PAD src0_sel:DWORD src1_sel:WORD_1
	v_or_b32_e32 v3, v4, v3
	global_store_dword v[1:2], v3, off
	s_mov_b64 s[4:5], 0
	s_mov_b64 s[10:11], -1
.LBB30_516:
	s_and_b64 vcc, exec, s[6:7]
	s_cbranch_vccz .LBB30_521
; %bb.517:
	s_cmp_eq_u32 s14, 44
	s_mov_b64 s[4:5], -1
	s_cbranch_scc0 .LBB30_521
; %bb.518:
	v_cvt_f32_f16_e32 v3, v24
	s_movk_i32 s4, 0xff
	v_mov_b32_e32 v6, 0xff
	v_bfe_u32 v4, v3, 23, 8
	v_cmp_ne_u32_e32 vcc, s4, v4
	s_and_saveexec_b64 s[6:7], vcc
; %bb.519:
	s_mov_b32 s4, 0x3fffff
	v_lshrrev_b32_e32 v6, 23, v3
	v_and_b32_e32 v7, 0x400000, v3
	v_and_or_b32 v3, v3, s4, v4
	v_cmp_ne_u32_e32 vcc, 0, v7
	v_cmp_ne_u32_e64 s[4:5], 0, v3
	s_and_b64 s[4:5], vcc, s[4:5]
	v_cndmask_b32_e64 v3, 0, 1, s[4:5]
	v_add_u32_e32 v6, v6, v3
; %bb.520:
	s_or_b64 exec, exec, s[6:7]
	s_mov_b64 s[4:5], 0
	s_mov_b64 s[10:11], -1
	global_store_byte v[1:2], v6, off
.LBB30_521:
	s_mov_b64 s[6:7], 0
.LBB30_522:
	s_and_b64 vcc, exec, s[6:7]
	s_cbranch_vccz .LBB30_525
; %bb.523:
	s_cmp_eq_u32 s14, 29
	s_mov_b64 s[4:5], -1
	s_cbranch_scc0 .LBB30_525
; %bb.524:
	v_cvt_f32_f16_e32 v3, v24
	v_mov_b32_e32 v4, 0
	s_mov_b64 s[4:5], 0
	s_mov_b64 s[10:11], -1
	v_cvt_u32_f32_e32 v3, v3
	global_store_dwordx2 v[1:2], v[3:4], off
.LBB30_525:
	s_mov_b64 s[6:7], 0
.LBB30_526:
	s_and_b64 vcc, exec, s[6:7]
	s_cbranch_vccz .LBB30_542
; %bb.527:
	s_cmp_lt_i32 s14, 27
	s_mov_b64 s[6:7], -1
	s_cbranch_scc1 .LBB30_533
; %bb.528:
	s_cmp_gt_i32 s14, 27
	s_cbranch_scc0 .LBB30_530
; %bb.529:
	v_cvt_f32_f16_e32 v3, v24
	s_mov_b64 s[6:7], 0
	v_cvt_u32_f32_e32 v3, v3
	global_store_dword v[1:2], v3, off
.LBB30_530:
	s_andn2_b64 vcc, exec, s[6:7]
	s_cbranch_vccnz .LBB30_532
; %bb.531:
	v_cvt_u16_f16_e32 v3, v24
	global_store_short v[1:2], v3, off
.LBB30_532:
	s_mov_b64 s[6:7], 0
.LBB30_533:
	s_andn2_b64 vcc, exec, s[6:7]
	s_cbranch_vccnz .LBB30_541
; %bb.534:
	v_cvt_f32_f16_e32 v3, v24
	s_mov_b32 s6, 0x43800000
	v_mov_b32_e32 v6, 0x80
	v_and_b32_e32 v4, 0x7fffffff, v3
	v_cmp_gt_u32_e32 vcc, s6, v4
	s_and_saveexec_b64 s[6:7], vcc
	s_cbranch_execz .LBB30_540
; %bb.535:
	s_mov_b32 s10, 0x3bffffff
	v_cmp_lt_u32_e32 vcc, s10, v4
	s_mov_b64 s[10:11], 0
                                        ; implicit-def: $vgpr4
	s_and_saveexec_b64 s[12:13], vcc
	s_xor_b64 s[12:13], exec, s[12:13]
	s_cbranch_execz .LBB30_985
; %bb.536:
	v_bfe_u32 v4, v3, 20, 1
	s_mov_b32 s15, 0x487ffff
	v_add3_u32 v4, v3, v4, s15
	s_mov_b64 s[10:11], exec
	v_lshrrev_b32_e32 v4, 20, v4
	s_andn2_saveexec_b64 s[12:13], s[12:13]
	s_cbranch_execnz .LBB30_986
.LBB30_537:
	s_or_b64 exec, exec, s[12:13]
	v_mov_b32_e32 v6, 0
	s_and_saveexec_b64 s[12:13], s[10:11]
.LBB30_538:
	v_lshrrev_b32_e32 v3, 24, v3
	s_movk_i32 s10, 0x80
	v_and_or_b32 v6, v3, s10, v4
.LBB30_539:
	s_or_b64 exec, exec, s[12:13]
.LBB30_540:
	s_or_b64 exec, exec, s[6:7]
	global_store_byte v[1:2], v6, off
.LBB30_541:
	s_mov_b64 s[10:11], -1
.LBB30_542:
	s_mov_b64 s[6:7], 0
.LBB30_543:
	s_and_b64 vcc, exec, s[6:7]
	s_cbranch_vccz .LBB30_583
; %bb.544:
	s_cmp_gt_i32 s14, 22
	s_mov_b64 s[6:7], -1
	s_cbranch_scc0 .LBB30_576
; %bb.545:
	s_cmp_lt_i32 s14, 24
	s_cbranch_scc1 .LBB30_565
; %bb.546:
	s_cmp_gt_i32 s14, 24
	s_cbranch_scc0 .LBB30_554
; %bb.547:
	v_cvt_f32_f16_e32 v3, v24
	s_mov_b32 s6, 0x47800000
	v_mov_b32_e32 v6, 0x80
	v_and_b32_e32 v4, 0x7fffffff, v3
	v_cmp_gt_u32_e32 vcc, s6, v4
	s_and_saveexec_b64 s[6:7], vcc
	s_cbranch_execz .LBB30_553
; %bb.548:
	s_mov_b32 s8, 0x37ffffff
	v_cmp_lt_u32_e32 vcc, s8, v4
	s_mov_b64 s[8:9], 0
                                        ; implicit-def: $vgpr4
	s_and_saveexec_b64 s[10:11], vcc
	s_xor_b64 s[10:11], exec, s[10:11]
	s_cbranch_execz .LBB30_988
; %bb.549:
	v_bfe_u32 v4, v3, 21, 1
	s_mov_b32 s12, 0x88fffff
	v_add3_u32 v4, v3, v4, s12
	s_mov_b64 s[8:9], exec
	v_lshrrev_b32_e32 v4, 21, v4
	s_andn2_saveexec_b64 s[10:11], s[10:11]
	s_cbranch_execnz .LBB30_989
.LBB30_550:
	s_or_b64 exec, exec, s[10:11]
	v_mov_b32_e32 v6, 0
	s_and_saveexec_b64 s[10:11], s[8:9]
.LBB30_551:
	v_lshrrev_b32_e32 v3, 24, v3
	s_movk_i32 s8, 0x80
	v_and_or_b32 v6, v3, s8, v4
.LBB30_552:
	s_or_b64 exec, exec, s[10:11]
.LBB30_553:
	s_or_b64 exec, exec, s[6:7]
	s_mov_b64 s[6:7], 0
	global_store_byte v[1:2], v6, off
.LBB30_554:
	s_and_b64 vcc, exec, s[6:7]
	s_cbranch_vccz .LBB30_564
; %bb.555:
	v_cvt_f32_f16_e32 v3, v24
	s_mov_b32 s6, 0x43f00000
                                        ; implicit-def: $vgpr4
	v_and_b32_e32 v6, 0x7fffffff, v3
	v_cmp_gt_u32_e32 vcc, s6, v6
	s_and_saveexec_b64 s[6:7], vcc
	s_xor_b64 s[6:7], exec, s[6:7]
	s_cbranch_execz .LBB30_561
; %bb.556:
	s_mov_b32 s8, 0x3c7fffff
	v_cmp_lt_u32_e32 vcc, s8, v6
                                        ; implicit-def: $vgpr4
	s_and_saveexec_b64 s[8:9], vcc
	s_xor_b64 s[8:9], exec, s[8:9]
; %bb.557:
	v_bfe_u32 v4, v3, 20, 1
	s_mov_b32 s10, 0x407ffff
	v_add3_u32 v4, v3, v4, s10
	v_lshrrev_b32_e32 v6, 20, v4
	v_and_b32_e32 v4, 0xff00000, v4
	s_mov_b32 s10, 0x7f00000
	v_mov_b32_e32 v7, 0x7e
	v_cmp_ne_u32_e32 vcc, s10, v4
	v_cndmask_b32_e32 v4, v7, v6, vcc
; %bb.558:
	s_andn2_saveexec_b64 s[8:9], s[8:9]
; %bb.559:
	s_mov_b32 s10, 0x46800000
	v_add_f32_e64 v4, |v3|, s10
; %bb.560:
	s_or_b64 exec, exec, s[8:9]
                                        ; implicit-def: $vgpr6
.LBB30_561:
	s_andn2_saveexec_b64 s[6:7], s[6:7]
; %bb.562:
	s_mov_b32 s8, 0x7f800000
	v_mov_b32_e32 v4, 0x7e
	v_mov_b32_e32 v7, 0x7f
	v_cmp_lt_u32_e32 vcc, s8, v6
	v_cndmask_b32_e32 v4, v4, v7, vcc
; %bb.563:
	s_or_b64 exec, exec, s[6:7]
	v_lshrrev_b32_e32 v3, 24, v3
	s_movk_i32 s6, 0x80
	v_and_or_b32 v3, v3, s6, v4
	global_store_byte v[1:2], v3, off
.LBB30_564:
	s_mov_b64 s[6:7], 0
.LBB30_565:
	s_andn2_b64 vcc, exec, s[6:7]
	s_cbranch_vccnz .LBB30_575
; %bb.566:
	v_cvt_f32_f16_e32 v3, v24
	s_mov_b32 s6, 0x47800000
                                        ; implicit-def: $vgpr4
	v_and_b32_e32 v6, 0x7fffffff, v3
	v_cmp_gt_u32_e32 vcc, s6, v6
	s_and_saveexec_b64 s[6:7], vcc
	s_xor_b64 s[6:7], exec, s[6:7]
	s_cbranch_execz .LBB30_572
; %bb.567:
	s_mov_b32 s8, 0x387fffff
	v_cmp_lt_u32_e32 vcc, s8, v6
                                        ; implicit-def: $vgpr4
	s_and_saveexec_b64 s[8:9], vcc
	s_xor_b64 s[8:9], exec, s[8:9]
; %bb.568:
	v_bfe_u32 v4, v3, 21, 1
	s_mov_b32 s10, 0x80fffff
	v_add3_u32 v4, v3, v4, s10
	v_lshrrev_b32_e32 v4, 21, v4
; %bb.569:
	s_andn2_saveexec_b64 s[8:9], s[8:9]
; %bb.570:
	s_mov_b32 s10, 0x43000000
	v_add_f32_e64 v4, |v3|, s10
; %bb.571:
	s_or_b64 exec, exec, s[8:9]
                                        ; implicit-def: $vgpr6
.LBB30_572:
	s_andn2_saveexec_b64 s[6:7], s[6:7]
; %bb.573:
	s_mov_b32 s8, 0x7f800000
	v_mov_b32_e32 v4, 0x7c
	v_mov_b32_e32 v7, 0x7f
	v_cmp_lt_u32_e32 vcc, s8, v6
	v_cndmask_b32_e32 v4, v4, v7, vcc
; %bb.574:
	s_or_b64 exec, exec, s[6:7]
	v_lshrrev_b32_e32 v3, 24, v3
	s_movk_i32 s6, 0x80
	v_and_or_b32 v3, v3, s6, v4
	global_store_byte v[1:2], v3, off
.LBB30_575:
	s_mov_b64 s[6:7], 0
	s_mov_b64 s[10:11], -1
.LBB30_576:
	s_andn2_b64 vcc, exec, s[6:7]
	s_mov_b64 s[8:9], 0
	s_cbranch_vccnz .LBB30_583
; %bb.577:
	s_cmp_gt_i32 s14, 14
	s_mov_b64 s[6:7], -1
	s_cbranch_scc0 .LBB30_581
; %bb.578:
	s_cmp_eq_u32 s14, 15
	s_mov_b64 s[4:5], -1
	s_cbranch_scc0 .LBB30_580
; %bb.579:
	v_cvt_f32_f16_e32 v3, v24
	s_movk_i32 s4, 0x7fff
	v_cmp_o_f16_e32 vcc, v24, v24
	v_mov_b32_e32 v4, 0x7fc0
	v_bfe_u32 v6, v3, 16, 1
	v_add3_u32 v3, v3, v6, s4
	v_cndmask_b32_sdwa v3, v4, v3, vcc dst_sel:DWORD dst_unused:UNUSED_PAD src0_sel:DWORD src1_sel:WORD_1
	global_store_short v[1:2], v3, off
	s_mov_b64 s[4:5], 0
	s_mov_b64 s[10:11], -1
.LBB30_580:
	s_mov_b64 s[6:7], 0
.LBB30_581:
	s_and_b64 vcc, exec, s[6:7]
	s_cbranch_vccz .LBB30_583
; %bb.582:
	s_cmp_lg_u32 s14, 11
	s_mov_b64 s[8:9], -1
	s_cselect_b64 s[4:5], -1, 0
.LBB30_583:
	s_and_b64 vcc, exec, s[4:5]
	s_mov_b64 s[6:7], s[42:43]
	s_cbranch_vccnz .LBB30_987
; %bb.584:
	s_andn2_b64 vcc, exec, s[8:9]
	s_cbranch_vccnz .LBB30_586
.LBB30_585:
	v_and_b32_e32 v3, 0x7fff7fff, v24
	v_cmp_ne_u32_e32 vcc, 0, v3
	v_cndmask_b32_e64 v3, 0, 1, vcc
	global_store_byte v[1:2], v3, off
	s_mov_b64 s[10:11], -1
.LBB30_586:
.LBB30_587:
	s_andn2_b64 vcc, exec, s[10:11]
	s_cbranch_vccz .LBB30_627
	s_branch .LBB30_939
.LBB30_588:
	s_mov_b64 s[10:11], 0
	s_mov_b64 s[6:7], s[42:43]
	s_cbranch_execz .LBB30_587
; %bb.589:
	s_and_b32 s8, 0xffff, s16
	s_cmp_lt_i32 s8, 5
	s_mov_b64 s[4:5], -1
	s_cbranch_scc1 .LBB30_610
; %bb.590:
	s_cmp_lt_i32 s8, 8
	s_cbranch_scc1 .LBB30_600
; %bb.591:
	s_cmp_lt_i32 s8, 9
	s_cbranch_scc1 .LBB30_597
; %bb.592:
	v_cvt_f32_f16_sdwa v4, v24 dst_sel:DWORD dst_unused:UNUSED_PAD src0_sel:WORD_1
	s_cmp_gt_i32 s8, 9
	s_cbranch_scc0 .LBB30_594
; %bb.593:
	v_cvt_f32_f16_e32 v3, v24
	v_cvt_f64_f32_e32 v[8:9], v4
	s_mov_b64 s[4:5], 0
	v_cvt_f64_f32_e32 v[6:7], v3
	global_store_dwordx4 v[1:2], v[6:9], off
.LBB30_594:
	s_andn2_b64 vcc, exec, s[4:5]
	s_cbranch_vccnz .LBB30_596
; %bb.595:
	v_cvt_f32_f16_e32 v3, v24
	global_store_dwordx2 v[1:2], v[3:4], off
.LBB30_596:
	s_mov_b64 s[4:5], 0
.LBB30_597:
	s_andn2_b64 vcc, exec, s[4:5]
	s_cbranch_vccnz .LBB30_599
; %bb.598:
	global_store_dword v[1:2], v24, off
.LBB30_599:
	s_mov_b64 s[4:5], 0
.LBB30_600:
	s_andn2_b64 vcc, exec, s[4:5]
	s_cbranch_vccnz .LBB30_609
; %bb.601:
	s_cmp_lt_i32 s8, 6
	s_mov_b64 s[4:5], -1
	s_cbranch_scc1 .LBB30_607
; %bb.602:
	s_cmp_gt_i32 s8, 6
	s_cbranch_scc0 .LBB30_604
; %bb.603:
	v_cvt_f32_f16_e32 v3, v24
	s_mov_b64 s[4:5], 0
	v_cvt_f64_f32_e32 v[3:4], v3
	global_store_dwordx2 v[1:2], v[3:4], off
.LBB30_604:
	s_andn2_b64 vcc, exec, s[4:5]
	s_cbranch_vccnz .LBB30_606
; %bb.605:
	v_cvt_f32_f16_e32 v3, v24
	global_store_dword v[1:2], v3, off
.LBB30_606:
	s_mov_b64 s[4:5], 0
.LBB30_607:
	s_andn2_b64 vcc, exec, s[4:5]
	s_cbranch_vccnz .LBB30_609
; %bb.608:
	global_store_short v[1:2], v24, off
.LBB30_609:
	s_mov_b64 s[4:5], 0
.LBB30_610:
	s_andn2_b64 vcc, exec, s[4:5]
	s_cbranch_vccnz .LBB30_626
; %bb.611:
	s_cmp_lt_i32 s8, 2
	s_mov_b64 s[4:5], -1
	s_cbranch_scc1 .LBB30_621
; %bb.612:
	s_cmp_lt_i32 s8, 3
	s_cbranch_scc1 .LBB30_618
; %bb.613:
	s_cmp_gt_i32 s8, 3
	s_cbranch_scc0 .LBB30_615
; %bb.614:
	v_cvt_f32_f16_e32 v3, v24
	s_mov_b64 s[4:5], 0
	v_cvt_i32_f32_e32 v3, v3
	v_ashrrev_i32_e32 v4, 31, v3
	global_store_dwordx2 v[1:2], v[3:4], off
.LBB30_615:
	s_andn2_b64 vcc, exec, s[4:5]
	s_cbranch_vccnz .LBB30_617
; %bb.616:
	v_cvt_f32_f16_e32 v3, v24
	v_cvt_i32_f32_e32 v3, v3
	global_store_dword v[1:2], v3, off
.LBB30_617:
	s_mov_b64 s[4:5], 0
.LBB30_618:
	s_andn2_b64 vcc, exec, s[4:5]
	s_cbranch_vccnz .LBB30_620
; %bb.619:
	v_cvt_i16_f16_e32 v3, v24
	global_store_short v[1:2], v3, off
.LBB30_620:
	s_mov_b64 s[4:5], 0
.LBB30_621:
	s_andn2_b64 vcc, exec, s[4:5]
	s_cbranch_vccnz .LBB30_626
; %bb.622:
	s_cmp_gt_i32 s8, 0
	s_mov_b64 s[4:5], -1
	s_cbranch_scc0 .LBB30_624
; %bb.623:
	v_cvt_i16_f16_e32 v3, v24
	global_store_byte v[1:2], v3, off
	s_mov_b64 s[4:5], 0
.LBB30_624:
	s_andn2_b64 vcc, exec, s[4:5]
	s_cbranch_vccnz .LBB30_626
; %bb.625:
	v_cvt_f32_f16_e32 v3, v24
	v_cvt_i32_f32_e32 v3, v3
	global_store_byte v[1:2], v3, off
.LBB30_626:
.LBB30_627:
	s_lshl_b32 s17, s28, 7
	v_add_u32_e32 v5, s17, v5
	v_ashrrev_i32_e32 v2, 31, v5
	v_mov_b32_e32 v3, s37
	v_add_co_u32_e32 v1, vcc, s36, v5
	s_cmp_lt_i32 s16, 11
	v_addc_co_u32_e32 v2, vcc, v3, v2, vcc
	s_cbranch_scc1 .LBB30_706
; %bb.628:
	s_and_b32 s18, 0xffff, s16
	s_mov_b64 s[12:13], -1
	s_mov_b64 s[8:9], 0
	s_cmp_gt_i32 s18, 25
	s_mov_b64 s[10:11], 0
	s_mov_b64 s[4:5], 0
	s_cbranch_scc0 .LBB30_661
; %bb.629:
	s_cmp_gt_i32 s18, 28
	s_cbranch_scc0 .LBB30_644
; %bb.630:
	s_cmp_gt_i32 s18, 43
	;; [unrolled: 3-line block ×3, first 2 shown]
	s_cbranch_scc0 .LBB30_634
; %bb.632:
	s_mov_b64 s[4:5], -1
	s_mov_b64 s[12:13], 0
	s_cmp_eq_u32 s18, 46
	s_cbranch_scc0 .LBB30_634
; %bb.633:
	v_cvt_f32_f16_sdwa v4, v23 dst_sel:DWORD dst_unused:UNUSED_PAD src0_sel:WORD_1
	v_cvt_f32_f16_e32 v3, v23
	s_movk_i32 s4, 0x7fff
	v_cmp_o_f16_sdwa vcc, v23, v23 src0_sel:WORD_1 src1_sel:WORD_1
	v_bfe_u32 v7, v4, 16, 1
	v_bfe_u32 v6, v3, 16, 1
	v_add3_u32 v4, v4, v7, s4
	v_add3_u32 v3, v3, v6, s4
	v_and_b32_e32 v4, 0xffff0000, v4
	v_mov_b32_e32 v6, 0x7fc00000
	v_cndmask_b32_e32 v4, v6, v4, vcc
	v_cmp_o_f16_e32 vcc, v23, v23
	v_mov_b32_e32 v6, 0x7fc0
	v_cndmask_b32_sdwa v3, v6, v3, vcc dst_sel:DWORD dst_unused:UNUSED_PAD src0_sel:DWORD src1_sel:WORD_1
	v_or_b32_e32 v3, v4, v3
	global_store_dword v[1:2], v3, off
	s_mov_b64 s[4:5], 0
	s_mov_b64 s[10:11], -1
.LBB30_634:
	s_and_b64 vcc, exec, s[12:13]
	s_cbranch_vccz .LBB30_639
; %bb.635:
	s_cmp_eq_u32 s18, 44
	s_mov_b64 s[4:5], -1
	s_cbranch_scc0 .LBB30_639
; %bb.636:
	v_cvt_f32_f16_e32 v3, v23
	s_movk_i32 s4, 0xff
	v_mov_b32_e32 v6, 0xff
	v_bfe_u32 v4, v3, 23, 8
	v_cmp_ne_u32_e32 vcc, s4, v4
	s_and_saveexec_b64 s[10:11], vcc
; %bb.637:
	s_mov_b32 s4, 0x3fffff
	v_lshrrev_b32_e32 v6, 23, v3
	v_and_b32_e32 v7, 0x400000, v3
	v_and_or_b32 v3, v3, s4, v4
	v_cmp_ne_u32_e32 vcc, 0, v7
	v_cmp_ne_u32_e64 s[4:5], 0, v3
	s_and_b64 s[4:5], vcc, s[4:5]
	v_cndmask_b32_e64 v3, 0, 1, s[4:5]
	v_add_u32_e32 v6, v6, v3
; %bb.638:
	s_or_b64 exec, exec, s[10:11]
	s_mov_b64 s[4:5], 0
	s_mov_b64 s[10:11], -1
	global_store_byte v[1:2], v6, off
.LBB30_639:
	s_mov_b64 s[12:13], 0
.LBB30_640:
	s_and_b64 vcc, exec, s[12:13]
	s_cbranch_vccz .LBB30_643
; %bb.641:
	s_cmp_eq_u32 s18, 29
	s_mov_b64 s[4:5], -1
	s_cbranch_scc0 .LBB30_643
; %bb.642:
	v_cvt_f32_f16_e32 v3, v23
	v_mov_b32_e32 v4, 0
	s_mov_b64 s[4:5], 0
	s_mov_b64 s[10:11], -1
	v_cvt_u32_f32_e32 v3, v3
	global_store_dwordx2 v[1:2], v[3:4], off
.LBB30_643:
	s_mov_b64 s[12:13], 0
.LBB30_644:
	s_and_b64 vcc, exec, s[12:13]
	s_cbranch_vccz .LBB30_660
; %bb.645:
	s_cmp_lt_i32 s18, 27
	s_mov_b64 s[10:11], -1
	s_cbranch_scc1 .LBB30_651
; %bb.646:
	s_cmp_gt_i32 s18, 27
	s_cbranch_scc0 .LBB30_648
; %bb.647:
	v_cvt_f32_f16_e32 v3, v23
	s_mov_b64 s[10:11], 0
	v_cvt_u32_f32_e32 v3, v3
	global_store_dword v[1:2], v3, off
.LBB30_648:
	s_andn2_b64 vcc, exec, s[10:11]
	s_cbranch_vccnz .LBB30_650
; %bb.649:
	v_cvt_u16_f16_e32 v3, v23
	global_store_short v[1:2], v3, off
.LBB30_650:
	s_mov_b64 s[10:11], 0
.LBB30_651:
	s_andn2_b64 vcc, exec, s[10:11]
	s_cbranch_vccnz .LBB30_659
; %bb.652:
	v_cvt_f32_f16_e32 v3, v23
	s_mov_b32 s10, 0x43800000
	v_mov_b32_e32 v6, 0x80
	v_and_b32_e32 v4, 0x7fffffff, v3
	v_cmp_gt_u32_e32 vcc, s10, v4
	s_and_saveexec_b64 s[10:11], vcc
	s_cbranch_execz .LBB30_658
; %bb.653:
	s_mov_b32 s12, 0x3bffffff
	v_cmp_lt_u32_e32 vcc, s12, v4
	s_mov_b64 s[12:13], 0
                                        ; implicit-def: $vgpr4
	s_and_saveexec_b64 s[14:15], vcc
	s_xor_b64 s[14:15], exec, s[14:15]
	s_cbranch_execz .LBB30_990
; %bb.654:
	v_bfe_u32 v4, v3, 20, 1
	s_mov_b32 s19, 0x487ffff
	v_add3_u32 v4, v3, v4, s19
	s_mov_b64 s[12:13], exec
	v_lshrrev_b32_e32 v4, 20, v4
	s_andn2_saveexec_b64 s[14:15], s[14:15]
	s_cbranch_execnz .LBB30_991
.LBB30_655:
	s_or_b64 exec, exec, s[14:15]
	v_mov_b32_e32 v6, 0
	s_and_saveexec_b64 s[14:15], s[12:13]
.LBB30_656:
	v_lshrrev_b32_e32 v3, 24, v3
	s_movk_i32 s12, 0x80
	v_and_or_b32 v6, v3, s12, v4
.LBB30_657:
	s_or_b64 exec, exec, s[14:15]
.LBB30_658:
	s_or_b64 exec, exec, s[10:11]
	global_store_byte v[1:2], v6, off
.LBB30_659:
	s_mov_b64 s[10:11], -1
.LBB30_660:
	s_mov_b64 s[12:13], 0
.LBB30_661:
	s_and_b64 vcc, exec, s[12:13]
	s_cbranch_vccz .LBB30_701
; %bb.662:
	s_cmp_gt_i32 s18, 22
	s_mov_b64 s[8:9], -1
	s_cbranch_scc0 .LBB30_694
; %bb.663:
	s_cmp_lt_i32 s18, 24
	s_cbranch_scc1 .LBB30_683
; %bb.664:
	s_cmp_gt_i32 s18, 24
	s_cbranch_scc0 .LBB30_672
; %bb.665:
	v_cvt_f32_f16_e32 v3, v23
	s_mov_b32 s8, 0x47800000
	v_mov_b32_e32 v6, 0x80
	v_and_b32_e32 v4, 0x7fffffff, v3
	v_cmp_gt_u32_e32 vcc, s8, v4
	s_and_saveexec_b64 s[8:9], vcc
	s_cbranch_execz .LBB30_671
; %bb.666:
	s_mov_b32 s10, 0x37ffffff
	v_cmp_lt_u32_e32 vcc, s10, v4
	s_mov_b64 s[10:11], 0
                                        ; implicit-def: $vgpr4
	s_and_saveexec_b64 s[12:13], vcc
	s_xor_b64 s[12:13], exec, s[12:13]
	s_cbranch_execz .LBB30_993
; %bb.667:
	v_bfe_u32 v4, v3, 21, 1
	s_mov_b32 s14, 0x88fffff
	v_add3_u32 v4, v3, v4, s14
	s_mov_b64 s[10:11], exec
	v_lshrrev_b32_e32 v4, 21, v4
	s_andn2_saveexec_b64 s[12:13], s[12:13]
	s_cbranch_execnz .LBB30_994
.LBB30_668:
	s_or_b64 exec, exec, s[12:13]
	v_mov_b32_e32 v6, 0
	s_and_saveexec_b64 s[12:13], s[10:11]
.LBB30_669:
	v_lshrrev_b32_e32 v3, 24, v3
	s_movk_i32 s10, 0x80
	v_and_or_b32 v6, v3, s10, v4
.LBB30_670:
	s_or_b64 exec, exec, s[12:13]
.LBB30_671:
	s_or_b64 exec, exec, s[8:9]
	s_mov_b64 s[8:9], 0
	global_store_byte v[1:2], v6, off
.LBB30_672:
	s_and_b64 vcc, exec, s[8:9]
	s_cbranch_vccz .LBB30_682
; %bb.673:
	v_cvt_f32_f16_e32 v3, v23
	s_mov_b32 s8, 0x43f00000
                                        ; implicit-def: $vgpr4
	v_and_b32_e32 v6, 0x7fffffff, v3
	v_cmp_gt_u32_e32 vcc, s8, v6
	s_and_saveexec_b64 s[8:9], vcc
	s_xor_b64 s[8:9], exec, s[8:9]
	s_cbranch_execz .LBB30_679
; %bb.674:
	s_mov_b32 s10, 0x3c7fffff
	v_cmp_lt_u32_e32 vcc, s10, v6
                                        ; implicit-def: $vgpr4
	s_and_saveexec_b64 s[10:11], vcc
	s_xor_b64 s[10:11], exec, s[10:11]
; %bb.675:
	v_bfe_u32 v4, v3, 20, 1
	s_mov_b32 s12, 0x407ffff
	v_add3_u32 v4, v3, v4, s12
	v_lshrrev_b32_e32 v6, 20, v4
	v_and_b32_e32 v4, 0xff00000, v4
	s_mov_b32 s12, 0x7f00000
	v_mov_b32_e32 v7, 0x7e
	v_cmp_ne_u32_e32 vcc, s12, v4
	v_cndmask_b32_e32 v4, v7, v6, vcc
; %bb.676:
	s_andn2_saveexec_b64 s[10:11], s[10:11]
; %bb.677:
	s_mov_b32 s12, 0x46800000
	v_add_f32_e64 v4, |v3|, s12
; %bb.678:
	s_or_b64 exec, exec, s[10:11]
                                        ; implicit-def: $vgpr6
.LBB30_679:
	s_andn2_saveexec_b64 s[8:9], s[8:9]
; %bb.680:
	s_mov_b32 s10, 0x7f800000
	v_mov_b32_e32 v4, 0x7e
	v_mov_b32_e32 v7, 0x7f
	v_cmp_lt_u32_e32 vcc, s10, v6
	v_cndmask_b32_e32 v4, v4, v7, vcc
; %bb.681:
	s_or_b64 exec, exec, s[8:9]
	v_lshrrev_b32_e32 v3, 24, v3
	s_movk_i32 s8, 0x80
	v_and_or_b32 v3, v3, s8, v4
	global_store_byte v[1:2], v3, off
.LBB30_682:
	s_mov_b64 s[8:9], 0
.LBB30_683:
	s_andn2_b64 vcc, exec, s[8:9]
	s_cbranch_vccnz .LBB30_693
; %bb.684:
	v_cvt_f32_f16_e32 v3, v23
	s_mov_b32 s8, 0x47800000
                                        ; implicit-def: $vgpr4
	v_and_b32_e32 v6, 0x7fffffff, v3
	v_cmp_gt_u32_e32 vcc, s8, v6
	s_and_saveexec_b64 s[8:9], vcc
	s_xor_b64 s[8:9], exec, s[8:9]
	s_cbranch_execz .LBB30_690
; %bb.685:
	s_mov_b32 s10, 0x387fffff
	v_cmp_lt_u32_e32 vcc, s10, v6
                                        ; implicit-def: $vgpr4
	s_and_saveexec_b64 s[10:11], vcc
	s_xor_b64 s[10:11], exec, s[10:11]
; %bb.686:
	v_bfe_u32 v4, v3, 21, 1
	s_mov_b32 s12, 0x80fffff
	v_add3_u32 v4, v3, v4, s12
	v_lshrrev_b32_e32 v4, 21, v4
; %bb.687:
	s_andn2_saveexec_b64 s[10:11], s[10:11]
; %bb.688:
	s_mov_b32 s12, 0x43000000
	v_add_f32_e64 v4, |v3|, s12
; %bb.689:
	s_or_b64 exec, exec, s[10:11]
                                        ; implicit-def: $vgpr6
.LBB30_690:
	s_andn2_saveexec_b64 s[8:9], s[8:9]
; %bb.691:
	s_mov_b32 s10, 0x7f800000
	v_mov_b32_e32 v4, 0x7c
	v_mov_b32_e32 v7, 0x7f
	v_cmp_lt_u32_e32 vcc, s10, v6
	v_cndmask_b32_e32 v4, v4, v7, vcc
; %bb.692:
	s_or_b64 exec, exec, s[8:9]
	v_lshrrev_b32_e32 v3, 24, v3
	s_movk_i32 s8, 0x80
	v_and_or_b32 v3, v3, s8, v4
	global_store_byte v[1:2], v3, off
.LBB30_693:
	s_mov_b64 s[8:9], 0
	s_mov_b64 s[10:11], -1
.LBB30_694:
	s_andn2_b64 vcc, exec, s[8:9]
	s_mov_b64 s[8:9], 0
	s_cbranch_vccnz .LBB30_701
; %bb.695:
	s_cmp_gt_i32 s18, 14
	s_mov_b64 s[12:13], -1
	s_cbranch_scc0 .LBB30_699
; %bb.696:
	s_cmp_eq_u32 s18, 15
	s_mov_b64 s[4:5], -1
	s_cbranch_scc0 .LBB30_698
; %bb.697:
	v_cvt_f32_f16_e32 v3, v23
	s_movk_i32 s4, 0x7fff
	v_cmp_o_f16_e32 vcc, v23, v23
	v_mov_b32_e32 v4, 0x7fc0
	v_bfe_u32 v6, v3, 16, 1
	v_add3_u32 v3, v3, v6, s4
	v_cndmask_b32_sdwa v3, v4, v3, vcc dst_sel:DWORD dst_unused:UNUSED_PAD src0_sel:DWORD src1_sel:WORD_1
	global_store_short v[1:2], v3, off
	s_mov_b64 s[4:5], 0
	s_mov_b64 s[10:11], -1
.LBB30_698:
	s_mov_b64 s[12:13], 0
.LBB30_699:
	s_and_b64 vcc, exec, s[12:13]
	s_cbranch_vccz .LBB30_701
; %bb.700:
	s_cmp_lg_u32 s18, 11
	s_mov_b64 s[8:9], -1
	s_cselect_b64 s[4:5], -1, 0
.LBB30_701:
	s_and_b64 vcc, exec, s[4:5]
	s_cbranch_vccnz .LBB30_992
; %bb.702:
	s_andn2_b64 vcc, exec, s[8:9]
	s_cbranch_vccnz .LBB30_704
.LBB30_703:
	v_and_b32_e32 v3, 0x7fff7fff, v23
	v_cmp_ne_u32_e32 vcc, 0, v3
	v_cndmask_b32_e64 v3, 0, 1, vcc
	s_mov_b64 s[10:11], -1
	global_store_byte v[1:2], v3, off
.LBB30_704:
.LBB30_705:
	s_andn2_b64 vcc, exec, s[10:11]
	s_cbranch_vccz .LBB30_745
	s_branch .LBB30_939
.LBB30_706:
	s_mov_b64 s[10:11], 0
	s_cbranch_execz .LBB30_705
; %bb.707:
	s_and_b32 s8, 0xffff, s16
	s_cmp_lt_i32 s8, 5
	s_mov_b64 s[4:5], -1
	s_cbranch_scc1 .LBB30_728
; %bb.708:
	s_cmp_lt_i32 s8, 8
	s_cbranch_scc1 .LBB30_718
; %bb.709:
	s_cmp_lt_i32 s8, 9
	s_cbranch_scc1 .LBB30_715
; %bb.710:
	v_cvt_f32_f16_sdwa v4, v23 dst_sel:DWORD dst_unused:UNUSED_PAD src0_sel:WORD_1
	s_cmp_gt_i32 s8, 9
	s_cbranch_scc0 .LBB30_712
; %bb.711:
	v_cvt_f32_f16_e32 v3, v23
	v_cvt_f64_f32_e32 v[8:9], v4
	s_mov_b64 s[4:5], 0
	v_cvt_f64_f32_e32 v[6:7], v3
	global_store_dwordx4 v[1:2], v[6:9], off
.LBB30_712:
	s_andn2_b64 vcc, exec, s[4:5]
	s_cbranch_vccnz .LBB30_714
; %bb.713:
	v_cvt_f32_f16_e32 v3, v23
	global_store_dwordx2 v[1:2], v[3:4], off
.LBB30_714:
	s_mov_b64 s[4:5], 0
.LBB30_715:
	s_andn2_b64 vcc, exec, s[4:5]
	s_cbranch_vccnz .LBB30_717
; %bb.716:
	global_store_dword v[1:2], v23, off
.LBB30_717:
	s_mov_b64 s[4:5], 0
.LBB30_718:
	s_andn2_b64 vcc, exec, s[4:5]
	s_cbranch_vccnz .LBB30_727
; %bb.719:
	s_cmp_lt_i32 s8, 6
	s_mov_b64 s[4:5], -1
	s_cbranch_scc1 .LBB30_725
; %bb.720:
	s_cmp_gt_i32 s8, 6
	s_cbranch_scc0 .LBB30_722
; %bb.721:
	v_cvt_f32_f16_e32 v3, v23
	s_mov_b64 s[4:5], 0
	v_cvt_f64_f32_e32 v[3:4], v3
	global_store_dwordx2 v[1:2], v[3:4], off
.LBB30_722:
	s_andn2_b64 vcc, exec, s[4:5]
	s_cbranch_vccnz .LBB30_724
; %bb.723:
	v_cvt_f32_f16_e32 v3, v23
	global_store_dword v[1:2], v3, off
.LBB30_724:
	s_mov_b64 s[4:5], 0
.LBB30_725:
	s_andn2_b64 vcc, exec, s[4:5]
	s_cbranch_vccnz .LBB30_727
; %bb.726:
	global_store_short v[1:2], v23, off
.LBB30_727:
	s_mov_b64 s[4:5], 0
.LBB30_728:
	s_andn2_b64 vcc, exec, s[4:5]
	s_cbranch_vccnz .LBB30_744
; %bb.729:
	s_cmp_lt_i32 s8, 2
	s_mov_b64 s[4:5], -1
	s_cbranch_scc1 .LBB30_739
; %bb.730:
	s_cmp_lt_i32 s8, 3
	s_cbranch_scc1 .LBB30_736
; %bb.731:
	s_cmp_gt_i32 s8, 3
	s_cbranch_scc0 .LBB30_733
; %bb.732:
	v_cvt_f32_f16_e32 v3, v23
	s_mov_b64 s[4:5], 0
	v_cvt_i32_f32_e32 v3, v3
	v_ashrrev_i32_e32 v4, 31, v3
	global_store_dwordx2 v[1:2], v[3:4], off
.LBB30_733:
	s_andn2_b64 vcc, exec, s[4:5]
	s_cbranch_vccnz .LBB30_735
; %bb.734:
	v_cvt_f32_f16_e32 v3, v23
	v_cvt_i32_f32_e32 v3, v3
	global_store_dword v[1:2], v3, off
.LBB30_735:
	s_mov_b64 s[4:5], 0
.LBB30_736:
	s_andn2_b64 vcc, exec, s[4:5]
	s_cbranch_vccnz .LBB30_738
; %bb.737:
	v_cvt_i16_f16_e32 v3, v23
	global_store_short v[1:2], v3, off
.LBB30_738:
	s_mov_b64 s[4:5], 0
.LBB30_739:
	s_andn2_b64 vcc, exec, s[4:5]
	s_cbranch_vccnz .LBB30_744
; %bb.740:
	s_cmp_gt_i32 s8, 0
	s_mov_b64 s[4:5], -1
	s_cbranch_scc0 .LBB30_742
; %bb.741:
	v_cvt_i16_f16_e32 v3, v23
	global_store_byte v[1:2], v3, off
	s_mov_b64 s[4:5], 0
.LBB30_742:
	s_andn2_b64 vcc, exec, s[4:5]
	s_cbranch_vccnz .LBB30_744
; %bb.743:
	v_cvt_f32_f16_e32 v3, v23
	v_cvt_i32_f32_e32 v3, v3
	global_store_byte v[1:2], v3, off
.LBB30_744:
.LBB30_745:
	v_add_u32_e32 v5, s17, v5
	v_ashrrev_i32_e32 v2, 31, v5
	v_mov_b32_e32 v3, s37
	v_add_co_u32_e32 v1, vcc, s36, v5
	s_cmp_lt_i32 s16, 11
	v_addc_co_u32_e32 v2, vcc, v3, v2, vcc
	s_cbranch_scc1 .LBB30_900
; %bb.746:
	s_and_b32 s18, 0xffff, s16
	s_mov_b64 s[12:13], -1
	s_mov_b64 s[8:9], 0
	s_cmp_gt_i32 s18, 25
	s_mov_b64 s[10:11], 0
	s_mov_b64 s[4:5], 0
	s_cbranch_scc0 .LBB30_779
; %bb.747:
	s_cmp_gt_i32 s18, 28
	s_cbranch_scc0 .LBB30_762
; %bb.748:
	s_cmp_gt_i32 s18, 43
	;; [unrolled: 3-line block ×3, first 2 shown]
	s_cbranch_scc0 .LBB30_752
; %bb.750:
	s_mov_b64 s[4:5], -1
	s_mov_b64 s[12:13], 0
	s_cmp_eq_u32 s18, 46
	s_cbranch_scc0 .LBB30_752
; %bb.751:
	v_cvt_f32_f16_sdwa v4, v22 dst_sel:DWORD dst_unused:UNUSED_PAD src0_sel:WORD_1
	v_cvt_f32_f16_e32 v3, v22
	s_movk_i32 s4, 0x7fff
	v_cmp_o_f16_sdwa vcc, v22, v22 src0_sel:WORD_1 src1_sel:WORD_1
	v_bfe_u32 v7, v4, 16, 1
	v_bfe_u32 v6, v3, 16, 1
	v_add3_u32 v4, v4, v7, s4
	v_add3_u32 v3, v3, v6, s4
	v_and_b32_e32 v4, 0xffff0000, v4
	v_mov_b32_e32 v6, 0x7fc00000
	v_cndmask_b32_e32 v4, v6, v4, vcc
	v_cmp_o_f16_e32 vcc, v22, v22
	v_mov_b32_e32 v6, 0x7fc0
	v_cndmask_b32_sdwa v3, v6, v3, vcc dst_sel:DWORD dst_unused:UNUSED_PAD src0_sel:DWORD src1_sel:WORD_1
	v_or_b32_e32 v3, v4, v3
	global_store_dword v[1:2], v3, off
	s_mov_b64 s[4:5], 0
	s_mov_b64 s[10:11], -1
.LBB30_752:
	s_and_b64 vcc, exec, s[12:13]
	s_cbranch_vccz .LBB30_757
; %bb.753:
	s_cmp_eq_u32 s18, 44
	s_mov_b64 s[4:5], -1
	s_cbranch_scc0 .LBB30_757
; %bb.754:
	v_cvt_f32_f16_e32 v3, v22
	s_movk_i32 s4, 0xff
	v_mov_b32_e32 v6, 0xff
	v_bfe_u32 v4, v3, 23, 8
	v_cmp_ne_u32_e32 vcc, s4, v4
	s_and_saveexec_b64 s[10:11], vcc
; %bb.755:
	s_mov_b32 s4, 0x3fffff
	v_lshrrev_b32_e32 v6, 23, v3
	v_and_b32_e32 v7, 0x400000, v3
	v_and_or_b32 v3, v3, s4, v4
	v_cmp_ne_u32_e32 vcc, 0, v7
	v_cmp_ne_u32_e64 s[4:5], 0, v3
	s_and_b64 s[4:5], vcc, s[4:5]
	v_cndmask_b32_e64 v3, 0, 1, s[4:5]
	v_add_u32_e32 v6, v6, v3
; %bb.756:
	s_or_b64 exec, exec, s[10:11]
	s_mov_b64 s[4:5], 0
	s_mov_b64 s[10:11], -1
	global_store_byte v[1:2], v6, off
.LBB30_757:
	s_mov_b64 s[12:13], 0
.LBB30_758:
	s_and_b64 vcc, exec, s[12:13]
	s_cbranch_vccz .LBB30_761
; %bb.759:
	s_cmp_eq_u32 s18, 29
	s_mov_b64 s[4:5], -1
	s_cbranch_scc0 .LBB30_761
; %bb.760:
	v_cvt_f32_f16_e32 v3, v22
	v_mov_b32_e32 v4, 0
	s_mov_b64 s[4:5], 0
	s_mov_b64 s[10:11], -1
	v_cvt_u32_f32_e32 v3, v3
	global_store_dwordx2 v[1:2], v[3:4], off
.LBB30_761:
	s_mov_b64 s[12:13], 0
.LBB30_762:
	s_and_b64 vcc, exec, s[12:13]
	s_cbranch_vccz .LBB30_778
; %bb.763:
	s_cmp_lt_i32 s18, 27
	s_mov_b64 s[10:11], -1
	s_cbranch_scc1 .LBB30_769
; %bb.764:
	s_cmp_gt_i32 s18, 27
	s_cbranch_scc0 .LBB30_766
; %bb.765:
	v_cvt_f32_f16_e32 v3, v22
	s_mov_b64 s[10:11], 0
	v_cvt_u32_f32_e32 v3, v3
	global_store_dword v[1:2], v3, off
.LBB30_766:
	s_andn2_b64 vcc, exec, s[10:11]
	s_cbranch_vccnz .LBB30_768
; %bb.767:
	v_cvt_u16_f16_e32 v3, v22
	global_store_short v[1:2], v3, off
.LBB30_768:
	s_mov_b64 s[10:11], 0
.LBB30_769:
	s_andn2_b64 vcc, exec, s[10:11]
	s_cbranch_vccnz .LBB30_777
; %bb.770:
	v_cvt_f32_f16_e32 v3, v22
	s_mov_b32 s10, 0x43800000
	v_mov_b32_e32 v6, 0x80
	v_and_b32_e32 v4, 0x7fffffff, v3
	v_cmp_gt_u32_e32 vcc, s10, v4
	s_and_saveexec_b64 s[10:11], vcc
	s_cbranch_execz .LBB30_776
; %bb.771:
	s_mov_b32 s12, 0x3bffffff
	v_cmp_lt_u32_e32 vcc, s12, v4
	s_mov_b64 s[12:13], 0
                                        ; implicit-def: $vgpr4
	s_and_saveexec_b64 s[14:15], vcc
	s_xor_b64 s[14:15], exec, s[14:15]
	s_cbranch_execz .LBB30_995
; %bb.772:
	v_bfe_u32 v4, v3, 20, 1
	s_mov_b32 s19, 0x487ffff
	v_add3_u32 v4, v3, v4, s19
	s_mov_b64 s[12:13], exec
	v_lshrrev_b32_e32 v4, 20, v4
	s_andn2_saveexec_b64 s[14:15], s[14:15]
	s_cbranch_execnz .LBB30_996
.LBB30_773:
	s_or_b64 exec, exec, s[14:15]
	v_mov_b32_e32 v6, 0
	s_and_saveexec_b64 s[14:15], s[12:13]
.LBB30_774:
	v_lshrrev_b32_e32 v3, 24, v3
	s_movk_i32 s12, 0x80
	v_and_or_b32 v6, v3, s12, v4
.LBB30_775:
	s_or_b64 exec, exec, s[14:15]
.LBB30_776:
	s_or_b64 exec, exec, s[10:11]
	global_store_byte v[1:2], v6, off
.LBB30_777:
	s_mov_b64 s[10:11], -1
.LBB30_778:
	s_mov_b64 s[12:13], 0
.LBB30_779:
	s_and_b64 vcc, exec, s[12:13]
	s_cbranch_vccz .LBB30_819
; %bb.780:
	s_cmp_gt_i32 s18, 22
	s_mov_b64 s[8:9], -1
	s_cbranch_scc0 .LBB30_812
; %bb.781:
	s_cmp_lt_i32 s18, 24
	s_cbranch_scc1 .LBB30_801
; %bb.782:
	s_cmp_gt_i32 s18, 24
	s_cbranch_scc0 .LBB30_790
; %bb.783:
	v_cvt_f32_f16_e32 v3, v22
	s_mov_b32 s8, 0x47800000
	v_mov_b32_e32 v6, 0x80
	v_and_b32_e32 v4, 0x7fffffff, v3
	v_cmp_gt_u32_e32 vcc, s8, v4
	s_and_saveexec_b64 s[8:9], vcc
	s_cbranch_execz .LBB30_789
; %bb.784:
	s_mov_b32 s10, 0x37ffffff
	v_cmp_lt_u32_e32 vcc, s10, v4
	s_mov_b64 s[10:11], 0
                                        ; implicit-def: $vgpr4
	s_and_saveexec_b64 s[12:13], vcc
	s_xor_b64 s[12:13], exec, s[12:13]
	s_cbranch_execz .LBB30_1000
; %bb.785:
	v_bfe_u32 v4, v3, 21, 1
	s_mov_b32 s14, 0x88fffff
	v_add3_u32 v4, v3, v4, s14
	s_mov_b64 s[10:11], exec
	v_lshrrev_b32_e32 v4, 21, v4
	s_andn2_saveexec_b64 s[12:13], s[12:13]
	s_cbranch_execnz .LBB30_1001
.LBB30_786:
	s_or_b64 exec, exec, s[12:13]
	v_mov_b32_e32 v6, 0
	s_and_saveexec_b64 s[12:13], s[10:11]
.LBB30_787:
	v_lshrrev_b32_e32 v3, 24, v3
	s_movk_i32 s10, 0x80
	v_and_or_b32 v6, v3, s10, v4
.LBB30_788:
	s_or_b64 exec, exec, s[12:13]
.LBB30_789:
	s_or_b64 exec, exec, s[8:9]
	s_mov_b64 s[8:9], 0
	global_store_byte v[1:2], v6, off
.LBB30_790:
	s_and_b64 vcc, exec, s[8:9]
	s_cbranch_vccz .LBB30_800
; %bb.791:
	v_cvt_f32_f16_e32 v3, v22
	s_mov_b32 s8, 0x43f00000
                                        ; implicit-def: $vgpr4
	v_and_b32_e32 v6, 0x7fffffff, v3
	v_cmp_gt_u32_e32 vcc, s8, v6
	s_and_saveexec_b64 s[8:9], vcc
	s_xor_b64 s[8:9], exec, s[8:9]
	s_cbranch_execz .LBB30_797
; %bb.792:
	s_mov_b32 s10, 0x3c7fffff
	v_cmp_lt_u32_e32 vcc, s10, v6
                                        ; implicit-def: $vgpr4
	s_and_saveexec_b64 s[10:11], vcc
	s_xor_b64 s[10:11], exec, s[10:11]
; %bb.793:
	v_bfe_u32 v4, v3, 20, 1
	s_mov_b32 s12, 0x407ffff
	v_add3_u32 v4, v3, v4, s12
	v_lshrrev_b32_e32 v6, 20, v4
	v_and_b32_e32 v4, 0xff00000, v4
	s_mov_b32 s12, 0x7f00000
	v_mov_b32_e32 v7, 0x7e
	v_cmp_ne_u32_e32 vcc, s12, v4
	v_cndmask_b32_e32 v4, v7, v6, vcc
; %bb.794:
	s_andn2_saveexec_b64 s[10:11], s[10:11]
; %bb.795:
	s_mov_b32 s12, 0x46800000
	v_add_f32_e64 v4, |v3|, s12
; %bb.796:
	s_or_b64 exec, exec, s[10:11]
                                        ; implicit-def: $vgpr6
.LBB30_797:
	s_andn2_saveexec_b64 s[8:9], s[8:9]
; %bb.798:
	s_mov_b32 s10, 0x7f800000
	v_mov_b32_e32 v4, 0x7e
	v_mov_b32_e32 v7, 0x7f
	v_cmp_lt_u32_e32 vcc, s10, v6
	v_cndmask_b32_e32 v4, v4, v7, vcc
; %bb.799:
	s_or_b64 exec, exec, s[8:9]
	v_lshrrev_b32_e32 v3, 24, v3
	s_movk_i32 s8, 0x80
	v_and_or_b32 v3, v3, s8, v4
	global_store_byte v[1:2], v3, off
.LBB30_800:
	s_mov_b64 s[8:9], 0
.LBB30_801:
	s_andn2_b64 vcc, exec, s[8:9]
	s_cbranch_vccnz .LBB30_811
; %bb.802:
	v_cvt_f32_f16_e32 v3, v22
	s_mov_b32 s8, 0x47800000
                                        ; implicit-def: $vgpr4
	v_and_b32_e32 v6, 0x7fffffff, v3
	v_cmp_gt_u32_e32 vcc, s8, v6
	s_and_saveexec_b64 s[8:9], vcc
	s_xor_b64 s[8:9], exec, s[8:9]
	s_cbranch_execz .LBB30_808
; %bb.803:
	s_mov_b32 s10, 0x387fffff
	v_cmp_lt_u32_e32 vcc, s10, v6
                                        ; implicit-def: $vgpr4
	s_and_saveexec_b64 s[10:11], vcc
	s_xor_b64 s[10:11], exec, s[10:11]
; %bb.804:
	v_bfe_u32 v4, v3, 21, 1
	s_mov_b32 s12, 0x80fffff
	v_add3_u32 v4, v3, v4, s12
	v_lshrrev_b32_e32 v4, 21, v4
; %bb.805:
	s_andn2_saveexec_b64 s[10:11], s[10:11]
; %bb.806:
	s_mov_b32 s12, 0x43000000
	v_add_f32_e64 v4, |v3|, s12
; %bb.807:
	s_or_b64 exec, exec, s[10:11]
                                        ; implicit-def: $vgpr6
.LBB30_808:
	s_andn2_saveexec_b64 s[8:9], s[8:9]
; %bb.809:
	s_mov_b32 s10, 0x7f800000
	v_mov_b32_e32 v4, 0x7c
	v_mov_b32_e32 v7, 0x7f
	v_cmp_lt_u32_e32 vcc, s10, v6
	v_cndmask_b32_e32 v4, v4, v7, vcc
; %bb.810:
	s_or_b64 exec, exec, s[8:9]
	v_lshrrev_b32_e32 v3, 24, v3
	s_movk_i32 s8, 0x80
	v_and_or_b32 v3, v3, s8, v4
	global_store_byte v[1:2], v3, off
.LBB30_811:
	s_mov_b64 s[8:9], 0
	s_mov_b64 s[10:11], -1
.LBB30_812:
	s_andn2_b64 vcc, exec, s[8:9]
	s_mov_b64 s[8:9], 0
	s_cbranch_vccnz .LBB30_819
; %bb.813:
	s_cmp_gt_i32 s18, 14
	s_mov_b64 s[12:13], -1
	s_cbranch_scc0 .LBB30_817
; %bb.814:
	s_cmp_eq_u32 s18, 15
	s_mov_b64 s[4:5], -1
	s_cbranch_scc0 .LBB30_816
; %bb.815:
	v_cvt_f32_f16_e32 v3, v22
	s_movk_i32 s4, 0x7fff
	v_cmp_o_f16_e32 vcc, v22, v22
	v_mov_b32_e32 v4, 0x7fc0
	v_bfe_u32 v6, v3, 16, 1
	v_add3_u32 v3, v3, v6, s4
	v_cndmask_b32_sdwa v3, v4, v3, vcc dst_sel:DWORD dst_unused:UNUSED_PAD src0_sel:DWORD src1_sel:WORD_1
	global_store_short v[1:2], v3, off
	s_mov_b64 s[4:5], 0
	s_mov_b64 s[10:11], -1
.LBB30_816:
	s_mov_b64 s[12:13], 0
.LBB30_817:
	s_and_b64 vcc, exec, s[12:13]
	s_cbranch_vccz .LBB30_819
; %bb.818:
	s_cmp_lg_u32 s18, 11
	s_mov_b64 s[8:9], -1
	s_cselect_b64 s[4:5], -1, 0
.LBB30_819:
	s_and_b64 vcc, exec, s[4:5]
	s_cbranch_vccnz .LBB30_997
; %bb.820:
	s_andn2_b64 vcc, exec, s[8:9]
	s_cbranch_vccnz .LBB30_822
.LBB30_821:
	v_and_b32_e32 v3, 0x7fff7fff, v22
	v_cmp_ne_u32_e32 vcc, 0, v3
	v_cndmask_b32_e64 v3, 0, 1, vcc
	s_mov_b64 s[10:11], -1
	global_store_byte v[1:2], v3, off
.LBB30_822:
.LBB30_823:
	s_andn2_b64 vcc, exec, s[10:11]
	s_cbranch_vccnz .LBB30_939
.LBB30_824:
	v_add_u32_e32 v1, s17, v5
	v_ashrrev_i32_e32 v2, 31, v1
	v_mov_b32_e32 v3, s37
	v_add_co_u32_e32 v1, vcc, s36, v1
	s_cmp_lt_i32 s16, 11
	v_addc_co_u32_e32 v2, vcc, v3, v2, vcc
	s_cbranch_scc1 .LBB30_984
; %bb.825:
	s_and_b32 s17, 0xffff, s16
	s_mov_b64 s[10:11], -1
	s_mov_b64 s[8:9], 0
	s_cmp_gt_i32 s17, 25
	s_mov_b64 s[4:5], 0
	s_cbranch_scc0 .LBB30_858
; %bb.826:
	s_cmp_gt_i32 s17, 28
	s_cbranch_scc0 .LBB30_842
; %bb.827:
	s_cmp_gt_i32 s17, 43
	;; [unrolled: 3-line block ×3, first 2 shown]
	s_cbranch_scc0 .LBB30_832
; %bb.829:
	s_cmp_eq_u32 s17, 46
	s_mov_b64 s[4:5], -1
	s_cbranch_scc0 .LBB30_831
; %bb.830:
	v_cvt_f32_f16_sdwa v4, v0 dst_sel:DWORD dst_unused:UNUSED_PAD src0_sel:WORD_1
	v_cvt_f32_f16_e32 v3, v0
	s_movk_i32 s4, 0x7fff
	v_cmp_o_f16_sdwa vcc, v0, v0 src0_sel:WORD_1 src1_sel:WORD_1
	v_bfe_u32 v6, v4, 16, 1
	v_bfe_u32 v5, v3, 16, 1
	v_add3_u32 v4, v4, v6, s4
	v_add3_u32 v3, v3, v5, s4
	v_and_b32_e32 v4, 0xffff0000, v4
	v_mov_b32_e32 v5, 0x7fc00000
	v_cndmask_b32_e32 v4, v5, v4, vcc
	v_cmp_o_f16_e32 vcc, v0, v0
	v_mov_b32_e32 v5, 0x7fc0
	v_cndmask_b32_sdwa v3, v5, v3, vcc dst_sel:DWORD dst_unused:UNUSED_PAD src0_sel:DWORD src1_sel:WORD_1
	v_or_b32_e32 v3, v4, v3
	global_store_dword v[1:2], v3, off
	s_mov_b64 s[4:5], 0
.LBB30_831:
	s_mov_b64 s[10:11], 0
.LBB30_832:
	s_and_b64 vcc, exec, s[10:11]
	s_cbranch_vccz .LBB30_837
; %bb.833:
	s_cmp_eq_u32 s17, 44
	s_mov_b64 s[4:5], -1
	s_cbranch_scc0 .LBB30_837
; %bb.834:
	v_cvt_f32_f16_e32 v3, v0
	s_movk_i32 s4, 0xff
	v_mov_b32_e32 v5, 0xff
	v_bfe_u32 v4, v3, 23, 8
	v_cmp_ne_u32_e32 vcc, s4, v4
	s_and_saveexec_b64 s[10:11], vcc
; %bb.835:
	s_mov_b32 s4, 0x3fffff
	v_lshrrev_b32_e32 v5, 23, v3
	v_and_b32_e32 v6, 0x400000, v3
	v_and_or_b32 v3, v3, s4, v4
	v_cmp_ne_u32_e32 vcc, 0, v6
	v_cmp_ne_u32_e64 s[4:5], 0, v3
	s_and_b64 s[4:5], vcc, s[4:5]
	v_cndmask_b32_e64 v3, 0, 1, s[4:5]
	v_add_u32_e32 v5, v5, v3
; %bb.836:
	s_or_b64 exec, exec, s[10:11]
	s_mov_b64 s[4:5], 0
	global_store_byte v[1:2], v5, off
.LBB30_837:
	s_mov_b64 s[10:11], 0
.LBB30_838:
	s_and_b64 vcc, exec, s[10:11]
	s_cbranch_vccz .LBB30_841
; %bb.839:
	s_cmp_eq_u32 s17, 29
	s_mov_b64 s[4:5], -1
	s_cbranch_scc0 .LBB30_841
; %bb.840:
	v_cvt_f32_f16_e32 v3, v0
	v_mov_b32_e32 v4, 0
	s_mov_b64 s[4:5], 0
	v_cvt_u32_f32_e32 v3, v3
	global_store_dwordx2 v[1:2], v[3:4], off
.LBB30_841:
	s_mov_b64 s[10:11], 0
.LBB30_842:
	s_and_b64 vcc, exec, s[10:11]
	s_cbranch_vccz .LBB30_857
; %bb.843:
	s_cmp_lt_i32 s17, 27
	s_mov_b64 s[10:11], -1
	s_cbranch_scc1 .LBB30_849
; %bb.844:
	s_cmp_gt_i32 s17, 27
	s_cbranch_scc0 .LBB30_846
; %bb.845:
	v_cvt_f32_f16_e32 v3, v0
	s_mov_b64 s[10:11], 0
	v_cvt_u32_f32_e32 v3, v3
	global_store_dword v[1:2], v3, off
.LBB30_846:
	s_andn2_b64 vcc, exec, s[10:11]
	s_cbranch_vccnz .LBB30_848
; %bb.847:
	v_cvt_u16_f16_e32 v3, v0
	global_store_short v[1:2], v3, off
.LBB30_848:
	s_mov_b64 s[10:11], 0
.LBB30_849:
	s_andn2_b64 vcc, exec, s[10:11]
	s_cbranch_vccnz .LBB30_857
; %bb.850:
	v_cvt_f32_f16_e32 v3, v0
	s_mov_b32 s10, 0x43800000
	v_mov_b32_e32 v5, 0x80
	v_and_b32_e32 v4, 0x7fffffff, v3
	v_cmp_gt_u32_e32 vcc, s10, v4
	s_and_saveexec_b64 s[10:11], vcc
	s_cbranch_execz .LBB30_856
; %bb.851:
	s_mov_b32 s12, 0x3bffffff
	v_cmp_lt_u32_e32 vcc, s12, v4
	s_mov_b64 s[12:13], 0
                                        ; implicit-def: $vgpr4
	s_and_saveexec_b64 s[14:15], vcc
	s_xor_b64 s[14:15], exec, s[14:15]
	s_cbranch_execz .LBB30_1002
; %bb.852:
	v_bfe_u32 v4, v3, 20, 1
	s_mov_b32 s18, 0x487ffff
	v_add3_u32 v4, v3, v4, s18
	s_mov_b64 s[12:13], exec
	v_lshrrev_b32_e32 v4, 20, v4
	s_andn2_saveexec_b64 s[14:15], s[14:15]
	s_cbranch_execnz .LBB30_1003
.LBB30_853:
	s_or_b64 exec, exec, s[14:15]
	v_mov_b32_e32 v5, 0
	s_and_saveexec_b64 s[14:15], s[12:13]
.LBB30_854:
	v_lshrrev_b32_e32 v3, 24, v3
	s_movk_i32 s12, 0x80
	v_and_or_b32 v5, v3, s12, v4
.LBB30_855:
	s_or_b64 exec, exec, s[14:15]
.LBB30_856:
	s_or_b64 exec, exec, s[10:11]
	global_store_byte v[1:2], v5, off
.LBB30_857:
	s_mov_b64 s[10:11], 0
.LBB30_858:
	s_and_b64 vcc, exec, s[10:11]
	s_cbranch_vccz .LBB30_898
; %bb.859:
	s_cmp_gt_i32 s17, 22
	s_mov_b64 s[8:9], -1
	s_cbranch_scc0 .LBB30_891
; %bb.860:
	s_cmp_lt_i32 s17, 24
	s_cbranch_scc1 .LBB30_880
; %bb.861:
	s_cmp_gt_i32 s17, 24
	s_cbranch_scc0 .LBB30_869
; %bb.862:
	v_cvt_f32_f16_e32 v3, v0
	s_mov_b32 s8, 0x47800000
	v_mov_b32_e32 v5, 0x80
	v_and_b32_e32 v4, 0x7fffffff, v3
	v_cmp_gt_u32_e32 vcc, s8, v4
	s_and_saveexec_b64 s[8:9], vcc
	s_cbranch_execz .LBB30_868
; %bb.863:
	s_mov_b32 s10, 0x37ffffff
	v_cmp_lt_u32_e32 vcc, s10, v4
	s_mov_b64 s[10:11], 0
                                        ; implicit-def: $vgpr4
	s_and_saveexec_b64 s[12:13], vcc
	s_xor_b64 s[12:13], exec, s[12:13]
	s_cbranch_execz .LBB30_1009
; %bb.864:
	v_bfe_u32 v4, v3, 21, 1
	s_mov_b32 s14, 0x88fffff
	v_add3_u32 v4, v3, v4, s14
	s_mov_b64 s[10:11], exec
	v_lshrrev_b32_e32 v4, 21, v4
	s_andn2_saveexec_b64 s[12:13], s[12:13]
	s_cbranch_execnz .LBB30_1010
.LBB30_865:
	s_or_b64 exec, exec, s[12:13]
	v_mov_b32_e32 v5, 0
	s_and_saveexec_b64 s[12:13], s[10:11]
.LBB30_866:
	v_lshrrev_b32_e32 v3, 24, v3
	s_movk_i32 s10, 0x80
	v_and_or_b32 v5, v3, s10, v4
.LBB30_867:
	s_or_b64 exec, exec, s[12:13]
.LBB30_868:
	s_or_b64 exec, exec, s[8:9]
	s_mov_b64 s[8:9], 0
	global_store_byte v[1:2], v5, off
.LBB30_869:
	s_and_b64 vcc, exec, s[8:9]
	s_cbranch_vccz .LBB30_879
; %bb.870:
	v_cvt_f32_f16_e32 v3, v0
	s_mov_b32 s8, 0x43f00000
                                        ; implicit-def: $vgpr4
	v_and_b32_e32 v5, 0x7fffffff, v3
	v_cmp_gt_u32_e32 vcc, s8, v5
	s_and_saveexec_b64 s[8:9], vcc
	s_xor_b64 s[8:9], exec, s[8:9]
	s_cbranch_execz .LBB30_876
; %bb.871:
	s_mov_b32 s10, 0x3c7fffff
	v_cmp_lt_u32_e32 vcc, s10, v5
                                        ; implicit-def: $vgpr4
	s_and_saveexec_b64 s[10:11], vcc
	s_xor_b64 s[10:11], exec, s[10:11]
; %bb.872:
	v_bfe_u32 v4, v3, 20, 1
	s_mov_b32 s12, 0x407ffff
	v_add3_u32 v4, v3, v4, s12
	v_lshrrev_b32_e32 v5, 20, v4
	v_and_b32_e32 v4, 0xff00000, v4
	s_mov_b32 s12, 0x7f00000
	v_mov_b32_e32 v6, 0x7e
	v_cmp_ne_u32_e32 vcc, s12, v4
	v_cndmask_b32_e32 v4, v6, v5, vcc
; %bb.873:
	s_andn2_saveexec_b64 s[10:11], s[10:11]
; %bb.874:
	s_mov_b32 s12, 0x46800000
	v_add_f32_e64 v4, |v3|, s12
; %bb.875:
	s_or_b64 exec, exec, s[10:11]
                                        ; implicit-def: $vgpr5
.LBB30_876:
	s_andn2_saveexec_b64 s[8:9], s[8:9]
; %bb.877:
	s_mov_b32 s10, 0x7f800000
	v_mov_b32_e32 v4, 0x7e
	v_mov_b32_e32 v6, 0x7f
	v_cmp_lt_u32_e32 vcc, s10, v5
	v_cndmask_b32_e32 v4, v4, v6, vcc
; %bb.878:
	s_or_b64 exec, exec, s[8:9]
	v_lshrrev_b32_e32 v3, 24, v3
	s_movk_i32 s8, 0x80
	v_and_or_b32 v3, v3, s8, v4
	global_store_byte v[1:2], v3, off
.LBB30_879:
	s_mov_b64 s[8:9], 0
.LBB30_880:
	s_andn2_b64 vcc, exec, s[8:9]
	s_cbranch_vccnz .LBB30_890
; %bb.881:
	v_cvt_f32_f16_e32 v3, v0
	s_mov_b32 s8, 0x47800000
                                        ; implicit-def: $vgpr4
	v_and_b32_e32 v5, 0x7fffffff, v3
	v_cmp_gt_u32_e32 vcc, s8, v5
	s_and_saveexec_b64 s[8:9], vcc
	s_xor_b64 s[8:9], exec, s[8:9]
	s_cbranch_execz .LBB30_887
; %bb.882:
	s_mov_b32 s10, 0x387fffff
	v_cmp_lt_u32_e32 vcc, s10, v5
                                        ; implicit-def: $vgpr4
	s_and_saveexec_b64 s[10:11], vcc
	s_xor_b64 s[10:11], exec, s[10:11]
; %bb.883:
	v_bfe_u32 v4, v3, 21, 1
	s_mov_b32 s12, 0x80fffff
	v_add3_u32 v4, v3, v4, s12
	v_lshrrev_b32_e32 v4, 21, v4
; %bb.884:
	s_andn2_saveexec_b64 s[10:11], s[10:11]
; %bb.885:
	s_mov_b32 s12, 0x43000000
	v_add_f32_e64 v4, |v3|, s12
; %bb.886:
	s_or_b64 exec, exec, s[10:11]
                                        ; implicit-def: $vgpr5
.LBB30_887:
	s_andn2_saveexec_b64 s[8:9], s[8:9]
; %bb.888:
	s_mov_b32 s10, 0x7f800000
	v_mov_b32_e32 v4, 0x7c
	v_mov_b32_e32 v6, 0x7f
	v_cmp_lt_u32_e32 vcc, s10, v5
	v_cndmask_b32_e32 v4, v4, v6, vcc
; %bb.889:
	s_or_b64 exec, exec, s[8:9]
	v_lshrrev_b32_e32 v3, 24, v3
	s_movk_i32 s8, 0x80
	v_and_or_b32 v3, v3, s8, v4
	global_store_byte v[1:2], v3, off
.LBB30_890:
	s_mov_b64 s[8:9], 0
.LBB30_891:
	s_andn2_b64 vcc, exec, s[8:9]
	s_mov_b64 s[8:9], 0
	s_cbranch_vccnz .LBB30_898
; %bb.892:
	s_cmp_gt_i32 s17, 14
	s_mov_b64 s[10:11], -1
	s_cbranch_scc0 .LBB30_896
; %bb.893:
	s_cmp_eq_u32 s17, 15
	s_mov_b64 s[4:5], -1
	s_cbranch_scc0 .LBB30_895
; %bb.894:
	v_cvt_f32_f16_e32 v3, v0
	s_movk_i32 s4, 0x7fff
	v_cmp_o_f16_e32 vcc, v0, v0
	v_mov_b32_e32 v4, 0x7fc0
	v_bfe_u32 v5, v3, 16, 1
	v_add3_u32 v3, v3, v5, s4
	v_cndmask_b32_sdwa v3, v4, v3, vcc dst_sel:DWORD dst_unused:UNUSED_PAD src0_sel:DWORD src1_sel:WORD_1
	global_store_short v[1:2], v3, off
	s_mov_b64 s[4:5], 0
.LBB30_895:
	s_mov_b64 s[10:11], 0
.LBB30_896:
	s_and_b64 vcc, exec, s[10:11]
	s_cbranch_vccz .LBB30_898
; %bb.897:
	s_cmp_lg_u32 s17, 11
	s_mov_b64 s[8:9], -1
	s_cselect_b64 s[4:5], -1, 0
.LBB30_898:
	s_and_b64 vcc, exec, s[4:5]
	s_cbranch_vccnz .LBB30_1004
.LBB30_899:
	s_mov_b64 s[4:5], 0
	s_branch .LBB30_940
.LBB30_900:
	s_mov_b64 s[10:11], 0
	s_cbranch_execz .LBB30_823
; %bb.901:
	s_and_b32 s8, 0xffff, s16
	s_cmp_lt_i32 s8, 5
	s_mov_b64 s[4:5], -1
	s_cbranch_scc1 .LBB30_922
; %bb.902:
	s_cmp_lt_i32 s8, 8
	s_cbranch_scc1 .LBB30_912
; %bb.903:
	s_cmp_lt_i32 s8, 9
	s_cbranch_scc1 .LBB30_909
; %bb.904:
	v_cvt_f32_f16_sdwa v4, v22 dst_sel:DWORD dst_unused:UNUSED_PAD src0_sel:WORD_1
	s_cmp_gt_i32 s8, 9
	s_cbranch_scc0 .LBB30_906
; %bb.905:
	v_cvt_f32_f16_e32 v3, v22
	v_cvt_f64_f32_e32 v[8:9], v4
	s_mov_b64 s[4:5], 0
	v_cvt_f64_f32_e32 v[6:7], v3
	global_store_dwordx4 v[1:2], v[6:9], off
.LBB30_906:
	s_andn2_b64 vcc, exec, s[4:5]
	s_cbranch_vccnz .LBB30_908
; %bb.907:
	v_cvt_f32_f16_e32 v3, v22
	global_store_dwordx2 v[1:2], v[3:4], off
.LBB30_908:
	s_mov_b64 s[4:5], 0
.LBB30_909:
	s_andn2_b64 vcc, exec, s[4:5]
	s_cbranch_vccnz .LBB30_911
; %bb.910:
	global_store_dword v[1:2], v22, off
.LBB30_911:
	s_mov_b64 s[4:5], 0
.LBB30_912:
	s_andn2_b64 vcc, exec, s[4:5]
	s_cbranch_vccnz .LBB30_921
; %bb.913:
	s_cmp_lt_i32 s8, 6
	s_mov_b64 s[4:5], -1
	s_cbranch_scc1 .LBB30_919
; %bb.914:
	s_cmp_gt_i32 s8, 6
	s_cbranch_scc0 .LBB30_916
; %bb.915:
	v_cvt_f32_f16_e32 v3, v22
	s_mov_b64 s[4:5], 0
	v_cvt_f64_f32_e32 v[3:4], v3
	global_store_dwordx2 v[1:2], v[3:4], off
.LBB30_916:
	s_andn2_b64 vcc, exec, s[4:5]
	s_cbranch_vccnz .LBB30_918
; %bb.917:
	v_cvt_f32_f16_e32 v3, v22
	global_store_dword v[1:2], v3, off
.LBB30_918:
	s_mov_b64 s[4:5], 0
.LBB30_919:
	s_andn2_b64 vcc, exec, s[4:5]
	s_cbranch_vccnz .LBB30_921
; %bb.920:
	global_store_short v[1:2], v22, off
.LBB30_921:
	s_mov_b64 s[4:5], 0
.LBB30_922:
	s_andn2_b64 vcc, exec, s[4:5]
	s_cbranch_vccnz .LBB30_938
; %bb.923:
	s_cmp_lt_i32 s8, 2
	s_mov_b64 s[4:5], -1
	s_cbranch_scc1 .LBB30_933
; %bb.924:
	s_cmp_lt_i32 s8, 3
	s_cbranch_scc1 .LBB30_930
; %bb.925:
	s_cmp_gt_i32 s8, 3
	s_cbranch_scc0 .LBB30_927
; %bb.926:
	v_cvt_f32_f16_e32 v3, v22
	s_mov_b64 s[4:5], 0
	v_cvt_i32_f32_e32 v3, v3
	v_ashrrev_i32_e32 v4, 31, v3
	global_store_dwordx2 v[1:2], v[3:4], off
.LBB30_927:
	s_andn2_b64 vcc, exec, s[4:5]
	s_cbranch_vccnz .LBB30_929
; %bb.928:
	v_cvt_f32_f16_e32 v3, v22
	v_cvt_i32_f32_e32 v3, v3
	global_store_dword v[1:2], v3, off
.LBB30_929:
	s_mov_b64 s[4:5], 0
.LBB30_930:
	s_andn2_b64 vcc, exec, s[4:5]
	s_cbranch_vccnz .LBB30_932
; %bb.931:
	v_cvt_i16_f16_e32 v3, v22
	global_store_short v[1:2], v3, off
.LBB30_932:
	s_mov_b64 s[4:5], 0
.LBB30_933:
	s_andn2_b64 vcc, exec, s[4:5]
	s_cbranch_vccnz .LBB30_938
; %bb.934:
	s_cmp_gt_i32 s8, 0
	s_mov_b64 s[4:5], -1
	s_cbranch_scc0 .LBB30_936
; %bb.935:
	v_cvt_i16_f16_e32 v3, v22
	global_store_byte v[1:2], v3, off
	s_mov_b64 s[4:5], 0
.LBB30_936:
	s_andn2_b64 vcc, exec, s[4:5]
	s_cbranch_vccnz .LBB30_938
; %bb.937:
	v_cvt_f32_f16_e32 v3, v22
	v_cvt_i32_f32_e32 v3, v3
	global_store_byte v[1:2], v3, off
.LBB30_938:
	s_branch .LBB30_824
.LBB30_939:
	s_mov_b64 s[4:5], 0
	s_mov_b64 s[8:9], 0
                                        ; implicit-def: $sgpr16
                                        ; implicit-def: $vgpr1_vgpr2
.LBB30_940:
	s_and_b64 s[34:35], s[8:9], exec
	s_andn2_b64 s[8:9], s[42:43], exec
	s_and_b64 s[6:7], s[6:7], exec
	s_and_b64 s[4:5], s[4:5], exec
	s_or_b64 s[42:43], s[8:9], s[6:7]
.LBB30_941:
	s_or_b64 exec, exec, s[40:41]
	s_and_saveexec_b64 s[6:7], s[42:43]
	s_cbranch_execz .LBB30_944
; %bb.942:
	; divergent unreachable
	s_or_b64 exec, exec, s[6:7]
	s_and_saveexec_b64 s[6:7], s[34:35]
	s_xor_b64 s[6:7], exec, s[6:7]
	s_cbranch_execnz .LBB30_945
.LBB30_943:
	s_or_b64 exec, exec, s[6:7]
	s_and_saveexec_b64 s[6:7], s[4:5]
	s_cbranch_execnz .LBB30_946
	s_branch .LBB30_983
.LBB30_944:
	s_or_b64 exec, exec, s[6:7]
	s_and_saveexec_b64 s[6:7], s[34:35]
	s_xor_b64 s[6:7], exec, s[6:7]
	s_cbranch_execz .LBB30_943
.LBB30_945:
	v_and_b32_e32 v3, 0x7fff7fff, v0
	v_cmp_ne_u32_e32 vcc, 0, v3
	v_cndmask_b32_e64 v3, 0, 1, vcc
	global_store_byte v[1:2], v3, off
	s_or_b64 exec, exec, s[6:7]
	s_and_saveexec_b64 s[6:7], s[4:5]
	s_cbranch_execz .LBB30_983
.LBB30_946:
	s_sext_i32_i16 s6, s16
	s_cmp_lt_i32 s6, 5
	s_mov_b64 s[4:5], -1
	s_cbranch_scc1 .LBB30_967
; %bb.947:
	s_cmp_lt_i32 s6, 8
	s_cbranch_scc1 .LBB30_957
; %bb.948:
	s_cmp_lt_i32 s6, 9
	s_cbranch_scc1 .LBB30_954
; %bb.949:
	v_cvt_f32_f16_sdwa v4, v0 dst_sel:DWORD dst_unused:UNUSED_PAD src0_sel:WORD_1
	s_cmp_gt_i32 s6, 9
	s_cbranch_scc0 .LBB30_951
; %bb.950:
	v_cvt_f32_f16_e32 v3, v0
	v_cvt_f64_f32_e32 v[7:8], v4
	s_mov_b64 s[4:5], 0
	v_cvt_f64_f32_e32 v[5:6], v3
	global_store_dwordx4 v[1:2], v[5:8], off
.LBB30_951:
	s_andn2_b64 vcc, exec, s[4:5]
	s_cbranch_vccnz .LBB30_953
; %bb.952:
	v_cvt_f32_f16_e32 v3, v0
	global_store_dwordx2 v[1:2], v[3:4], off
.LBB30_953:
	s_mov_b64 s[4:5], 0
.LBB30_954:
	s_andn2_b64 vcc, exec, s[4:5]
	s_cbranch_vccnz .LBB30_956
; %bb.955:
	global_store_dword v[1:2], v0, off
.LBB30_956:
	s_mov_b64 s[4:5], 0
.LBB30_957:
	s_andn2_b64 vcc, exec, s[4:5]
	s_cbranch_vccnz .LBB30_966
; %bb.958:
	s_sext_i32_i16 s6, s16
	s_cmp_lt_i32 s6, 6
	s_mov_b64 s[4:5], -1
	s_cbranch_scc1 .LBB30_964
; %bb.959:
	s_cmp_gt_i32 s6, 6
	s_cbranch_scc0 .LBB30_961
; %bb.960:
	v_cvt_f32_f16_e32 v3, v0
	s_mov_b64 s[4:5], 0
	v_cvt_f64_f32_e32 v[3:4], v3
	global_store_dwordx2 v[1:2], v[3:4], off
.LBB30_961:
	s_andn2_b64 vcc, exec, s[4:5]
	s_cbranch_vccnz .LBB30_963
; %bb.962:
	v_cvt_f32_f16_e32 v3, v0
	global_store_dword v[1:2], v3, off
.LBB30_963:
	s_mov_b64 s[4:5], 0
.LBB30_964:
	s_andn2_b64 vcc, exec, s[4:5]
	s_cbranch_vccnz .LBB30_966
; %bb.965:
	global_store_short v[1:2], v0, off
.LBB30_966:
	s_mov_b64 s[4:5], 0
.LBB30_967:
	s_andn2_b64 vcc, exec, s[4:5]
	s_cbranch_vccnz .LBB30_983
; %bb.968:
	s_sext_i32_i16 s6, s16
	s_cmp_lt_i32 s6, 2
	s_mov_b64 s[4:5], -1
	s_cbranch_scc1 .LBB30_978
; %bb.969:
	s_cmp_lt_i32 s6, 3
	s_cbranch_scc1 .LBB30_975
; %bb.970:
	s_cmp_gt_i32 s6, 3
	s_cbranch_scc0 .LBB30_972
; %bb.971:
	v_cvt_f32_f16_e32 v3, v0
	s_mov_b64 s[4:5], 0
	v_cvt_i32_f32_e32 v3, v3
	v_ashrrev_i32_e32 v4, 31, v3
	global_store_dwordx2 v[1:2], v[3:4], off
.LBB30_972:
	s_andn2_b64 vcc, exec, s[4:5]
	s_cbranch_vccnz .LBB30_974
; %bb.973:
	v_cvt_f32_f16_e32 v3, v0
	v_cvt_i32_f32_e32 v3, v3
	global_store_dword v[1:2], v3, off
.LBB30_974:
	s_mov_b64 s[4:5], 0
.LBB30_975:
	s_andn2_b64 vcc, exec, s[4:5]
	s_cbranch_vccnz .LBB30_977
; %bb.976:
	v_cvt_i16_f16_e32 v3, v0
	global_store_short v[1:2], v3, off
.LBB30_977:
	s_mov_b64 s[4:5], 0
.LBB30_978:
	s_andn2_b64 vcc, exec, s[4:5]
	s_cbranch_vccnz .LBB30_983
; %bb.979:
	s_sext_i32_i16 s4, s16
	s_cmp_gt_i32 s4, 0
	s_mov_b64 s[4:5], -1
	s_cbranch_scc0 .LBB30_981
; %bb.980:
	v_cvt_i16_f16_e32 v3, v0
	global_store_byte v[1:2], v3, off
	s_mov_b64 s[4:5], 0
.LBB30_981:
	s_andn2_b64 vcc, exec, s[4:5]
	s_cbranch_vccnz .LBB30_983
; %bb.982:
	v_cvt_f32_f16_e32 v0, v0
	v_cvt_i32_f32_e32 v0, v0
	global_store_byte v[1:2], v0, off
	s_endpgm
.LBB30_983:
	s_endpgm
.LBB30_984:
	s_mov_b64 s[8:9], 0
	s_mov_b64 s[4:5], -1
	s_branch .LBB30_940
.LBB30_985:
	s_andn2_saveexec_b64 s[12:13], s[12:13]
	s_cbranch_execz .LBB30_537
.LBB30_986:
	s_mov_b32 s15, 0x46000000
	v_add_f32_e64 v4, |v3|, s15
	v_and_b32_e32 v4, 0xff, v4
	v_cmp_ne_u32_e32 vcc, 0, v4
	s_andn2_b64 s[10:11], s[10:11], exec
	s_and_b64 s[18:19], vcc, exec
	s_or_b64 s[10:11], s[10:11], s[18:19]
	s_or_b64 exec, exec, s[12:13]
	v_mov_b32_e32 v6, 0
	s_and_saveexec_b64 s[12:13], s[10:11]
	s_cbranch_execnz .LBB30_538
	s_branch .LBB30_539
.LBB30_987:
	s_or_b64 s[6:7], s[42:43], exec
	s_trap 2
	s_cbranch_execz .LBB30_585
	s_branch .LBB30_586
.LBB30_988:
	s_andn2_saveexec_b64 s[10:11], s[10:11]
	s_cbranch_execz .LBB30_550
.LBB30_989:
	s_mov_b32 s12, 0x42800000
	v_add_f32_e64 v4, |v3|, s12
	v_and_b32_e32 v4, 0xff, v4
	v_cmp_ne_u32_e32 vcc, 0, v4
	s_andn2_b64 s[8:9], s[8:9], exec
	s_and_b64 s[12:13], vcc, exec
	s_or_b64 s[8:9], s[8:9], s[12:13]
	s_or_b64 exec, exec, s[10:11]
	v_mov_b32_e32 v6, 0
	s_and_saveexec_b64 s[10:11], s[8:9]
	s_cbranch_execnz .LBB30_551
	s_branch .LBB30_552
.LBB30_990:
	s_andn2_saveexec_b64 s[14:15], s[14:15]
	s_cbranch_execz .LBB30_655
.LBB30_991:
	s_mov_b32 s19, 0x46000000
	v_add_f32_e64 v4, |v3|, s19
	v_and_b32_e32 v4, 0xff, v4
	v_cmp_ne_u32_e32 vcc, 0, v4
	s_andn2_b64 s[12:13], s[12:13], exec
	s_and_b64 s[20:21], vcc, exec
	s_or_b64 s[12:13], s[12:13], s[20:21]
	s_or_b64 exec, exec, s[14:15]
	v_mov_b32_e32 v6, 0
	s_and_saveexec_b64 s[14:15], s[12:13]
	s_cbranch_execnz .LBB30_656
	s_branch .LBB30_657
.LBB30_992:
	s_trap 2
	s_or_b64 s[6:7], s[6:7], exec
	s_cbranch_execz .LBB30_703
	s_branch .LBB30_704
.LBB30_993:
	s_andn2_saveexec_b64 s[12:13], s[12:13]
	s_cbranch_execz .LBB30_668
.LBB30_994:
	s_mov_b32 s14, 0x42800000
	v_add_f32_e64 v4, |v3|, s14
	v_and_b32_e32 v4, 0xff, v4
	v_cmp_ne_u32_e32 vcc, 0, v4
	s_andn2_b64 s[10:11], s[10:11], exec
	s_and_b64 s[14:15], vcc, exec
	s_or_b64 s[10:11], s[10:11], s[14:15]
	s_or_b64 exec, exec, s[12:13]
	v_mov_b32_e32 v6, 0
	s_and_saveexec_b64 s[12:13], s[10:11]
	s_cbranch_execnz .LBB30_669
	s_branch .LBB30_670
.LBB30_995:
	s_andn2_saveexec_b64 s[14:15], s[14:15]
	s_cbranch_execz .LBB30_773
.LBB30_996:
	s_mov_b32 s19, 0x46000000
	v_add_f32_e64 v4, |v3|, s19
	v_and_b32_e32 v4, 0xff, v4
	v_cmp_ne_u32_e32 vcc, 0, v4
	s_andn2_b64 s[12:13], s[12:13], exec
	s_and_b64 s[20:21], vcc, exec
	s_or_b64 s[12:13], s[12:13], s[20:21]
	s_or_b64 exec, exec, s[14:15]
	v_mov_b32_e32 v6, 0
	s_and_saveexec_b64 s[14:15], s[12:13]
	s_cbranch_execnz .LBB30_774
	s_branch .LBB30_775
.LBB30_997:
	s_trap 2
	s_or_b64 s[6:7], s[6:7], exec
	s_cbranch_execz .LBB30_821
	s_branch .LBB30_822
.LBB30_998:
	s_andn2_saveexec_b64 s[10:11], s[10:11]
	s_cbranch_execz .LBB30_295
.LBB30_999:
	s_mov_b32 s14, 0x46000000
	v_add_f32_e64 v4, |v3|, s14
	v_and_b32_e32 v4, 0xff, v4
	v_cmp_ne_u32_e32 vcc, 0, v4
	s_andn2_b64 s[8:9], s[8:9], exec
	s_and_b64 s[14:15], vcc, exec
	s_or_b64 s[8:9], s[8:9], s[14:15]
	s_or_b64 exec, exec, s[10:11]
	v_mov_b32_e32 v5, 0
	s_and_saveexec_b64 s[10:11], s[8:9]
	s_cbranch_execnz .LBB30_296
	s_branch .LBB30_297
.LBB30_1000:
	s_andn2_saveexec_b64 s[12:13], s[12:13]
	s_cbranch_execz .LBB30_786
.LBB30_1001:
	s_mov_b32 s14, 0x42800000
	v_add_f32_e64 v4, |v3|, s14
	v_and_b32_e32 v4, 0xff, v4
	v_cmp_ne_u32_e32 vcc, 0, v4
	s_andn2_b64 s[10:11], s[10:11], exec
	s_and_b64 s[14:15], vcc, exec
	s_or_b64 s[10:11], s[10:11], s[14:15]
	s_or_b64 exec, exec, s[12:13]
	v_mov_b32_e32 v6, 0
	s_and_saveexec_b64 s[12:13], s[10:11]
	s_cbranch_execnz .LBB30_787
	s_branch .LBB30_788
.LBB30_1002:
	s_andn2_saveexec_b64 s[14:15], s[14:15]
	s_cbranch_execz .LBB30_853
.LBB30_1003:
	s_mov_b32 s18, 0x46000000
	v_add_f32_e64 v4, |v3|, s18
	v_and_b32_e32 v4, 0xff, v4
	v_cmp_ne_u32_e32 vcc, 0, v4
	s_andn2_b64 s[12:13], s[12:13], exec
	s_and_b64 s[18:19], vcc, exec
	s_or_b64 s[12:13], s[12:13], s[18:19]
	s_or_b64 exec, exec, s[14:15]
	v_mov_b32_e32 v5, 0
	s_and_saveexec_b64 s[14:15], s[12:13]
	s_cbranch_execnz .LBB30_854
	s_branch .LBB30_855
.LBB30_1004:
	s_mov_b64 s[8:9], 0
	s_or_b64 s[6:7], s[6:7], exec
	s_trap 2
	s_branch .LBB30_899
.LBB30_1005:
	s_andn2_saveexec_b64 s[10:11], s[10:11]
	s_cbranch_execz .LBB30_308
.LBB30_1006:
	s_mov_b32 s14, 0x42800000
	v_add_f32_e64 v4, |v3|, s14
	v_and_b32_e32 v4, 0xff, v4
	v_cmp_ne_u32_e32 vcc, 0, v4
	s_andn2_b64 s[8:9], s[8:9], exec
	s_and_b64 s[14:15], vcc, exec
	s_or_b64 s[8:9], s[8:9], s[14:15]
	s_or_b64 exec, exec, s[10:11]
	v_mov_b32_e32 v5, 0
	s_and_saveexec_b64 s[10:11], s[8:9]
	s_cbranch_execnz .LBB30_309
	s_branch .LBB30_310
.LBB30_1007:
	s_andn2_saveexec_b64 s[10:11], s[10:11]
	s_cbranch_execz .LBB30_418
.LBB30_1008:
	s_mov_b32 s12, 0x46000000
	v_add_f32_e64 v4, |v3|, s12
	v_and_b32_e32 v4, 0xff, v4
	v_cmp_ne_u32_e32 vcc, 0, v4
	s_andn2_b64 s[8:9], s[8:9], exec
	s_and_b64 s[12:13], vcc, exec
	s_or_b64 s[8:9], s[8:9], s[12:13]
	s_or_b64 exec, exec, s[10:11]
	v_mov_b32_e32 v5, 0
	s_and_saveexec_b64 s[10:11], s[8:9]
	s_cbranch_execnz .LBB30_419
	s_branch .LBB30_420
.LBB30_1009:
	s_andn2_saveexec_b64 s[12:13], s[12:13]
	s_cbranch_execz .LBB30_865
.LBB30_1010:
	s_mov_b32 s14, 0x42800000
	v_add_f32_e64 v4, |v3|, s14
	v_and_b32_e32 v4, 0xff, v4
	v_cmp_ne_u32_e32 vcc, 0, v4
	s_andn2_b64 s[10:11], s[10:11], exec
	s_and_b64 s[14:15], vcc, exec
	s_or_b64 s[10:11], s[10:11], s[14:15]
	s_or_b64 exec, exec, s[12:13]
	v_mov_b32_e32 v5, 0
	s_and_saveexec_b64 s[12:13], s[10:11]
	s_cbranch_execnz .LBB30_866
	s_branch .LBB30_867
.LBB30_1011:
	s_andn2_saveexec_b64 s[12:13], s[12:13]
	s_cbranch_execz .LBB30_430
.LBB30_1012:
	s_mov_b32 s16, 0x42800000
	v_add_f32_e64 v4, |v3|, s16
	v_and_b32_e32 v4, 0xff, v4
	v_cmp_ne_u32_e32 vcc, 0, v4
	s_andn2_b64 s[10:11], s[10:11], exec
	s_and_b64 s[16:17], vcc, exec
	s_or_b64 s[10:11], s[10:11], s[16:17]
	s_or_b64 exec, exec, s[12:13]
	v_mov_b32_e32 v5, 0
	s_and_saveexec_b64 s[12:13], s[10:11]
	s_cbranch_execnz .LBB30_431
	s_branch .LBB30_432
	.section	.rodata,"a",@progbits
	.p2align	6, 0x0
	.amdhsa_kernel _ZN2at6native32elementwise_kernel_manual_unrollILi128ELi4EZNS0_15gpu_kernel_implIZZZNS0_16asin_kernel_cudaERNS_18TensorIteratorBaseEENKUlvE_clEvENKUlvE1_clEvEUlN3c107complexINS7_4HalfEEEE_EEvS4_RKT_EUlibE_EEviT1_
		.amdhsa_group_segment_fixed_size 0
		.amdhsa_private_segment_fixed_size 12
		.amdhsa_kernarg_size 40
		.amdhsa_user_sgpr_count 8
		.amdhsa_user_sgpr_private_segment_buffer 1
		.amdhsa_user_sgpr_dispatch_ptr 0
		.amdhsa_user_sgpr_queue_ptr 0
		.amdhsa_user_sgpr_kernarg_segment_ptr 1
		.amdhsa_user_sgpr_dispatch_id 0
		.amdhsa_user_sgpr_flat_scratch_init 1
		.amdhsa_user_sgpr_private_segment_size 0
		.amdhsa_uses_dynamic_stack 0
		.amdhsa_system_sgpr_private_segment_wavefront_offset 1
		.amdhsa_system_sgpr_workgroup_id_x 1
		.amdhsa_system_sgpr_workgroup_id_y 0
		.amdhsa_system_sgpr_workgroup_id_z 0
		.amdhsa_system_sgpr_workgroup_info 0
		.amdhsa_system_vgpr_workitem_id 0
		.amdhsa_next_free_vgpr 27
		.amdhsa_next_free_sgpr 56
		.amdhsa_reserve_vcc 1
		.amdhsa_reserve_flat_scratch 1
		.amdhsa_float_round_mode_32 0
		.amdhsa_float_round_mode_16_64 0
		.amdhsa_float_denorm_mode_32 3
		.amdhsa_float_denorm_mode_16_64 3
		.amdhsa_dx10_clamp 1
		.amdhsa_ieee_mode 1
		.amdhsa_fp16_overflow 0
		.amdhsa_exception_fp_ieee_invalid_op 0
		.amdhsa_exception_fp_denorm_src 0
		.amdhsa_exception_fp_ieee_div_zero 0
		.amdhsa_exception_fp_ieee_overflow 0
		.amdhsa_exception_fp_ieee_underflow 0
		.amdhsa_exception_fp_ieee_inexact 0
		.amdhsa_exception_int_div_zero 0
	.end_amdhsa_kernel
	.section	.text._ZN2at6native32elementwise_kernel_manual_unrollILi128ELi4EZNS0_15gpu_kernel_implIZZZNS0_16asin_kernel_cudaERNS_18TensorIteratorBaseEENKUlvE_clEvENKUlvE1_clEvEUlN3c107complexINS7_4HalfEEEE_EEvS4_RKT_EUlibE_EEviT1_,"axG",@progbits,_ZN2at6native32elementwise_kernel_manual_unrollILi128ELi4EZNS0_15gpu_kernel_implIZZZNS0_16asin_kernel_cudaERNS_18TensorIteratorBaseEENKUlvE_clEvENKUlvE1_clEvEUlN3c107complexINS7_4HalfEEEE_EEvS4_RKT_EUlibE_EEviT1_,comdat
.Lfunc_end30:
	.size	_ZN2at6native32elementwise_kernel_manual_unrollILi128ELi4EZNS0_15gpu_kernel_implIZZZNS0_16asin_kernel_cudaERNS_18TensorIteratorBaseEENKUlvE_clEvENKUlvE1_clEvEUlN3c107complexINS7_4HalfEEEE_EEvS4_RKT_EUlibE_EEviT1_, .Lfunc_end30-_ZN2at6native32elementwise_kernel_manual_unrollILi128ELi4EZNS0_15gpu_kernel_implIZZZNS0_16asin_kernel_cudaERNS_18TensorIteratorBaseEENKUlvE_clEvENKUlvE1_clEvEUlN3c107complexINS7_4HalfEEEE_EEvS4_RKT_EUlibE_EEviT1_
                                        ; -- End function
	.set _ZN2at6native32elementwise_kernel_manual_unrollILi128ELi4EZNS0_15gpu_kernel_implIZZZNS0_16asin_kernel_cudaERNS_18TensorIteratorBaseEENKUlvE_clEvENKUlvE1_clEvEUlN3c107complexINS7_4HalfEEEE_EEvS4_RKT_EUlibE_EEviT1_.num_vgpr, max(27, .L_ZN2at6native6invokeIZZZNS0_16asin_kernel_cudaERNS_18TensorIteratorBaseEENKUlvE_clEvENKUlvE1_clEvEUlN3c107complexINS6_4HalfEEEE_i15function_traitsISA_EEENT1_11result_typeERKT_PrKPcPKT0_PKNS6_10ScalarTypeEi.num_vgpr)
	.set _ZN2at6native32elementwise_kernel_manual_unrollILi128ELi4EZNS0_15gpu_kernel_implIZZZNS0_16asin_kernel_cudaERNS_18TensorIteratorBaseEENKUlvE_clEvENKUlvE1_clEvEUlN3c107complexINS7_4HalfEEEE_EEvS4_RKT_EUlibE_EEviT1_.num_agpr, max(0, .L_ZN2at6native6invokeIZZZNS0_16asin_kernel_cudaERNS_18TensorIteratorBaseEENKUlvE_clEvENKUlvE1_clEvEUlN3c107complexINS6_4HalfEEEE_i15function_traitsISA_EEENT1_11result_typeERKT_PrKPcPKT0_PKNS6_10ScalarTypeEi.num_agpr)
	.set _ZN2at6native32elementwise_kernel_manual_unrollILi128ELi4EZNS0_15gpu_kernel_implIZZZNS0_16asin_kernel_cudaERNS_18TensorIteratorBaseEENKUlvE_clEvENKUlvE1_clEvEUlN3c107complexINS7_4HalfEEEE_EEvS4_RKT_EUlibE_EEviT1_.numbered_sgpr, max(56, .L_ZN2at6native6invokeIZZZNS0_16asin_kernel_cudaERNS_18TensorIteratorBaseEENKUlvE_clEvENKUlvE1_clEvEUlN3c107complexINS6_4HalfEEEE_i15function_traitsISA_EEENT1_11result_typeERKT_PrKPcPKT0_PKNS6_10ScalarTypeEi.numbered_sgpr)
	.set _ZN2at6native32elementwise_kernel_manual_unrollILi128ELi4EZNS0_15gpu_kernel_implIZZZNS0_16asin_kernel_cudaERNS_18TensorIteratorBaseEENKUlvE_clEvENKUlvE1_clEvEUlN3c107complexINS7_4HalfEEEE_EEvS4_RKT_EUlibE_EEviT1_.num_named_barrier, max(0, .L_ZN2at6native6invokeIZZZNS0_16asin_kernel_cudaERNS_18TensorIteratorBaseEENKUlvE_clEvENKUlvE1_clEvEUlN3c107complexINS6_4HalfEEEE_i15function_traitsISA_EEENT1_11result_typeERKT_PrKPcPKT0_PKNS6_10ScalarTypeEi.num_named_barrier)
	.set _ZN2at6native32elementwise_kernel_manual_unrollILi128ELi4EZNS0_15gpu_kernel_implIZZZNS0_16asin_kernel_cudaERNS_18TensorIteratorBaseEENKUlvE_clEvENKUlvE1_clEvEUlN3c107complexINS7_4HalfEEEE_EEvS4_RKT_EUlibE_EEviT1_.private_seg_size, 0+max(.L_ZN2at6native6invokeIZZZNS0_16asin_kernel_cudaERNS_18TensorIteratorBaseEENKUlvE_clEvENKUlvE1_clEvEUlN3c107complexINS6_4HalfEEEE_i15function_traitsISA_EEENT1_11result_typeERKT_PrKPcPKT0_PKNS6_10ScalarTypeEi.private_seg_size)
	.set _ZN2at6native32elementwise_kernel_manual_unrollILi128ELi4EZNS0_15gpu_kernel_implIZZZNS0_16asin_kernel_cudaERNS_18TensorIteratorBaseEENKUlvE_clEvENKUlvE1_clEvEUlN3c107complexINS7_4HalfEEEE_EEvS4_RKT_EUlibE_EEviT1_.uses_vcc, or(1, .L_ZN2at6native6invokeIZZZNS0_16asin_kernel_cudaERNS_18TensorIteratorBaseEENKUlvE_clEvENKUlvE1_clEvEUlN3c107complexINS6_4HalfEEEE_i15function_traitsISA_EEENT1_11result_typeERKT_PrKPcPKT0_PKNS6_10ScalarTypeEi.uses_vcc)
	.set _ZN2at6native32elementwise_kernel_manual_unrollILi128ELi4EZNS0_15gpu_kernel_implIZZZNS0_16asin_kernel_cudaERNS_18TensorIteratorBaseEENKUlvE_clEvENKUlvE1_clEvEUlN3c107complexINS7_4HalfEEEE_EEvS4_RKT_EUlibE_EEviT1_.uses_flat_scratch, or(1, .L_ZN2at6native6invokeIZZZNS0_16asin_kernel_cudaERNS_18TensorIteratorBaseEENKUlvE_clEvENKUlvE1_clEvEUlN3c107complexINS6_4HalfEEEE_i15function_traitsISA_EEENT1_11result_typeERKT_PrKPcPKT0_PKNS6_10ScalarTypeEi.uses_flat_scratch)
	.set _ZN2at6native32elementwise_kernel_manual_unrollILi128ELi4EZNS0_15gpu_kernel_implIZZZNS0_16asin_kernel_cudaERNS_18TensorIteratorBaseEENKUlvE_clEvENKUlvE1_clEvEUlN3c107complexINS7_4HalfEEEE_EEvS4_RKT_EUlibE_EEviT1_.has_dyn_sized_stack, or(0, .L_ZN2at6native6invokeIZZZNS0_16asin_kernel_cudaERNS_18TensorIteratorBaseEENKUlvE_clEvENKUlvE1_clEvEUlN3c107complexINS6_4HalfEEEE_i15function_traitsISA_EEENT1_11result_typeERKT_PrKPcPKT0_PKNS6_10ScalarTypeEi.has_dyn_sized_stack)
	.set _ZN2at6native32elementwise_kernel_manual_unrollILi128ELi4EZNS0_15gpu_kernel_implIZZZNS0_16asin_kernel_cudaERNS_18TensorIteratorBaseEENKUlvE_clEvENKUlvE1_clEvEUlN3c107complexINS7_4HalfEEEE_EEvS4_RKT_EUlibE_EEviT1_.has_recursion, or(0, .L_ZN2at6native6invokeIZZZNS0_16asin_kernel_cudaERNS_18TensorIteratorBaseEENKUlvE_clEvENKUlvE1_clEvEUlN3c107complexINS6_4HalfEEEE_i15function_traitsISA_EEENT1_11result_typeERKT_PrKPcPKT0_PKNS6_10ScalarTypeEi.has_recursion)
	.set _ZN2at6native32elementwise_kernel_manual_unrollILi128ELi4EZNS0_15gpu_kernel_implIZZZNS0_16asin_kernel_cudaERNS_18TensorIteratorBaseEENKUlvE_clEvENKUlvE1_clEvEUlN3c107complexINS7_4HalfEEEE_EEvS4_RKT_EUlibE_EEviT1_.has_indirect_call, or(0, .L_ZN2at6native6invokeIZZZNS0_16asin_kernel_cudaERNS_18TensorIteratorBaseEENKUlvE_clEvENKUlvE1_clEvEUlN3c107complexINS6_4HalfEEEE_i15function_traitsISA_EEENT1_11result_typeERKT_PrKPcPKT0_PKNS6_10ScalarTypeEi.has_indirect_call)
	.section	.AMDGPU.csdata,"",@progbits
; Kernel info:
; codeLenInByte = 16840
; TotalNumSgprs: 62
; NumVgprs: 27
; ScratchSize: 12
; MemoryBound: 0
; FloatMode: 240
; IeeeMode: 1
; LDSByteSize: 0 bytes/workgroup (compile time only)
; SGPRBlocks: 7
; VGPRBlocks: 6
; NumSGPRsForWavesPerEU: 62
; NumVGPRsForWavesPerEU: 27
; Occupancy: 9
; WaveLimiterHint : 0
; COMPUTE_PGM_RSRC2:SCRATCH_EN: 1
; COMPUTE_PGM_RSRC2:USER_SGPR: 8
; COMPUTE_PGM_RSRC2:TRAP_HANDLER: 0
; COMPUTE_PGM_RSRC2:TGID_X_EN: 1
; COMPUTE_PGM_RSRC2:TGID_Y_EN: 0
; COMPUTE_PGM_RSRC2:TGID_Z_EN: 0
; COMPUTE_PGM_RSRC2:TIDIG_COMP_CNT: 0
	.text
	.p2align	2                               ; -- Begin function _ZN2at6native6invokeIZZZNS0_16asin_kernel_cudaERNS_18TensorIteratorBaseEENKUlvE_clEvENKUlvE1_clEvEUlN3c107complexINS6_4HalfEEEE_j15function_traitsISA_EEENT1_11result_typeERKT_PrKPcPKT0_PKNS6_10ScalarTypeEi
	.type	_ZN2at6native6invokeIZZZNS0_16asin_kernel_cudaERNS_18TensorIteratorBaseEENKUlvE_clEvENKUlvE1_clEvEUlN3c107complexINS6_4HalfEEEE_j15function_traitsISA_EEENT1_11result_typeERKT_PrKPcPKT0_PKNS6_10ScalarTypeEi,@function
_ZN2at6native6invokeIZZZNS0_16asin_kernel_cudaERNS_18TensorIteratorBaseEENKUlvE_clEvENKUlvE1_clEvEUlN3c107complexINS6_4HalfEEEE_j15function_traitsISA_EEENT1_11result_typeERKT_PrKPcPKT0_PKNS6_10ScalarTypeEi: ; @_ZN2at6native6invokeIZZZNS0_16asin_kernel_cudaERNS_18TensorIteratorBaseEENKUlvE_clEvENKUlvE1_clEvEUlN3c107complexINS6_4HalfEEEE_j15function_traitsISA_EEENT1_11result_typeERKT_PrKPcPKT0_PKNS6_10ScalarTypeEi
; %bb.0:
	s_waitcnt vmcnt(0) expcnt(0) lgkmcnt(0)
	v_add_co_u32_e32 v0, vcc, v0, v2
	v_mov_b32_e32 v2, 10
	v_addc_co_u32_e32 v1, vcc, 0, v1, vcc
	v_cmp_gt_i16_sdwa s[4:5], v3, v2 src0_sel:BYTE_0 src1_sel:DWORD
	s_mov_b64 s[6:7], 0
                                        ; implicit-def: $vgpr2
	s_and_saveexec_b64 s[8:9], s[4:5]
	s_xor_b64 s[4:5], exec, s[8:9]
	s_cbranch_execnz .LBB31_4
; %bb.1:
	s_andn2_saveexec_b64 s[4:5], s[4:5]
	s_cbranch_execnz .LBB31_10
.LBB31_2:
	s_or_b64 exec, exec, s[4:5]
                                        ; implicit-def: $vgpr0
	s_and_saveexec_b64 s[8:9], s[6:7]
	s_cbranch_execnz .LBB31_51
.LBB31_3:
	s_or_b64 exec, exec, s[8:9]
	s_waitcnt vmcnt(0) lgkmcnt(0)
	s_setpc_b64 s[30:31]
.LBB31_4:
	v_mov_b32_e32 v2, 25
	v_cmp_gt_i16_sdwa s[10:11], v3, v2 src0_sel:BYTE_0 src1_sel:DWORD
	s_mov_b64 s[12:13], 0
	s_mov_b64 s[8:9], 0
                                        ; implicit-def: $vgpr2
	s_and_saveexec_b64 s[14:15], s[10:11]
	s_xor_b64 s[10:11], exec, s[14:15]
	s_cbranch_execnz .LBB31_150
; %bb.5:
	s_andn2_saveexec_b64 s[10:11], s[10:11]
	s_cbranch_execnz .LBB31_181
.LBB31_6:
	s_or_b64 exec, exec, s[10:11]
	s_and_saveexec_b64 s[10:11], s[12:13]
	s_cbranch_execnz .LBB31_204
.LBB31_7:
	s_or_b64 exec, exec, s[10:11]
	s_and_saveexec_b64 s[10:11], s[6:7]
	s_xor_b64 s[6:7], exec, s[10:11]
	s_cbranch_execz .LBB31_9
.LBB31_8:
	flat_load_ubyte v0, v[0:1]
	v_mov_b32_e32 v1, 0x3c00
	s_or_b64 s[8:9], s[8:9], exec
	s_waitcnt vmcnt(0) lgkmcnt(0)
	v_cmp_ne_u16_e32 vcc, 0, v0
	v_cndmask_b32_e32 v0, 0, v1, vcc
	v_and_b32_e32 v2, 0xffff, v0
.LBB31_9:
	s_or_b64 exec, exec, s[6:7]
	s_and_b64 s[6:7], s[8:9], exec
                                        ; implicit-def: $vgpr3
                                        ; implicit-def: $vgpr0_vgpr1
	s_andn2_saveexec_b64 s[4:5], s[4:5]
	s_cbranch_execz .LBB31_2
.LBB31_10:
	v_mov_b32_e32 v2, 4
	v_cmp_gt_i16_sdwa s[8:9], v3, v2 src0_sel:BYTE_0 src1_sel:DWORD
                                        ; implicit-def: $vgpr2
	s_and_saveexec_b64 s[10:11], s[8:9]
	s_xor_b64 s[8:9], exec, s[10:11]
	s_cbranch_execz .LBB31_32
; %bb.11:
	v_mov_b32_e32 v2, 7
	v_cmp_gt_i16_sdwa s[10:11], v3, v2 src0_sel:BYTE_0 src1_sel:DWORD
                                        ; implicit-def: $vgpr2
	s_and_saveexec_b64 s[12:13], s[10:11]
	s_xor_b64 s[10:11], exec, s[12:13]
	s_cbranch_execz .LBB31_21
; %bb.12:
	;; [unrolled: 7-line block ×4, first 2 shown]
	flat_load_dwordx4 v[0:3], v[0:1]
	s_mov_b32 s16, 0x5040100
	s_waitcnt vmcnt(0) lgkmcnt(0)
	v_cvt_f32_f64_e32 v0, v[0:1]
	v_cvt_f32_f64_e32 v1, v[2:3]
	v_cvt_f16_f32_e32 v0, v0
	v_cvt_f16_f32_e32 v1, v1
	v_perm_b32 v2, v1, v0, s16
                                        ; implicit-def: $vgpr0_vgpr1
.LBB31_15:
	s_andn2_saveexec_b64 s[14:15], s[14:15]
	s_cbranch_execz .LBB31_17
; %bb.16:
	flat_load_dwordx2 v[0:1], v[0:1]
	s_mov_b32 s16, 0x5040100
	s_waitcnt vmcnt(0) lgkmcnt(0)
	v_cvt_f16_f32_e32 v0, v0
	v_cvt_f16_f32_e32 v1, v1
	v_perm_b32 v2, v1, v0, s16
.LBB31_17:
	s_or_b64 exec, exec, s[14:15]
                                        ; implicit-def: $vgpr0_vgpr1
.LBB31_18:
	s_andn2_saveexec_b64 s[12:13], s[12:13]
	s_cbranch_execz .LBB31_20
; %bb.19:
	flat_load_dword v2, v[0:1]
.LBB31_20:
	s_or_b64 exec, exec, s[12:13]
                                        ; implicit-def: $vgpr0_vgpr1
                                        ; implicit-def: $vgpr3
.LBB31_21:
	s_andn2_saveexec_b64 s[10:11], s[10:11]
	s_cbranch_execz .LBB31_31
; %bb.22:
	s_waitcnt vmcnt(0) lgkmcnt(0)
	v_mov_b32_e32 v2, 5
	v_cmp_gt_i16_sdwa s[12:13], v3, v2 src0_sel:BYTE_0 src1_sel:DWORD
                                        ; implicit-def: $vgpr2
	s_and_saveexec_b64 s[14:15], s[12:13]
	s_xor_b64 s[12:13], exec, s[14:15]
	s_cbranch_execz .LBB31_28
; %bb.23:
	v_mov_b32_e32 v2, 6
	v_cmp_gt_i16_sdwa s[14:15], v3, v2 src0_sel:BYTE_0 src1_sel:DWORD
                                        ; implicit-def: $vgpr2
	s_and_saveexec_b64 s[16:17], s[14:15]
	s_xor_b64 s[14:15], exec, s[16:17]
	s_cbranch_execz .LBB31_25
; %bb.24:
	flat_load_dwordx2 v[0:1], v[0:1]
	s_movk_i32 s16, 0x1ff
	s_movk_i32 s17, 0xffe
	v_mov_b32_e32 v2, 0x7c00
	v_mov_b32_e32 v3, 0x7e00
	s_movk_i32 s18, 0x40f
	s_waitcnt vmcnt(0) lgkmcnt(0)
	v_and_or_b32 v0, v1, s16, v0
	v_cmp_ne_u32_e32 vcc, 0, v0
	v_lshrrev_b32_e32 v4, 8, v1
	v_bfe_u32 v5, v1, 20, 11
	v_cndmask_b32_e64 v0, 0, 1, vcc
	v_sub_u32_e32 v6, 0x3f1, v5
	v_and_or_b32 v0, v4, s17, v0
	v_add_u32_e32 v5, 0xfffffc10, v5
	v_med3_i32 v4, v6, 0, 13
	v_or_b32_e32 v6, 0x1000, v0
	v_cmp_ne_u32_e32 vcc, 0, v0
	v_lshl_or_b32 v7, v5, 12, v0
	v_cndmask_b32_e32 v0, v2, v3, vcc
	v_lshrrev_b32_e32 v3, v4, v6
	v_lshlrev_b32_e32 v4, v4, v3
	v_cmp_ne_u32_e32 vcc, v4, v6
	v_cndmask_b32_e64 v4, 0, 1, vcc
	v_or_b32_e32 v3, v3, v4
	v_cmp_gt_i32_e32 vcc, 1, v5
	v_cndmask_b32_e32 v3, v7, v3, vcc
	v_and_b32_e32 v4, 7, v3
	v_cmp_lt_i32_e32 vcc, 5, v4
	v_cndmask_b32_e64 v6, 0, 1, vcc
	v_cmp_eq_u32_e32 vcc, 3, v4
	v_cndmask_b32_e64 v4, 0, 1, vcc
	v_lshrrev_b32_e32 v3, 2, v3
	v_or_b32_e32 v4, v4, v6
	v_add_u32_e32 v3, v3, v4
	v_cmp_gt_i32_e32 vcc, 31, v5
	v_cndmask_b32_e32 v2, v2, v3, vcc
	v_cmp_eq_u32_e32 vcc, s18, v5
	v_lshrrev_b32_e32 v1, 16, v1
	v_cndmask_b32_e32 v0, v2, v0, vcc
	s_mov_b32 s16, 0x8000
	v_and_or_b32 v0, v1, s16, v0
	v_and_b32_e32 v2, 0xffff, v0
                                        ; implicit-def: $vgpr0_vgpr1
.LBB31_25:
	s_andn2_saveexec_b64 s[14:15], s[14:15]
	s_cbranch_execz .LBB31_27
; %bb.26:
	flat_load_dword v0, v[0:1]
	s_waitcnt vmcnt(0) lgkmcnt(0)
	v_cvt_f16_f32_e32 v2, v0
.LBB31_27:
	s_or_b64 exec, exec, s[14:15]
                                        ; implicit-def: $vgpr0_vgpr1
.LBB31_28:
	s_andn2_saveexec_b64 s[12:13], s[12:13]
	s_cbranch_execz .LBB31_30
; %bb.29:
	flat_load_ushort v0, v[0:1]
	s_waitcnt vmcnt(0) lgkmcnt(0)
	v_and_b32_e32 v2, 0xffff, v0
.LBB31_30:
	s_or_b64 exec, exec, s[12:13]
.LBB31_31:
	s_or_b64 exec, exec, s[10:11]
                                        ; implicit-def: $vgpr3
                                        ; implicit-def: $vgpr0_vgpr1
.LBB31_32:
	s_andn2_saveexec_b64 s[8:9], s[8:9]
	s_cbranch_execz .LBB31_50
; %bb.33:
	s_waitcnt vmcnt(0) lgkmcnt(0)
	v_mov_b32_e32 v2, 1
	v_cmp_gt_i16_sdwa s[10:11], v3, v2 src0_sel:BYTE_0 src1_sel:DWORD
                                        ; implicit-def: $vgpr2
	s_and_saveexec_b64 s[12:13], s[10:11]
	s_xor_b64 s[10:11], exec, s[12:13]
	s_cbranch_execz .LBB31_43
; %bb.34:
	v_mov_b32_e32 v2, 2
	v_cmp_gt_i16_sdwa s[12:13], v3, v2 src0_sel:BYTE_0 src1_sel:DWORD
                                        ; implicit-def: $vgpr2
	s_and_saveexec_b64 s[14:15], s[12:13]
	s_xor_b64 s[12:13], exec, s[14:15]
	s_cbranch_execz .LBB31_40
; %bb.35:
	;; [unrolled: 7-line block ×3, first 2 shown]
	flat_load_dwordx2 v[0:1], v[0:1]
	s_waitcnt vmcnt(0) lgkmcnt(0)
	v_xor_b32_e32 v3, v0, v1
	v_ffbh_i32_e32 v2, v1
	v_ashrrev_i32_e32 v3, 31, v3
	v_add_u32_e32 v2, -1, v2
	v_add_u32_e32 v3, 32, v3
	v_min_u32_e32 v2, v2, v3
	v_lshlrev_b64 v[0:1], v2, v[0:1]
	v_min_u32_e32 v0, 1, v0
	v_or_b32_e32 v0, v1, v0
	v_cvt_f32_i32_e32 v0, v0
	v_sub_u32_e32 v1, 32, v2
	v_ldexp_f32 v0, v0, v1
	v_cvt_f16_f32_e32 v2, v0
                                        ; implicit-def: $vgpr0_vgpr1
.LBB31_37:
	s_andn2_saveexec_b64 s[14:15], s[14:15]
	s_cbranch_execz .LBB31_39
; %bb.38:
	flat_load_dword v0, v[0:1]
	s_waitcnt vmcnt(0) lgkmcnt(0)
	v_cvt_f32_i32_e32 v0, v0
	v_cvt_f16_f32_e32 v2, v0
.LBB31_39:
	s_or_b64 exec, exec, s[14:15]
                                        ; implicit-def: $vgpr0_vgpr1
.LBB31_40:
	s_andn2_saveexec_b64 s[12:13], s[12:13]
	s_cbranch_execz .LBB31_42
; %bb.41:
	flat_load_ushort v0, v[0:1]
	s_waitcnt vmcnt(0) lgkmcnt(0)
	v_cvt_f16_i16_e32 v2, v0
.LBB31_42:
	s_or_b64 exec, exec, s[12:13]
                                        ; implicit-def: $vgpr0_vgpr1
                                        ; implicit-def: $vgpr3
.LBB31_43:
	s_andn2_saveexec_b64 s[10:11], s[10:11]
	s_cbranch_execz .LBB31_49
; %bb.44:
	v_mov_b32_e32 v2, 0
	v_cmp_gt_i16_sdwa s[12:13], v3, v2 src0_sel:BYTE_0 src1_sel:DWORD
                                        ; implicit-def: $vgpr2
	s_and_saveexec_b64 s[14:15], s[12:13]
	s_xor_b64 s[12:13], exec, s[14:15]
	s_cbranch_execz .LBB31_46
; %bb.45:
	flat_load_sbyte v0, v[0:1]
	s_waitcnt vmcnt(0) lgkmcnt(0)
	v_cvt_f16_i16_e32 v2, v0
                                        ; implicit-def: $vgpr0_vgpr1
.LBB31_46:
	s_andn2_saveexec_b64 s[12:13], s[12:13]
	s_cbranch_execz .LBB31_48
; %bb.47:
	flat_load_ubyte v0, v[0:1]
	s_waitcnt vmcnt(0) lgkmcnt(0)
	v_cvt_f16_u16_e32 v2, v0
.LBB31_48:
	s_or_b64 exec, exec, s[12:13]
.LBB31_49:
	s_or_b64 exec, exec, s[10:11]
.LBB31_50:
	s_or_b64 exec, exec, s[8:9]
	s_or_b64 s[6:7], s[6:7], exec
	s_or_b64 exec, exec, s[4:5]
                                        ; implicit-def: $vgpr0
	s_and_saveexec_b64 s[8:9], s[6:7]
	s_cbranch_execz .LBB31_3
.LBB31_51:
	s_waitcnt vmcnt(0) lgkmcnt(0)
	v_cvt_f32_f16_e32 v1, v2
	v_cvt_f32_f16_sdwa v0, v2 dst_sel:DWORD dst_unused:UNUSED_PAD src0_sel:WORD_1
	v_cmp_o_f16_sdwa s[4:5], v2, v2 src0_sel:WORD_1 src1_sel:DWORD
	s_and_saveexec_b64 s[6:7], s[4:5]
	s_xor_b64 s[10:11], exec, s[6:7]
	s_cbranch_execz .LBB31_135
; %bb.52:
	v_max_f32_e64 v5, |v0|, |v0|
	v_max_f32_e64 v3, |v1|, |v1|
	v_max_f32_e32 v6, v3, v5
	s_mov_b32 s4, 0x4b000000
	v_cmp_nlt_f32_e32 vcc, s4, v6
	s_and_saveexec_b64 s[4:5], vcc
	s_xor_b64 s[6:7], exec, s[4:5]
	s_cbranch_execz .LBB31_112
; %bb.53:
	v_mov_b32_e32 v3, 0
	v_cmp_neq_f16_sdwa s[4:5], v2, v3 src0_sel:WORD_1 src1_sel:DWORD
	v_cmp_neq_f16_e32 vcc, 0, v2
	s_or_b64 s[4:5], vcc, s[4:5]
	s_and_saveexec_b64 s[12:13], s[4:5]
	s_cbranch_execz .LBB31_111
; %bb.54:
	s_mov_b64 s[4:5], src_private_base
	s_lshr_b32 s4, s32, 6
	v_mov_b32_e32 v2, s4
	v_mov_b32_e32 v4, 0xd800000
	;; [unrolled: 1-line block ×3, first 2 shown]
	flat_store_dword v[2:3], v4
	s_waitcnt vmcnt(0)
	flat_load_dword v2, v[2:3] glc
	s_waitcnt vmcnt(0)
	s_lshr_b32 s4, s32, 6
	s_add_i32 s4, s4, 4
	s_mov_b32 s14, 0x395db3d7
	s_waitcnt lgkmcnt(0)
	v_add_f32_e32 v4, 1.0, v2
	v_mov_b32_e32 v2, s4
	v_mov_b32_e32 v3, s5
	flat_store_dword v[2:3], v4
	s_waitcnt vmcnt(0)
	flat_load_dword v2, v[2:3] glc
	s_waitcnt vmcnt(0)
	v_cmp_nlt_f32_e64 s[4:5], |v0|, s14
	v_cmp_nlt_f32_e64 s[14:15], |v1|, s14
	s_or_b64 s[4:5], s[14:15], s[4:5]
	s_and_saveexec_b64 s[14:15], s[4:5]
	s_cbranch_execz .LBB31_110
; %bb.55:
	v_add_f32_e64 v4, |v1|, 1.0
	s_waitcnt lgkmcnt(0)
	v_max_f32_e32 v2, v5, v4
	v_add_f32_e64 v3, |v1|, -1.0
	v_cvt_f64_f32_e32 v[6:7], v2
	v_max_f32_e64 v5, v5, |v3|
	v_cvt_f64_f32_e32 v[8:9], v5
	s_mov_b32 s18, 0x7f800000
	v_frexp_exp_i32_f64_e32 v6, v[6:7]
	v_cmp_neq_f32_e32 vcc, s18, v2
	v_frexp_exp_i32_f64_e32 v8, v[8:9]
	v_mov_b32_e32 v9, 0x7f800000
	s_mov_b32 s4, 0x41200000
	v_sub_u32_e32 v7, 0, v6
	v_ldexp_f32 v11, |v0|, v7
	v_sub_u32_e32 v10, 0, v8
	v_ldexp_f32 v7, v4, v7
	v_ldexp_f32 v12, |v0|, v10
	v_ldexp_f32 v10, |v3|, v10
	v_mul_f32_e32 v7, v7, v7
	v_fmac_f32_e32 v7, v11, v11
	v_mul_f32_e32 v10, v10, v10
	v_sqrt_f32_e32 v7, v7
	v_fmac_f32_e32 v10, v12, v12
	v_sqrt_f32_e32 v10, v10
	v_ldexp_f32 v6, v7, v6
	v_cndmask_b32_e32 v7, v9, v6, vcc
	v_ldexp_f32 v2, v10, v8
	v_cmp_neq_f32_e32 vcc, s18, v5
	v_cndmask_b32_e32 v5, v9, v2, vcc
	v_add_f32_e32 v2, v7, v5
	v_mul_f32_e32 v2, 0.5, v2
	v_cmp_ngt_f32_e32 vcc, 1.0, v2
	v_cndmask_b32_e32 v2, 1.0, v2, vcc
	v_cmp_ngt_f32_e32 vcc, s4, v2
                                        ; implicit-def: $vgpr8
	s_and_saveexec_b64 s[4:5], vcc
	s_xor_b64 s[16:17], exec, s[4:5]
	s_cbranch_execz .LBB31_57
; %bb.56:
	v_fma_f32 v6, v2, v2, -1.0
	s_mov_b32 s4, 0xf800000
	v_mul_f32_e32 v8, 0x4f800000, v6
	v_cmp_gt_f32_e32 vcc, s4, v6
	v_cndmask_b32_e32 v6, v6, v8, vcc
	v_sqrt_f32_e32 v8, v6
	v_add_u32_e32 v9, -1, v8
	v_fma_f32 v10, -v9, v8, v6
	v_cmp_ge_f32_e64 s[4:5], 0, v10
	v_add_u32_e32 v10, 1, v8
	v_cndmask_b32_e64 v9, v8, v9, s[4:5]
	v_fma_f32 v8, -v10, v8, v6
	v_cmp_lt_f32_e64 s[4:5], 0, v8
	v_cndmask_b32_e64 v8, v9, v10, s[4:5]
	v_mul_f32_e32 v9, 0x37800000, v8
	v_cndmask_b32_e32 v8, v8, v9, vcc
	v_mov_b32_e32 v9, 0x260
	v_cmp_class_f32_e32 vcc, v6, v9
	v_cndmask_b32_e32 v6, v8, v6, vcc
	v_add_f32_e32 v6, v2, v6
	s_mov_b32 s4, 0x800000
	v_cmp_gt_f32_e32 vcc, s4, v6
	v_cndmask_b32_e64 v8, 0, 32, vcc
	v_ldexp_f32 v6, v6, v8
	v_log_f32_e32 v6, v6
	s_mov_b32 s4, 0x3f317217
	v_mul_f32_e32 v8, 0x3f317217, v6
	v_fma_f32 v8, v6, s4, -v8
	v_fmac_f32_e32 v8, 0x3377d1cf, v6
	v_fmac_f32_e32 v8, 0x3f317217, v6
	v_cmp_lt_f32_e64 s[4:5], |v6|, s18
	v_cndmask_b32_e64 v6, v6, v8, s[4:5]
	v_mov_b32_e32 v8, 0x41b17218
	v_cndmask_b32_e32 v8, 0, v8, vcc
	v_sub_f32_e32 v8, v6, v8
.LBB31_57:
	s_or_saveexec_b64 s[16:17], s[16:17]
	v_and_b32_e32 v6, 0x7fffffff, v0
	s_xor_b64 exec, exec, s[16:17]
	s_cbranch_execz .LBB31_79
; %bb.58:
	s_mov_b32 s18, 0x25000000
	v_cmp_neq_f32_e64 s[4:5], |v1|, 1.0
	v_cmp_nlt_f32_e64 s[18:19], |v0|, s18
	s_or_b64 s[4:5], s[4:5], s[18:19]
                                        ; implicit-def: $vgpr8
	s_and_saveexec_b64 s[18:19], s[4:5]
	s_xor_b64 s[18:19], exec, s[18:19]
	s_cbranch_execz .LBB31_76
; %bb.59:
	s_brev_b32 s4, 44
	v_mul_f32_e64 v8, |v3|, s4
	v_cmp_ge_f32_e64 s[4:5], |v0|, v8
                                        ; implicit-def: $vgpr8
	s_and_saveexec_b64 s[20:21], s[4:5]
	s_xor_b64 s[20:21], exec, s[20:21]
	s_cbranch_execz .LBB31_69
; %bb.60:
	v_cmp_neq_f32_e32 vcc, 0, v4
	v_mov_b32_e32 v8, v6
	s_and_saveexec_b64 s[4:5], vcc
	s_cbranch_execz .LBB31_62
; %bb.61:
	v_mul_f32_e32 v8, v0, v0
	v_add_f32_e32 v9, v4, v7
	v_div_scale_f32 v10, s[22:23], v9, v9, v8
	v_div_scale_f32 v11, vcc, v8, v9, v8
	v_rcp_f32_e32 v12, v10
	v_fma_f32 v13, -v10, v12, 1.0
	v_fmac_f32_e32 v12, v13, v12
	v_mul_f32_e32 v13, v11, v12
	v_fma_f32 v14, -v10, v13, v11
	v_fmac_f32_e32 v13, v14, v12
	v_fma_f32 v10, -v10, v13, v11
	v_div_fmas_f32 v10, v10, v12, v13
	v_div_fixup_f32 v8, v10, v9, v8
.LBB31_62:
	s_or_b64 exec, exec, s[4:5]
	v_sub_f32_e64 v10, 1.0, |v1|
	v_cmp_ngt_f32_e32 vcc, 0, v10
                                        ; implicit-def: $vgpr9
	s_and_saveexec_b64 s[4:5], vcc
	s_xor_b64 s[4:5], exec, s[4:5]
	s_cbranch_execz .LBB31_66
; %bb.63:
	v_cmp_neq_f32_e32 vcc, 0, v10
	v_mov_b32_e32 v9, v6
	s_and_saveexec_b64 s[22:23], vcc
	s_cbranch_execz .LBB31_65
; %bb.64:
	v_mul_f32_e32 v9, v0, v0
	v_add_f32_e32 v10, v10, v5
	v_div_scale_f32 v11, s[24:25], v10, v10, v9
	v_div_scale_f32 v12, vcc, v9, v10, v9
	v_rcp_f32_e32 v13, v11
	v_fma_f32 v14, -v11, v13, 1.0
	v_fmac_f32_e32 v13, v14, v13
	v_mul_f32_e32 v14, v12, v13
	v_fma_f32 v15, -v11, v14, v12
	v_fmac_f32_e32 v14, v15, v13
	v_fma_f32 v11, -v11, v14, v12
	v_div_fmas_f32 v11, v11, v13, v14
	v_div_fixup_f32 v9, v11, v10, v9
.LBB31_65:
	s_or_b64 exec, exec, s[22:23]
                                        ; implicit-def: $vgpr10
.LBB31_66:
	s_andn2_saveexec_b64 s[4:5], s[4:5]
; %bb.67:
	v_sub_f32_e32 v9, v5, v10
; %bb.68:
	s_or_b64 exec, exec, s[4:5]
	v_mul_f32_e32 v9, 0.5, v9
	v_fmac_f32_e32 v9, 0.5, v8
	v_add_f32_e32 v8, 1.0, v2
	v_mul_f32_e32 v8, v8, v9
	s_mov_b32 s4, 0xf800000
	v_mul_f32_e32 v10, 0x4f800000, v8
	v_cmp_gt_f32_e32 vcc, s4, v8
	v_cndmask_b32_e32 v8, v8, v10, vcc
	v_sqrt_f32_e32 v10, v8
	v_add_u32_e32 v11, -1, v10
	v_fma_f32 v12, -v11, v10, v8
	v_cmp_ge_f32_e64 s[4:5], 0, v12
	v_add_u32_e32 v12, 1, v10
	v_cndmask_b32_e64 v11, v10, v11, s[4:5]
	v_fma_f32 v10, -v12, v10, v8
	v_cmp_lt_f32_e64 s[4:5], 0, v10
	v_cndmask_b32_e64 v10, v11, v12, s[4:5]
	v_mul_f32_e32 v11, 0x37800000, v10
	v_cndmask_b32_e32 v10, v10, v11, vcc
	v_mov_b32_e32 v11, 0x260
	v_cmp_class_f32_e32 vcc, v8, v11
	v_cndmask_b32_e32 v8, v10, v8, vcc
	v_add_f32_e32 v8, v9, v8
	v_add_f32_e32 v11, 1.0, v8
	v_cvt_f64_f32_e32 v[9:10], v11
	v_add_f32_e32 v12, -1.0, v11
	v_sub_f32_e32 v13, v12, v11
	v_sub_f32_e32 v12, v8, v12
	v_frexp_exp_i32_f64_e32 v9, v[9:10]
	v_add_f32_e32 v10, 1.0, v13
	v_add_f32_e32 v10, v12, v10
	v_frexp_mant_f32_e32 v12, v11
	s_mov_b32 s4, 0x3f2aaaab
	v_cmp_gt_f32_e32 vcc, s4, v12
	s_mov_b32 s4, 0x3f317218
	v_subbrev_co_u32_e32 v9, vcc, 0, v9, vcc
	v_sub_u32_e32 v12, 0, v9
	v_ldexp_f32 v11, v11, v12
	v_ldexp_f32 v10, v10, v12
	v_add_f32_e32 v12, -1.0, v11
	v_add_f32_e32 v15, 1.0, v11
	v_add_f32_e32 v13, 1.0, v12
	v_add_f32_e32 v16, -1.0, v15
	v_sub_f32_e32 v13, v11, v13
	v_sub_f32_e32 v11, v11, v16
	v_add_f32_e32 v13, v10, v13
	v_add_f32_e32 v10, v10, v11
	;; [unrolled: 1-line block ×3, first 2 shown]
	v_rcp_f32_e32 v16, v11
	v_add_f32_e32 v14, v12, v13
	v_sub_f32_e32 v12, v14, v12
	v_sub_f32_e32 v12, v13, v12
	;; [unrolled: 1-line block ×4, first 2 shown]
	v_mul_f32_e32 v13, v14, v16
	v_mul_f32_e32 v15, v11, v13
	v_fma_f32 v17, v13, v11, -v15
	v_fmac_f32_e32 v17, v13, v10
	v_add_f32_e32 v18, v15, v17
	v_sub_f32_e32 v19, v14, v18
	v_sub_f32_e32 v14, v14, v19
	;; [unrolled: 1-line block ×4, first 2 shown]
	v_add_f32_e32 v12, v12, v14
	v_sub_f32_e32 v14, v15, v17
	v_add_f32_e32 v12, v14, v12
	v_add_f32_e32 v14, v19, v12
	v_mul_f32_e32 v15, v16, v14
	v_mul_f32_e32 v17, v11, v15
	v_fma_f32 v11, v15, v11, -v17
	v_fmac_f32_e32 v11, v15, v10
	v_sub_f32_e32 v10, v19, v14
	v_add_f32_e32 v10, v12, v10
	v_add_f32_e32 v12, v17, v11
	v_sub_f32_e32 v18, v14, v12
	v_sub_f32_e32 v14, v14, v18
	;; [unrolled: 1-line block ×4, first 2 shown]
	v_add_f32_e32 v10, v10, v12
	v_sub_f32_e32 v11, v17, v11
	v_add_f32_e32 v10, v11, v10
	v_add_f32_e32 v11, v13, v15
	;; [unrolled: 1-line block ×3, first 2 shown]
	v_sub_f32_e32 v12, v11, v13
	v_mul_f32_e32 v10, v16, v10
	v_sub_f32_e32 v12, v15, v12
	v_add_f32_e32 v10, v12, v10
	v_cvt_f32_i32_e32 v9, v9
	v_add_f32_e32 v12, v11, v10
	v_mul_f32_e32 v13, v12, v12
	v_mov_b32_e32 v14, 0x3ecc95a3
	v_fmac_f32_e32 v14, 0x3e9b6dac, v13
	v_mov_b32_e32 v15, 0x3f2aaada
	v_fmac_f32_e32 v15, v13, v14
	v_mul_f32_e32 v14, 0x3f317218, v9
	v_fma_f32 v16, v9, s4, -v14
	v_fmac_f32_e32 v16, 0xb102e308, v9
	v_sub_f32_e32 v9, v12, v11
	v_sub_f32_e32 v9, v10, v9
	v_add_f32_e32 v10, v14, v16
	v_sub_f32_e32 v11, v10, v14
	v_ldexp_f32 v14, v12, 1
	v_mul_f32_e32 v12, v12, v13
	v_mul_f32_e32 v12, v12, v15
	v_add_f32_e32 v13, v14, v12
	v_sub_f32_e32 v14, v13, v14
	v_ldexp_f32 v9, v9, 1
	v_sub_f32_e32 v12, v12, v14
	v_add_f32_e32 v9, v9, v12
	v_add_f32_e32 v12, v13, v9
	v_sub_f32_e32 v13, v12, v13
	v_sub_f32_e32 v9, v9, v13
	v_add_f32_e32 v13, v10, v12
	v_sub_f32_e32 v14, v13, v10
	v_sub_f32_e32 v15, v13, v14
	;; [unrolled: 1-line block ×5, first 2 shown]
	v_add_f32_e32 v10, v12, v10
	v_add_f32_e32 v12, v11, v9
	v_sub_f32_e32 v14, v12, v11
	v_sub_f32_e32 v15, v12, v14
	;; [unrolled: 1-line block ×4, first 2 shown]
	v_add_f32_e32 v10, v12, v10
	v_add_f32_e32 v9, v9, v11
	;; [unrolled: 1-line block ×3, first 2 shown]
	v_sub_f32_e32 v12, v11, v13
	v_sub_f32_e32 v10, v10, v12
	v_add_f32_e32 v9, v9, v10
	s_mov_b32 s4, 0x7f800000
	v_add_f32_e32 v9, v11, v9
	v_mov_b32_e32 v10, 0x7f800000
	v_cmp_neq_f32_e32 vcc, s4, v8
	v_cndmask_b32_e32 v9, v10, v9, vcc
	v_mov_b32_e32 v10, 0x7fc00000
	v_cmp_ngt_f32_e32 vcc, -1.0, v8
	v_cndmask_b32_e32 v9, v10, v9, vcc
	v_mov_b32_e32 v10, 0xff800000
	v_cmp_neq_f32_e32 vcc, -1.0, v8
	s_mov_b32 s4, 0x33800000
	v_cndmask_b32_e32 v9, v10, v9, vcc
	v_cmp_lt_f32_e64 vcc, |v8|, s4
	v_cndmask_b32_e32 v8, v9, v8, vcc
.LBB31_69:
	s_andn2_saveexec_b64 s[20:21], s[20:21]
	s_cbranch_execz .LBB31_75
; %bb.70:
	v_cmp_nlt_f32_e64 s[4:5], |v1|, 1.0
                                        ; implicit-def: $vgpr8
	s_and_saveexec_b64 s[22:23], s[4:5]
	s_xor_b64 s[22:23], exec, s[22:23]
	s_cbranch_execz .LBB31_72
; %bb.71:
	v_mul_f32_e32 v8, v3, v4
	s_mov_b32 s4, 0xf800000
	v_mul_f32_e32 v9, 0x4f800000, v8
	v_cmp_gt_f32_e32 vcc, s4, v8
	v_cndmask_b32_e32 v8, v8, v9, vcc
	v_sqrt_f32_e32 v9, v8
	v_add_u32_e32 v10, -1, v9
	v_fma_f32 v11, -v10, v9, v8
	v_cmp_ge_f32_e64 s[4:5], 0, v11
	v_add_u32_e32 v11, 1, v9
	v_cndmask_b32_e64 v10, v9, v10, s[4:5]
	v_fma_f32 v9, -v11, v9, v8
	v_cmp_lt_f32_e64 s[4:5], 0, v9
	v_cndmask_b32_e64 v9, v10, v11, s[4:5]
	v_mul_f32_e32 v10, 0x37800000, v9
	v_cndmask_b32_e32 v9, v9, v10, vcc
	v_mov_b32_e32 v10, 0x260
	v_cmp_class_f32_e32 vcc, v8, v10
	v_cndmask_b32_e32 v8, v9, v8, vcc
	v_add_f32_e32 v8, v3, v8
	v_add_f32_e32 v11, 1.0, v8
	v_cvt_f64_f32_e32 v[9:10], v11
	v_add_f32_e32 v12, -1.0, v11
	v_sub_f32_e32 v13, v12, v11
	v_sub_f32_e32 v12, v8, v12
	v_frexp_exp_i32_f64_e32 v9, v[9:10]
	v_add_f32_e32 v10, 1.0, v13
	v_add_f32_e32 v10, v12, v10
	v_frexp_mant_f32_e32 v12, v11
	s_mov_b32 s4, 0x3f2aaaab
	v_cmp_gt_f32_e32 vcc, s4, v12
	s_mov_b32 s4, 0x3f317218
	v_subbrev_co_u32_e32 v9, vcc, 0, v9, vcc
	v_sub_u32_e32 v12, 0, v9
	v_ldexp_f32 v11, v11, v12
	v_ldexp_f32 v10, v10, v12
	v_add_f32_e32 v12, -1.0, v11
	v_add_f32_e32 v15, 1.0, v11
	v_add_f32_e32 v13, 1.0, v12
	v_add_f32_e32 v16, -1.0, v15
	v_sub_f32_e32 v13, v11, v13
	v_sub_f32_e32 v11, v11, v16
	v_add_f32_e32 v13, v10, v13
	v_add_f32_e32 v10, v10, v11
	;; [unrolled: 1-line block ×3, first 2 shown]
	v_rcp_f32_e32 v16, v11
	v_add_f32_e32 v14, v12, v13
	v_sub_f32_e32 v12, v14, v12
	v_sub_f32_e32 v12, v13, v12
	;; [unrolled: 1-line block ×4, first 2 shown]
	v_mul_f32_e32 v13, v14, v16
	v_mul_f32_e32 v15, v11, v13
	v_fma_f32 v17, v13, v11, -v15
	v_fmac_f32_e32 v17, v13, v10
	v_add_f32_e32 v18, v15, v17
	v_sub_f32_e32 v19, v14, v18
	v_sub_f32_e32 v14, v14, v19
	;; [unrolled: 1-line block ×4, first 2 shown]
	v_add_f32_e32 v12, v12, v14
	v_sub_f32_e32 v14, v15, v17
	v_add_f32_e32 v12, v14, v12
	v_add_f32_e32 v14, v19, v12
	v_mul_f32_e32 v15, v16, v14
	v_mul_f32_e32 v17, v11, v15
	v_fma_f32 v11, v15, v11, -v17
	v_fmac_f32_e32 v11, v15, v10
	v_sub_f32_e32 v10, v19, v14
	v_add_f32_e32 v10, v12, v10
	v_add_f32_e32 v12, v17, v11
	v_sub_f32_e32 v18, v14, v12
	v_sub_f32_e32 v14, v14, v18
	v_sub_f32_e32 v17, v12, v17
	v_sub_f32_e32 v12, v14, v12
	v_add_f32_e32 v10, v10, v12
	v_sub_f32_e32 v11, v17, v11
	v_add_f32_e32 v10, v11, v10
	v_add_f32_e32 v11, v13, v15
	;; [unrolled: 1-line block ×3, first 2 shown]
	v_sub_f32_e32 v12, v11, v13
	v_mul_f32_e32 v10, v16, v10
	v_sub_f32_e32 v12, v15, v12
	v_add_f32_e32 v10, v12, v10
	v_cvt_f32_i32_e32 v9, v9
	v_add_f32_e32 v12, v11, v10
	v_mul_f32_e32 v13, v12, v12
	v_mov_b32_e32 v14, 0x3ecc95a3
	v_fmac_f32_e32 v14, 0x3e9b6dac, v13
	v_mov_b32_e32 v15, 0x3f2aaada
	v_fmac_f32_e32 v15, v13, v14
	v_mul_f32_e32 v14, 0x3f317218, v9
	v_fma_f32 v16, v9, s4, -v14
	v_fmac_f32_e32 v16, 0xb102e308, v9
	v_sub_f32_e32 v9, v12, v11
	v_sub_f32_e32 v9, v10, v9
	v_add_f32_e32 v10, v14, v16
	v_sub_f32_e32 v11, v10, v14
	v_ldexp_f32 v14, v12, 1
	v_mul_f32_e32 v12, v12, v13
	v_mul_f32_e32 v12, v12, v15
	v_add_f32_e32 v13, v14, v12
	v_sub_f32_e32 v14, v13, v14
	v_ldexp_f32 v9, v9, 1
	v_sub_f32_e32 v12, v12, v14
	v_add_f32_e32 v9, v9, v12
	v_add_f32_e32 v12, v13, v9
	v_sub_f32_e32 v13, v12, v13
	v_sub_f32_e32 v9, v9, v13
	v_add_f32_e32 v13, v10, v12
	v_sub_f32_e32 v14, v13, v10
	v_sub_f32_e32 v15, v13, v14
	;; [unrolled: 1-line block ×5, first 2 shown]
	v_add_f32_e32 v10, v12, v10
	v_add_f32_e32 v12, v11, v9
	v_sub_f32_e32 v14, v12, v11
	v_sub_f32_e32 v15, v12, v14
	;; [unrolled: 1-line block ×4, first 2 shown]
	v_add_f32_e32 v10, v12, v10
	v_add_f32_e32 v9, v9, v11
	;; [unrolled: 1-line block ×3, first 2 shown]
	v_sub_f32_e32 v12, v11, v13
	v_sub_f32_e32 v10, v10, v12
	v_add_f32_e32 v9, v9, v10
	s_mov_b32 s4, 0x7f800000
	v_add_f32_e32 v9, v11, v9
	v_mov_b32_e32 v10, 0x7f800000
	v_cmp_neq_f32_e32 vcc, s4, v8
	v_cndmask_b32_e32 v9, v10, v9, vcc
	v_mov_b32_e32 v10, 0x7fc00000
	v_cmp_ngt_f32_e32 vcc, -1.0, v8
	v_cndmask_b32_e32 v9, v10, v9, vcc
	v_mov_b32_e32 v10, 0xff800000
	v_cmp_neq_f32_e32 vcc, -1.0, v8
	s_mov_b32 s4, 0x33800000
	v_cndmask_b32_e32 v9, v10, v9, vcc
	v_cmp_lt_f32_e64 vcc, |v8|, s4
	v_cndmask_b32_e32 v8, v9, v8, vcc
.LBB31_72:
	s_andn2_saveexec_b64 s[22:23], s[22:23]
	s_cbranch_execz .LBB31_74
; %bb.73:
	v_sub_f32_e64 v8, 1.0, |v1|
	v_mul_f32_e32 v8, v8, v4
	s_mov_b32 s4, 0xf800000
	v_mul_f32_e32 v9, 0x4f800000, v8
	v_cmp_gt_f32_e32 vcc, s4, v8
	v_cndmask_b32_e32 v8, v8, v9, vcc
	v_sqrt_f32_e32 v9, v8
	v_add_u32_e32 v10, -1, v9
	v_fma_f32 v11, -v10, v9, v8
	v_cmp_ge_f32_e64 s[4:5], 0, v11
	v_add_u32_e32 v11, 1, v9
	v_cndmask_b32_e64 v10, v9, v10, s[4:5]
	v_fma_f32 v9, -v11, v9, v8
	v_cmp_lt_f32_e64 s[4:5], 0, v9
	v_cndmask_b32_e64 v9, v10, v11, s[4:5]
	v_mul_f32_e32 v10, 0x37800000, v9
	v_cndmask_b32_e32 v9, v9, v10, vcc
	v_mov_b32_e32 v10, 0x260
	v_cmp_class_f32_e32 vcc, v8, v10
	v_cndmask_b32_e32 v8, v9, v8, vcc
	v_and_b32_e32 v9, 0x7fffffff, v0
	v_div_scale_f32 v10, s[4:5], v8, v8, v9
	v_div_scale_f32 v9, vcc, v9, v8, v9
	v_rcp_f32_e32 v11, v10
	v_fma_f32 v12, -v10, v11, 1.0
	v_fmac_f32_e32 v11, v12, v11
	v_mul_f32_e32 v12, v9, v11
	v_fma_f32 v13, -v10, v12, v9
	v_fmac_f32_e32 v12, v13, v11
	v_fma_f32 v9, -v10, v12, v9
	v_div_fmas_f32 v9, v9, v11, v12
	v_div_fixup_f32 v8, v9, v8, |v0|
.LBB31_74:
	s_or_b64 exec, exec, s[22:23]
.LBB31_75:
	s_or_b64 exec, exec, s[20:21]
.LBB31_76:
	s_andn2_saveexec_b64 s[18:19], s[18:19]
	s_cbranch_execz .LBB31_78
; %bb.77:
	s_mov_b32 s4, 0xf800000
	s_mov_b32 s5, 0x4f800000
	v_mul_f32_e64 v8, |v0|, s5
	v_cmp_lt_f32_e64 vcc, |v0|, s4
	v_cndmask_b32_e64 v8, |v0|, v8, vcc
	v_sqrt_f32_e32 v9, v8
	v_add_u32_e32 v10, -1, v9
	v_fma_f32 v11, -v10, v9, v8
	v_cmp_ge_f32_e64 s[4:5], 0, v11
	v_add_u32_e32 v11, 1, v9
	v_cndmask_b32_e64 v10, v9, v10, s[4:5]
	v_fma_f32 v9, -v11, v9, v8
	v_cmp_lt_f32_e64 s[4:5], 0, v9
	v_cndmask_b32_e64 v9, v10, v11, s[4:5]
	v_mul_f32_e32 v10, 0x37800000, v9
	v_cndmask_b32_e32 v9, v9, v10, vcc
	v_mov_b32_e32 v10, 0x260
	v_cmp_class_f32_e32 vcc, v8, v10
	v_cndmask_b32_e32 v8, v9, v8, vcc
.LBB31_78:
	s_or_b64 exec, exec, s[18:19]
.LBB31_79:
	s_or_b64 exec, exec, s[16:17]
	s_mov_b32 s4, 0x21000000
	v_cmp_nlt_f32_e64 s[16:17], |v1|, s4
                                        ; implicit-def: $sgpr4_sgpr5
                                        ; implicit-def: $vgpr9
                                        ; implicit-def: $vgpr11
                                        ; implicit-def: $vgpr10
	s_and_saveexec_b64 s[18:19], s[16:17]
	s_xor_b64 s[16:17], exec, s[18:19]
	s_cbranch_execz .LBB31_103
; %bb.80:
	v_and_b32_e32 v10, 0x7fffffff, v1
	v_div_scale_f32 v9, s[4:5], v2, v2, v10
	v_div_scale_f32 v11, vcc, v10, v2, v10
	s_mov_b32 s4, 0x3f244674
	v_rcp_f32_e32 v12, v9
	v_fma_f32 v13, -v9, v12, 1.0
	v_fmac_f32_e32 v12, v13, v12
	v_mul_f32_e32 v13, v11, v12
	v_fma_f32 v14, -v9, v13, v11
	v_fmac_f32_e32 v13, v14, v12
	v_fma_f32 v9, -v9, v13, v11
	v_div_fmas_f32 v9, v9, v12, v13
                                        ; implicit-def: $vgpr11
	v_div_fixup_f32 v9, v9, v2, |v1|
	v_cmp_lt_f32_e32 vcc, s4, v9
	s_mov_b64 s[4:5], 0
	s_and_saveexec_b64 s[18:19], vcc
	s_cbranch_execz .LBB31_102
; %bb.81:
	s_mov_b32 s20, 0x30800000
	v_cmp_neq_f32_e64 s[4:5], |v1|, 1.0
	v_cmp_nlt_f32_e64 s[20:21], |v0|, s20
	s_or_b64 s[4:5], s[4:5], s[20:21]
                                        ; implicit-def: $vgpr11
	s_and_saveexec_b64 s[20:21], s[4:5]
	s_xor_b64 s[20:21], exec, s[20:21]
	s_cbranch_execz .LBB31_99
; %bb.82:
	s_brev_b32 s4, 44
	v_mul_f32_e64 v11, |v3|, s4
	v_cmp_ge_f32_e64 s[4:5], |v0|, v11
                                        ; implicit-def: $vgpr11
	s_and_saveexec_b64 s[22:23], s[4:5]
	s_xor_b64 s[22:23], exec, s[22:23]
	s_cbranch_execz .LBB31_92
; %bb.83:
	v_cmp_neq_f32_e32 vcc, 0, v4
	v_mov_b32_e32 v11, v6
	s_and_saveexec_b64 s[4:5], vcc
	s_cbranch_execz .LBB31_85
; %bb.84:
	v_mul_f32_e32 v11, v0, v0
	v_add_f32_e32 v4, v4, v7
	v_div_scale_f32 v7, s[24:25], v4, v4, v11
	v_div_scale_f32 v12, vcc, v11, v4, v11
	v_rcp_f32_e32 v13, v7
	v_fma_f32 v14, -v7, v13, 1.0
	v_fmac_f32_e32 v13, v14, v13
	v_mul_f32_e32 v14, v12, v13
	v_fma_f32 v15, -v7, v14, v12
	v_fmac_f32_e32 v14, v15, v13
	v_fma_f32 v7, -v7, v14, v12
	v_div_fmas_f32 v7, v7, v13, v14
	v_div_fixup_f32 v11, v7, v4, v11
.LBB31_85:
	s_or_b64 exec, exec, s[4:5]
	v_cmp_ngt_f32_e32 vcc, 0, v3
	s_and_saveexec_b64 s[4:5], vcc
	s_xor_b64 s[4:5], exec, s[4:5]
	s_cbranch_execz .LBB31_89
; %bb.86:
	v_cmp_neq_f32_e32 vcc, 0, v3
	s_and_saveexec_b64 s[24:25], vcc
	s_cbranch_execz .LBB31_88
; %bb.87:
	v_mul_f32_e32 v4, v0, v0
	v_add_f32_e32 v3, v3, v5
	v_div_scale_f32 v5, s[26:27], v3, v3, v4
	v_div_scale_f32 v6, vcc, v4, v3, v4
	v_rcp_f32_e32 v7, v5
	v_fma_f32 v12, -v5, v7, 1.0
	v_fmac_f32_e32 v7, v12, v7
	v_mul_f32_e32 v12, v6, v7
	v_fma_f32 v13, -v5, v12, v6
	v_fmac_f32_e32 v12, v13, v7
	v_fma_f32 v5, -v5, v12, v6
	v_div_fmas_f32 v5, v5, v7, v12
	v_div_fixup_f32 v6, v5, v3, v4
.LBB31_88:
	s_or_b64 exec, exec, s[24:25]
                                        ; implicit-def: $vgpr5
                                        ; implicit-def: $vgpr3
.LBB31_89:
	s_andn2_saveexec_b64 s[4:5], s[4:5]
; %bb.90:
	v_sub_f32_e32 v6, v5, v3
; %bb.91:
	s_or_b64 exec, exec, s[4:5]
	v_mul_f32_e32 v3, 0.5, v6
	v_fmac_f32_e32 v3, 0.5, v11
	v_add_f32_e64 v2, |v1|, v2
	v_mul_f32_e32 v2, v2, v3
	s_mov_b32 s4, 0xf800000
	v_mul_f32_e32 v3, 0x4f800000, v2
	v_cmp_gt_f32_e32 vcc, s4, v2
	v_cndmask_b32_e32 v2, v2, v3, vcc
	v_sqrt_f32_e32 v3, v2
	v_add_u32_e32 v4, -1, v3
	v_fma_f32 v5, -v4, v3, v2
	v_cmp_ge_f32_e64 s[4:5], 0, v5
	v_add_u32_e32 v5, 1, v3
	v_cndmask_b32_e64 v4, v3, v4, s[4:5]
	v_fma_f32 v3, -v5, v3, v2
	v_cmp_lt_f32_e64 s[4:5], 0, v3
	v_cndmask_b32_e64 v3, v4, v5, s[4:5]
	v_mul_f32_e32 v4, 0x37800000, v3
	v_cndmask_b32_e32 v3, v3, v4, vcc
	v_mov_b32_e32 v4, 0x260
	v_cmp_class_f32_e32 vcc, v2, v4
	v_cndmask_b32_e32 v11, v3, v2, vcc
                                        ; implicit-def: $vgpr4
                                        ; implicit-def: $vgpr3
.LBB31_92:
	s_andn2_saveexec_b64 s[22:23], s[22:23]
	s_cbranch_execz .LBB31_98
; %bb.93:
	v_cmp_ngt_f32_e64 s[4:5], |v1|, 1.0
                                        ; implicit-def: $vgpr11
	s_and_saveexec_b64 s[24:25], s[4:5]
	s_xor_b64 s[24:25], exec, s[24:25]
	s_cbranch_execz .LBB31_95
; %bb.94:
	v_sub_f32_e64 v2, 1.0, |v1|
	v_mul_f32_e32 v2, v2, v4
	s_mov_b32 s4, 0xf800000
	v_mul_f32_e32 v3, 0x4f800000, v2
	v_cmp_gt_f32_e32 vcc, s4, v2
	v_cndmask_b32_e32 v2, v2, v3, vcc
	v_sqrt_f32_e32 v3, v2
	v_add_u32_e32 v4, -1, v3
	v_fma_f32 v5, -v4, v3, v2
	v_cmp_ge_f32_e64 s[4:5], 0, v5
	v_add_u32_e32 v5, 1, v3
	v_cndmask_b32_e64 v4, v3, v4, s[4:5]
	v_fma_f32 v3, -v5, v3, v2
	v_cmp_lt_f32_e64 s[4:5], 0, v3
	v_cndmask_b32_e64 v3, v4, v5, s[4:5]
	v_mul_f32_e32 v4, 0x37800000, v3
	v_cndmask_b32_e32 v3, v3, v4, vcc
	v_mov_b32_e32 v4, 0x260
	v_cmp_class_f32_e32 vcc, v2, v4
	v_cndmask_b32_e32 v11, v3, v2, vcc
                                        ; implicit-def: $vgpr4
                                        ; implicit-def: $vgpr3
.LBB31_95:
	s_andn2_saveexec_b64 s[24:25], s[24:25]
	s_cbranch_execz .LBB31_97
; %bb.96:
	v_mul_f32_e32 v2, v4, v3
	s_mov_b32 s4, 0xf800000
	v_mul_f32_e32 v3, 0x4f800000, v2
	v_cmp_gt_f32_e32 vcc, s4, v2
	v_cndmask_b32_e32 v2, v2, v3, vcc
	v_sqrt_f32_e32 v3, v2
	s_mov_b32 s26, 0x57800000
	v_mul_f32_e64 v4, |v0|, s26
	v_mul_f32_e64 v4, |v1|, v4
	v_add_u32_e32 v5, -1, v3
	v_fma_f32 v6, -v5, v3, v2
	v_cmp_ge_f32_e64 s[4:5], 0, v6
	v_add_u32_e32 v6, 1, v3
	v_cndmask_b32_e64 v5, v3, v5, s[4:5]
	v_fma_f32 v3, -v6, v3, v2
	v_cmp_lt_f32_e64 s[4:5], 0, v3
	v_cndmask_b32_e64 v3, v5, v6, s[4:5]
	v_mul_f32_e32 v5, 0x37800000, v3
	v_cndmask_b32_e32 v3, v3, v5, vcc
	v_mov_b32_e32 v5, 0x260
	v_cmp_class_f32_e32 vcc, v2, v5
	v_cndmask_b32_e32 v2, v3, v2, vcc
	v_div_scale_f32 v3, s[4:5], v2, v2, v4
	v_div_scale_f32 v5, vcc, v4, v2, v4
	v_rcp_f32_e32 v6, v3
	v_fma_f32 v7, -v3, v6, 1.0
	v_fmac_f32_e32 v6, v7, v6
	v_mul_f32_e32 v7, v5, v6
	v_fma_f32 v10, -v3, v7, v5
	v_fmac_f32_e32 v7, v10, v6
	v_fma_f32 v3, -v3, v7, v5
	v_div_fmas_f32 v3, v3, v6, v7
	v_mul_f32_e64 v10, |v1|, s26
	v_div_fixup_f32 v11, v3, v2, v4
.LBB31_97:
	s_or_b64 exec, exec, s[24:25]
.LBB31_98:
	s_or_b64 exec, exec, s[22:23]
                                        ; implicit-def: $vgpr2
.LBB31_99:
	s_andn2_saveexec_b64 s[20:21], s[20:21]
	s_cbranch_execz .LBB31_101
; %bb.100:
	s_mov_b32 s22, 0xf800000
	s_mov_b32 s4, 0x4f800000
	v_mul_f32_e64 v3, |v0|, s4
	v_cmp_lt_f32_e64 vcc, |v0|, s22
	v_cndmask_b32_e64 v3, |v0|, v3, vcc
	v_sqrt_f32_e32 v4, v3
	v_add_f32_e32 v2, 1.0, v2
	v_mul_f32_e32 v2, 0.5, v2
	v_mov_b32_e32 v10, 1.0
	v_add_u32_e32 v5, -1, v4
	v_fma_f32 v6, -v5, v4, v3
	v_cmp_ge_f32_e64 s[4:5], 0, v6
	v_add_u32_e32 v6, 1, v4
	v_cndmask_b32_e64 v5, v4, v5, s[4:5]
	v_fma_f32 v4, -v6, v4, v3
	v_cmp_lt_f32_e64 s[4:5], 0, v4
	v_cndmask_b32_e64 v4, v5, v6, s[4:5]
	v_mul_f32_e32 v5, 0x37800000, v4
	v_cndmask_b32_e32 v4, v4, v5, vcc
	v_mul_f32_e32 v6, 0x4f800000, v2
	v_cmp_gt_f32_e32 vcc, s22, v2
	v_cndmask_b32_e32 v2, v2, v6, vcc
	v_sqrt_f32_e32 v6, v2
	v_mov_b32_e32 v5, 0x260
	v_cmp_class_f32_e64 s[4:5], v3, v5
	v_cndmask_b32_e64 v3, v4, v3, s[4:5]
	v_add_u32_e32 v4, -1, v6
	v_fma_f32 v7, -v4, v6, v2
	v_cmp_ge_f32_e64 s[4:5], 0, v7
	v_add_u32_e32 v7, 1, v6
	v_cndmask_b32_e64 v4, v6, v4, s[4:5]
	v_fma_f32 v6, -v7, v6, v2
	v_cmp_lt_f32_e64 s[4:5], 0, v6
	v_cndmask_b32_e64 v4, v4, v7, s[4:5]
	v_mul_f32_e32 v6, 0x37800000, v4
	v_cndmask_b32_e32 v4, v4, v6, vcc
	v_cmp_class_f32_e32 vcc, v2, v5
	v_cndmask_b32_e32 v2, v4, v2, vcc
	v_mul_f32_e32 v11, v3, v2
.LBB31_101:
	s_or_b64 exec, exec, s[20:21]
	s_mov_b64 s[4:5], exec
.LBB31_102:
	s_or_b64 exec, exec, s[18:19]
                                        ; implicit-def: $vgpr2
.LBB31_103:
	s_andn2_saveexec_b64 s[16:17], s[16:17]
; %bb.104:
	s_mov_b32 s18, 0x4b800000
	v_mul_f32_e32 v11, 0x4b800000, v2
	v_mul_f32_e64 v10, |v1|, s18
	s_or_b64 s[4:5], s[4:5], exec
                                        ; implicit-def: $vgpr9
; %bb.105:
	s_or_b64 exec, exec, s[16:17]
	s_xor_b64 s[4:5], s[4:5], -1
                                        ; implicit-def: $vgpr2
	s_and_saveexec_b64 s[16:17], s[4:5]
	s_xor_b64 s[4:5], exec, s[16:17]
	s_cbranch_execz .LBB31_107
; %bb.106:
	v_fma_f32 v2, |v9|, -0.5, 0.5
	v_mul_f32_e32 v3, v9, v9
	v_cmp_ge_f32_e64 vcc, |v9|, 0.5
	v_cndmask_b32_e32 v2, v3, v2, vcc
	v_mov_b32_e32 v3, 0x3c5fc5da
	v_fmac_f32_e32 v3, 0x3d1c21a7, v2
	v_mov_b32_e32 v4, 0x3d034c3c
	v_fmac_f32_e32 v4, v2, v3
	;; [unrolled: 2-line block ×4, first 2 shown]
	v_sqrt_f32_e32 v3, v2
	v_mov_b32_e32 v5, 0x3e2aaaac
	v_fmac_f32_e32 v5, v2, v4
	v_mul_f32_e32 v2, v2, v5
	v_fmac_f32_e32 v3, v3, v2
	v_add_f32_e32 v3, v3, v3
	v_sub_f32_e32 v3, 0x3fc90fdb, v3
	v_fma_f32 v2, |v9|, v2, |v9|
	v_cmp_lt_f32_e64 vcc, |v9|, 0.5
	v_cndmask_b32_e32 v2, v3, v2, vcc
	s_brev_b32 s16, -2
	v_bfi_b32 v2, s16, v2, v9
                                        ; implicit-def: $vgpr10
                                        ; implicit-def: $vgpr11
.LBB31_107:
	s_andn2_saveexec_b64 s[16:17], s[4:5]
	s_cbranch_execz .LBB31_109
; %bb.108:
	v_max_f32_e32 v2, v10, v10
	v_max_f32_e64 v3, |v11|, |v11|
	v_min_f32_e32 v4, v3, v2
	v_max_f32_e32 v2, v3, v2
	v_frexp_mant_f32_e32 v3, v2
	v_rcp_f32_e32 v3, v3
	v_frexp_exp_i32_f32_e32 v2, v2
	v_frexp_exp_i32_f32_e32 v5, v4
	v_frexp_mant_f32_e32 v4, v4
	v_mul_f32_e32 v3, v4, v3
	v_sub_u32_e32 v2, v5, v2
	v_ldexp_f32 v2, v3, v2
	v_mul_f32_e32 v3, v2, v2
	v_mov_b32_e32 v4, 0xbc7a590c
	v_fmac_f32_e32 v4, 0x3b2d2a58, v3
	v_mov_b32_e32 v5, 0x3d29fb3f
	v_fmac_f32_e32 v5, v3, v4
	;; [unrolled: 2-line block ×7, first 2 shown]
	v_mul_f32_e32 v3, v3, v4
	v_fmac_f32_e32 v2, v2, v3
	v_sub_f32_e32 v3, 0x3fc90fdb, v2
	v_cmp_gt_f32_e64 vcc, v10, |v11|
	v_cndmask_b32_e32 v2, v2, v3, vcc
	v_sub_f32_e32 v3, 0x40490fdb, v2
	v_cmp_gt_f32_e32 vcc, 0, v11
	v_cndmask_b32_e32 v2, v2, v3, vcc
	v_mov_b32_e32 v3, 0x40490fdb
	v_cmp_gt_i32_e64 s[4:5], 0, v11
	v_cndmask_b32_e64 v3, 0, v3, s[4:5]
	s_movk_i32 s4, 0x204
	v_mov_b32_e32 v4, 0x3f490fdb
	v_mov_b32_e32 v5, 0x4016cbe4
	v_cmp_class_f32_e64 s[18:19], v11, s4
	s_mov_b32 s4, 0x7f800000
	v_cndmask_b32_e32 v4, v4, v5, vcc
	v_cmp_eq_f32_e32 vcc, s4, v10
	v_cmp_eq_f32_e64 s[4:5], 0, v10
	v_cndmask_b32_e64 v2, |v2|, v3, s[4:5]
	s_and_b64 vcc, vcc, s[18:19]
	v_cndmask_b32_e32 v2, v2, v4, vcc
	v_mov_b32_e32 v3, 0x7fc00000
	v_cmp_o_f32_e32 vcc, v11, v11
	v_cndmask_b32_e32 v2, v3, v2, vcc
.LBB31_109:
	s_or_b64 exec, exec, s[16:17]
	s_brev_b32 s4, -2
	v_bfi_b32 v0, s4, v8, v0
	v_bfi_b32 v1, s4, v2, v1
.LBB31_110:
	s_or_b64 exec, exec, s[14:15]
.LBB31_111:
	s_or_b64 exec, exec, s[12:13]
                                        ; implicit-def: $vgpr2
                                        ; implicit-def: $vgpr5
                                        ; implicit-def: $vgpr3
                                        ; implicit-def: $vgpr6
.LBB31_112:
	s_andn2_saveexec_b64 s[12:13], s[6:7]
	s_cbranch_execz .LBB31_134
; %bb.113:
	v_mov_b32_e32 v4, 0
	s_waitcnt lgkmcnt(0)
	v_cmp_lt_i16_sdwa s[4:5], v2, v4 src0_sel:WORD_1 src1_sel:DWORD
                                        ; implicit-def: $vgpr7
                                        ; implicit-def: $vgpr4
	s_and_saveexec_b64 s[6:7], s[4:5]
	s_xor_b64 s[14:15], exec, s[6:7]
	s_cbranch_execz .LBB31_123
; %bb.114:
	v_cmp_gt_f32_e64 s[4:5], |v1|, -v0
	v_cndmask_b32_e64 v6, -v0, |v1|, s[4:5]
	s_mov_b32 s6, 0x7effffff
	v_cmp_nlt_f32_e32 vcc, s6, v6
                                        ; implicit-def: $vgpr4
                                        ; implicit-def: $vgpr5
	s_and_saveexec_b64 s[6:7], vcc
	s_xor_b64 s[16:17], exec, s[6:7]
	s_cbranch_execz .LBB31_120
; %bb.115:
	v_xor_b32_e32 v4, 0x80000000, v0
	s_mov_b32 s6, 0x5e000000
	v_cndmask_b32_e64 v7, |v1|, v4, s[4:5]
	v_cmp_nlt_f32_e32 vcc, s6, v6
	s_brev_b32 s6, 4
	v_cmp_ngt_f32_e64 s[6:7], s6, v7
	s_and_b64 s[6:7], vcc, s[6:7]
                                        ; implicit-def: $vgpr4
                                        ; implicit-def: $vgpr5
	s_and_saveexec_b64 s[18:19], s[6:7]
	s_xor_b64 s[18:19], exec, s[18:19]
	s_cbranch_execz .LBB31_117
; %bb.116:
	v_mul_f32_e32 v4, v7, v7
	v_fmac_f32_e32 v4, v6, v6
	s_mov_b32 s6, 0x800000
	v_cmp_gt_f32_e32 vcc, s6, v4
	v_cndmask_b32_e64 v5, 0, 32, vcc
	v_ldexp_f32 v4, v4, v5
	v_log_f32_e32 v4, v4
	s_mov_b32 s6, 0x3f317217
	v_mul_f32_e32 v5, 0x3f317217, v4
	v_fma_f32 v5, v4, s6, -v5
	v_fmac_f32_e32 v5, 0x3377d1cf, v4
	s_mov_b32 s6, 0x7f800000
	v_fmac_f32_e32 v5, 0x3f317217, v4
	v_cmp_lt_f32_e64 s[6:7], |v4|, s6
	v_cndmask_b32_e64 v4, v4, v5, s[6:7]
	v_mov_b32_e32 v5, 0x41b17218
	v_cndmask_b32_e32 v5, 0, v5, vcc
	v_sub_f32_e32 v4, v4, v5
	v_max_f32_e64 v5, -v0, -v0
	v_min_f32_e32 v6, v5, v3
	v_max_f32_e32 v3, v5, v3
	v_frexp_mant_f32_e32 v5, v3
	v_rcp_f32_e32 v5, v5
	v_frexp_exp_i32_f32_e32 v3, v3
	v_frexp_exp_i32_f32_e32 v7, v6
	v_frexp_mant_f32_e32 v6, v6
	v_mul_f32_e32 v5, v6, v5
	v_sub_u32_e32 v3, v7, v3
	v_ldexp_f32 v5, v5, v3
	v_mul_f32_e32 v3, v5, v5
	v_mov_b32_e32 v6, 0xbc7a590c
	v_fmac_f32_e32 v6, 0x3b2d2a58, v3
	v_mov_b32_e32 v7, 0x3d29fb3f
	v_fmac_f32_e32 v7, v3, v6
	;; [unrolled: 2-line block ×7, first 2 shown]
	v_mul_f32_e32 v3, v3, v6
	v_mul_f32_e32 v4, 0.5, v4
	v_fmac_f32_e32 v5, v5, v3
                                        ; implicit-def: $vgpr3
.LBB31_117:
	s_andn2_saveexec_b64 s[6:7], s[18:19]
	s_cbranch_execz .LBB31_119
; %bb.118:
	v_max_f32_e64 v6, -v0, -v0
	v_max_f32_e32 v7, v6, v3
	v_cvt_f64_f32_e32 v[4:5], v7
	v_min_f32_e32 v3, v6, v3
	s_mov_b32 s18, 0x7f800000
	v_cmp_neq_f32_e32 vcc, s18, v7
	v_frexp_exp_i32_f64_e32 v4, v[4:5]
	v_mov_b32_e32 v5, 0x7f800000
	s_mov_b32 s19, 0x800000
	v_frexp_mant_f32_e32 v10, v7
	s_mov_b32 s20, 0x3f317217
	v_mov_b32_e32 v8, 0x41b17218
	v_frexp_exp_i32_f32_e32 v11, v3
	v_frexp_mant_f32_e32 v3, v3
	v_sub_u32_e32 v6, 0, v4
	v_ldexp_f32 v9, -v0, v6
	v_ldexp_f32 v6, |v1|, v6
	v_mul_f32_e32 v6, v6, v6
	v_fmac_f32_e32 v6, v9, v9
	v_sqrt_f32_e32 v6, v6
	v_frexp_exp_i32_f32_e32 v9, v7
	v_ldexp_f32 v4, v6, v4
	v_cndmask_b32_e32 v4, v5, v4, vcc
	v_cmp_gt_f32_e32 vcc, s19, v4
	v_cndmask_b32_e64 v5, 0, 32, vcc
	v_ldexp_f32 v4, v4, v5
	v_log_f32_e32 v4, v4
	v_rcp_f32_e32 v5, v10
	v_cndmask_b32_e32 v6, 0, v8, vcc
	v_mul_f32_e32 v7, 0x3f317217, v4
	v_fma_f32 v7, v4, s20, -v7
	v_fmac_f32_e32 v7, 0x3377d1cf, v4
	v_fmac_f32_e32 v7, 0x3f317217, v4
	v_cmp_lt_f32_e64 vcc, |v4|, s18
	v_mul_f32_e32 v3, v3, v5
	v_sub_u32_e32 v5, v11, v9
	v_cndmask_b32_e32 v4, v4, v7, vcc
	v_ldexp_f32 v5, v3, v5
	v_sub_f32_e32 v4, v4, v6
	v_mul_f32_e32 v3, v5, v5
	v_mov_b32_e32 v6, 0xbc7a590c
	v_fmac_f32_e32 v6, 0x3b2d2a58, v3
	v_mov_b32_e32 v7, 0x3d29fb3f
	v_fmac_f32_e32 v7, v3, v6
	;; [unrolled: 2-line block ×7, first 2 shown]
	v_mul_f32_e32 v3, v3, v6
	v_fmac_f32_e32 v5, v5, v3
.LBB31_119:
	s_or_b64 exec, exec, s[6:7]
                                        ; implicit-def: $vgpr3
.LBB31_120:
	s_andn2_saveexec_b64 s[16:17], s[16:17]
	s_cbranch_execz .LBB31_122
; %bb.121:
	s_mov_b32 s18, 0xc02df854
	v_div_scale_f32 v4, s[6:7], s18, s18, v0
	v_div_scale_f32 v5, s[6:7], s18, s18, v1
	v_div_scale_f32 v6, vcc, v0, s18, v0
	v_div_scale_f32 v7, s[6:7], v1, s18, v1
	s_mov_b32 s19, 0x3f317217
	v_rcp_f32_e32 v8, v4
	v_rcp_f32_e32 v9, v5
	v_fma_f32 v10, -v4, v8, 1.0
	v_fmac_f32_e32 v8, v10, v8
	v_fma_f32 v11, -v5, v9, 1.0
	v_fmac_f32_e32 v9, v11, v9
	v_mul_f32_e32 v10, v6, v8
	v_mul_f32_e32 v11, v7, v9
	v_fma_f32 v12, -v4, v10, v6
	v_fma_f32 v13, -v5, v11, v7
	v_fmac_f32_e32 v10, v12, v8
	v_fmac_f32_e32 v11, v13, v9
	v_fma_f32 v4, -v4, v10, v6
	v_fma_f32 v5, -v5, v11, v7
	v_div_fmas_f32 v4, v4, v8, v10
	s_mov_b64 vcc, s[6:7]
	v_div_fmas_f32 v5, v5, v9, v11
	v_max_f32_e64 v8, -v0, -v0
	v_min_f32_e32 v14, v8, v3
	v_max_f32_e32 v3, v8, v3
	v_frexp_exp_i32_f32_e32 v8, v3
	v_frexp_mant_f32_e32 v3, v3
	v_rcp_f32_e32 v3, v3
	s_mov_b32 s6, 0x7f800000
	v_mov_b32_e32 v6, 0x7f800000
	s_mov_b32 s7, 0x800000
	v_mov_b32_e32 v7, 0x41b17218
	v_mov_b32_e32 v9, 0xbc7a590c
	;; [unrolled: 1-line block ×4, first 2 shown]
	v_div_fixup_f32 v15, v4, s18, v0
	v_mov_b32_e32 v12, 0x3dd931b2
	v_div_fixup_f32 v16, v5, s18, v1
	v_max_f32_e64 v17, |v15|, |v16|
	v_cvt_f64_f32_e32 v[4:5], v17
	v_cmp_neq_f32_e32 vcc, s6, v17
	v_mov_b32_e32 v13, 0xbe1160e6
	v_frexp_exp_i32_f64_e32 v4, v[4:5]
	v_frexp_exp_i32_f32_e32 v5, v14
	v_frexp_mant_f32_e32 v14, v14
	v_sub_u32_e32 v5, v5, v8
	v_mul_f32_e32 v3, v14, v3
	v_ldexp_f32 v5, v3, v5
	v_mul_f32_e32 v3, v5, v5
	v_fmac_f32_e32 v9, 0x3b2d2a58, v3
	v_sub_u32_e32 v8, 0, v4
	v_ldexp_f32 v14, |v15|, v8
	v_ldexp_f32 v8, |v16|, v8
	v_mul_f32_e32 v8, v8, v8
	v_fmac_f32_e32 v8, v14, v14
	v_sqrt_f32_e32 v8, v8
	v_fmac_f32_e32 v10, v3, v9
	v_fmac_f32_e32 v11, v3, v10
	;; [unrolled: 1-line block ×3, first 2 shown]
	v_ldexp_f32 v4, v8, v4
	v_cndmask_b32_e32 v4, v6, v4, vcc
	v_cmp_gt_f32_e32 vcc, s7, v4
	v_cndmask_b32_e64 v6, 0, 32, vcc
	v_ldexp_f32 v4, v4, v6
	v_log_f32_e32 v4, v4
	v_cndmask_b32_e32 v6, 0, v7, vcc
	v_fmac_f32_e32 v13, v3, v12
	v_mul_f32_e32 v7, 0x3f317217, v4
	v_fma_f32 v7, v4, s19, -v7
	v_fmac_f32_e32 v7, 0x3377d1cf, v4
	v_fmac_f32_e32 v7, 0x3f317217, v4
	v_cmp_lt_f32_e64 vcc, |v4|, s6
	v_cndmask_b32_e32 v4, v4, v7, vcc
	v_sub_f32_e32 v4, v4, v6
	v_mov_b32_e32 v6, 0x3e4cb8bf
	v_fmac_f32_e32 v6, v3, v13
	v_mov_b32_e32 v7, 0xbeaaaa62
	v_fmac_f32_e32 v7, v3, v6
	v_mul_f32_e32 v3, v3, v7
	v_add_f32_e32 v4, 1.0, v4
	v_fmac_f32_e32 v5, v5, v3
.LBB31_122:
	s_or_b64 exec, exec, s[16:17]
	v_sub_f32_e32 v3, 0x3fc90fdb, v5
	v_cndmask_b32_e64 v3, v5, v3, s[4:5]
	s_mov_b32 s4, 0xfc00
	s_movk_i32 s6, 0x204
	v_cmp_eq_f16_sdwa s[4:5], v2, s4 src0_sel:WORD_1 src1_sel:DWORD
	v_cmp_neq_f16_e32 vcc, 0, v2
	v_cmp_class_f32_e64 s[6:7], v1, s6
	v_cndmask_b32_e32 v2, 0, v3, vcc
	v_mov_b32_e32 v3, 0x3f490fdb
	s_and_b64 vcc, s[4:5], s[6:7]
	v_cndmask_b32_e32 v2, v2, v3, vcc
	v_xor_b32_e32 v3, 0x80000000, v1
	s_brev_b32 s4, -2
	v_bfi_b32 v7, s4, v2, v3
                                        ; implicit-def: $vgpr2
                                        ; implicit-def: $vgpr5
                                        ; implicit-def: $vgpr3
                                        ; implicit-def: $vgpr6
.LBB31_123:
	s_andn2_saveexec_b64 s[14:15], s[14:15]
	s_cbranch_execz .LBB31_133
; %bb.124:
	v_cmp_lt_f32_e64 s[4:5], |v0|, |v1|
	v_cndmask_b32_e64 v8, |v0|, |v1|, s[4:5]
	s_mov_b32 s6, 0x7effffff
	v_cmp_nlt_f32_e32 vcc, s6, v8
                                        ; implicit-def: $vgpr4
                                        ; implicit-def: $vgpr7
	s_and_saveexec_b64 s[6:7], vcc
	s_xor_b64 s[16:17], exec, s[6:7]
	s_cbranch_execz .LBB31_130
; %bb.125:
	s_mov_b32 s6, 0x5e000000
	v_cndmask_b32_e64 v9, |v1|, |v0|, s[4:5]
	v_cmp_nlt_f32_e32 vcc, s6, v8
	s_brev_b32 s6, 4
	v_cmp_ngt_f32_e64 s[6:7], s6, v9
	s_and_b64 s[6:7], vcc, s[6:7]
                                        ; implicit-def: $vgpr4
                                        ; implicit-def: $vgpr7
	s_and_saveexec_b64 s[18:19], s[6:7]
	s_xor_b64 s[18:19], exec, s[18:19]
	s_cbranch_execz .LBB31_127
; %bb.126:
	v_mul_f32_e32 v4, v9, v9
	v_fmac_f32_e32 v4, v8, v8
	s_mov_b32 s6, 0x800000
	v_cmp_gt_f32_e32 vcc, s6, v4
	v_cndmask_b32_e64 v7, 0, 32, vcc
	v_ldexp_f32 v4, v4, v7
	v_log_f32_e32 v4, v4
	s_mov_b32 s6, 0x3f317217
	v_min_f32_e32 v3, v5, v3
	v_frexp_mant_f32_e32 v5, v6
	v_mul_f32_e32 v7, 0x3f317217, v4
	v_fma_f32 v7, v4, s6, -v7
	v_fmac_f32_e32 v7, 0x3377d1cf, v4
	s_mov_b32 s6, 0x7f800000
	v_fmac_f32_e32 v7, 0x3f317217, v4
	v_cmp_lt_f32_e64 s[6:7], |v4|, s6
	v_rcp_f32_e32 v5, v5
	v_cndmask_b32_e64 v4, v4, v7, s[6:7]
	v_mov_b32_e32 v7, 0x41b17218
	v_cndmask_b32_e32 v7, 0, v7, vcc
	v_sub_f32_e32 v4, v4, v7
	v_frexp_exp_i32_f32_e32 v6, v6
	v_frexp_exp_i32_f32_e32 v7, v3
	v_frexp_mant_f32_e32 v3, v3
	v_mul_f32_e32 v3, v3, v5
	v_sub_u32_e32 v5, v7, v6
	v_ldexp_f32 v7, v3, v5
	v_mul_f32_e32 v3, v7, v7
	v_mov_b32_e32 v5, 0xbc7a590c
	v_fmac_f32_e32 v5, 0x3b2d2a58, v3
	v_mov_b32_e32 v6, 0x3d29fb3f
	v_fmac_f32_e32 v6, v3, v5
	;; [unrolled: 2-line block ×7, first 2 shown]
	v_mul_f32_e32 v3, v3, v5
	v_mul_f32_e32 v4, 0.5, v4
	v_fmac_f32_e32 v7, v7, v3
                                        ; implicit-def: $vgpr6
                                        ; implicit-def: $vgpr5
                                        ; implicit-def: $vgpr3
.LBB31_127:
	s_andn2_saveexec_b64 s[6:7], s[18:19]
	s_cbranch_execz .LBB31_129
; %bb.128:
	v_cvt_f64_f32_e32 v[7:8], v6
	v_min_f32_e32 v3, v5, v3
	s_mov_b32 s18, 0x7f800000
	v_cmp_neq_f32_e32 vcc, s18, v6
	v_frexp_exp_i32_f64_e32 v4, v[7:8]
	v_mov_b32_e32 v7, 0x7f800000
	s_mov_b32 s19, 0x800000
	v_frexp_mant_f32_e32 v10, v6
	v_rcp_f32_e32 v10, v10
	s_mov_b32 s20, 0x3f317217
	v_mov_b32_e32 v8, 0x41b17218
	v_sub_u32_e32 v5, 0, v4
	v_ldexp_f32 v9, |v0|, v5
	v_ldexp_f32 v5, |v1|, v5
	v_mul_f32_e32 v5, v5, v5
	v_fmac_f32_e32 v5, v9, v9
	v_sqrt_f32_e32 v5, v5
	v_frexp_exp_i32_f32_e32 v9, v6
	v_ldexp_f32 v4, v5, v4
	v_cndmask_b32_e32 v4, v7, v4, vcc
	v_cmp_gt_f32_e32 vcc, s19, v4
	v_cndmask_b32_e64 v5, 0, 32, vcc
	v_ldexp_f32 v4, v4, v5
	v_log_f32_e32 v4, v4
	v_frexp_exp_i32_f32_e32 v5, v3
	v_frexp_mant_f32_e32 v3, v3
	v_cndmask_b32_e32 v6, 0, v8, vcc
	v_mul_f32_e32 v7, 0x3f317217, v4
	v_fma_f32 v7, v4, s20, -v7
	v_fmac_f32_e32 v7, 0x3377d1cf, v4
	v_fmac_f32_e32 v7, 0x3f317217, v4
	v_cmp_lt_f32_e64 vcc, |v4|, s18
	v_mul_f32_e32 v3, v3, v10
	v_sub_u32_e32 v5, v5, v9
	v_cndmask_b32_e32 v4, v4, v7, vcc
	v_ldexp_f32 v7, v3, v5
	v_mul_f32_e32 v3, v7, v7
	v_mov_b32_e32 v5, 0xbc7a590c
	v_sub_f32_e32 v4, v4, v6
	v_fmac_f32_e32 v5, 0x3b2d2a58, v3
	v_mov_b32_e32 v6, 0x3d29fb3f
	v_fmac_f32_e32 v6, v3, v5
	v_mov_b32_e32 v5, 0xbd97d4d7
	;; [unrolled: 2-line block ×6, first 2 shown]
	v_fmac_f32_e32 v5, v3, v6
	v_mul_f32_e32 v3, v3, v5
	v_fmac_f32_e32 v7, v7, v3
.LBB31_129:
	s_or_b64 exec, exec, s[6:7]
                                        ; implicit-def: $vgpr5
                                        ; implicit-def: $vgpr3
                                        ; implicit-def: $vgpr6
.LBB31_130:
	s_andn2_saveexec_b64 s[16:17], s[16:17]
	s_cbranch_execz .LBB31_132
; %bb.131:
	s_mov_b32 s18, 0x402df854
	v_div_scale_f32 v4, s[6:7], s18, s18, v0
	v_div_scale_f32 v7, s[6:7], s18, s18, v1
	v_div_scale_f32 v8, vcc, v0, s18, v0
	v_div_scale_f32 v9, s[6:7], v1, s18, v1
	v_min_f32_e32 v5, v5, v3
	s_mov_b32 s19, 0x3f317217
	v_mov_b32_e32 v18, 0xbe1160e6
	v_mov_b32_e32 v19, 0x3e4cb8bf
	v_rcp_f32_e32 v10, v4
	v_rcp_f32_e32 v11, v7
	v_fma_f32 v12, -v4, v10, 1.0
	v_fmac_f32_e32 v10, v12, v10
	v_fma_f32 v13, -v7, v11, 1.0
	v_fmac_f32_e32 v11, v13, v11
	v_mul_f32_e32 v12, v8, v10
	v_mul_f32_e32 v13, v9, v11
	v_fma_f32 v14, -v4, v12, v8
	v_fma_f32 v15, -v7, v13, v9
	v_fmac_f32_e32 v12, v14, v10
	v_fmac_f32_e32 v13, v15, v11
	v_fma_f32 v4, -v4, v12, v8
	v_fma_f32 v7, -v7, v13, v9
	v_div_fmas_f32 v4, v4, v10, v12
	s_mov_b64 vcc, s[6:7]
	v_div_fmas_f32 v7, v7, v11, v13
	v_frexp_exp_i32_f32_e32 v10, v6
	v_frexp_mant_f32_e32 v6, v6
	v_rcp_f32_e32 v6, v6
	s_mov_b32 s6, 0x7f800000
	v_mov_b32_e32 v8, 0x7f800000
	s_mov_b32 s7, 0x800000
	v_mov_b32_e32 v11, 0xbc7a590c
	v_mov_b32_e32 v12, 0x3d29fb3f
	;; [unrolled: 1-line block ×5, first 2 shown]
	v_div_fixup_f32 v15, v4, s18, v0
	v_div_fixup_f32 v16, v7, s18, v1
	v_max_f32_e64 v17, v15, |v16|
	v_cvt_f64_f32_e32 v[3:4], v17
	v_cmp_neq_f32_e32 vcc, s6, v17
	v_frexp_exp_i32_f64_e32 v3, v[3:4]
	v_frexp_exp_i32_f32_e32 v4, v5
	v_frexp_mant_f32_e32 v5, v5
	v_sub_u32_e32 v4, v4, v10
	v_mul_f32_e32 v5, v5, v6
	v_ldexp_f32 v7, v5, v4
	v_mul_f32_e32 v5, v7, v7
	v_fmac_f32_e32 v11, 0x3b2d2a58, v5
	v_sub_u32_e32 v4, 0, v3
	v_ldexp_f32 v6, v15, v4
	v_ldexp_f32 v4, |v16|, v4
	v_mul_f32_e32 v4, v4, v4
	v_fmac_f32_e32 v4, v6, v6
	v_sqrt_f32_e32 v4, v4
	v_fmac_f32_e32 v12, v5, v11
	v_fmac_f32_e32 v13, v5, v12
	;; [unrolled: 1-line block ×3, first 2 shown]
	v_ldexp_f32 v3, v4, v3
	v_cndmask_b32_e32 v3, v8, v3, vcc
	v_cmp_gt_f32_e32 vcc, s7, v3
	v_cndmask_b32_e64 v4, 0, 32, vcc
	v_ldexp_f32 v3, v3, v4
	v_log_f32_e32 v3, v3
	v_cndmask_b32_e32 v4, 0, v9, vcc
	v_fmac_f32_e32 v18, v5, v14
	v_fmac_f32_e32 v19, v5, v18
	v_mul_f32_e32 v6, 0x3f317217, v3
	v_fma_f32 v6, v3, s19, -v6
	v_fmac_f32_e32 v6, 0x3377d1cf, v3
	v_fmac_f32_e32 v6, 0x3f317217, v3
	v_cmp_lt_f32_e64 vcc, |v3|, s6
	v_cndmask_b32_e32 v3, v3, v6, vcc
	v_sub_f32_e32 v3, v3, v4
	v_add_f32_e32 v4, 1.0, v3
	v_mov_b32_e32 v3, 0xbeaaaa62
	v_fmac_f32_e32 v3, v5, v19
	v_mul_f32_e32 v3, v5, v3
	v_fmac_f32_e32 v7, v7, v3
.LBB31_132:
	s_or_b64 exec, exec, s[16:17]
	v_sub_f32_e32 v3, 0x3fc90fdb, v7
	s_movk_i32 s6, 0x204
	v_cndmask_b32_e64 v3, v7, v3, s[4:5]
	v_cmp_neq_f16_e32 vcc, 0, v2
	v_cmp_class_f32_e64 s[4:5], v0, s6
	v_cmp_class_f32_e64 s[6:7], v1, s6
	v_cndmask_b32_e32 v2, 0, v3, vcc
	v_mov_b32_e32 v3, 0x3f490fdb
	s_and_b64 vcc, s[6:7], s[4:5]
	v_cndmask_b32_e32 v2, v2, v3, vcc
	s_brev_b32 s4, -2
	v_bfi_b32 v7, s4, v2, v1
.LBB31_133:
	s_or_b64 exec, exec, s[14:15]
	v_add_f32_e32 v2, 0x3f317218, v4
	s_brev_b32 s4, -2
	v_bfi_b32 v0, s4, v2, v0
	v_bfi_b32 v1, s4, v7, v1
.LBB31_134:
	s_or_b64 exec, exec, s[12:13]
                                        ; implicit-def: $vgpr2
.LBB31_135:
	s_andn2_saveexec_b64 s[4:5], s[10:11]
	s_cbranch_execz .LBB31_149
; %bb.136:
	s_mov_b32 s10, 0x7f800000
	v_cmp_neq_f32_e64 s[6:7], |v0|, s10
                                        ; implicit-def: $vgpr3
                                        ; implicit-def: $vgpr4
	s_and_saveexec_b64 s[12:13], s[6:7]
	s_xor_b64 s[6:7], exec, s[12:13]
	s_cbranch_execz .LBB31_146
; %bb.137:
	v_cmp_neq_f32_e64 s[10:11], |v1|, s10
                                        ; implicit-def: $vgpr3
                                        ; implicit-def: $vgpr4
	s_and_saveexec_b64 s[12:13], s[10:11]
	s_xor_b64 s[10:11], exec, s[12:13]
	s_cbranch_execz .LBB31_143
; %bb.138:
	s_waitcnt lgkmcnt(0)
	v_cmp_neq_f16_e32 vcc, 0, v2
                                        ; implicit-def: $vgpr3
	s_and_saveexec_b64 s[12:13], vcc
	s_xor_b64 s[12:13], exec, s[12:13]
; %bb.139:
	v_add_f32_e32 v0, 0, v0
	v_add_f32_e32 v3, v0, v1
                                        ; implicit-def: $vgpr0
                                        ; implicit-def: $vgpr1
; %bb.140:
	s_or_saveexec_b64 s[12:13], s[12:13]
	v_mov_b32_e32 v4, v3
	s_xor_b64 exec, exec, s[12:13]
; %bb.141:
	v_add_f32_e32 v4, v0, v0
	v_mov_b32_e32 v3, v1
; %bb.142:
	s_or_b64 exec, exec, s[12:13]
                                        ; implicit-def: $vgpr0
                                        ; implicit-def: $vgpr1
.LBB31_143:
	s_andn2_saveexec_b64 s[10:11], s[10:11]
; %bb.144:
	v_add_f32_e32 v3, v0, v0
	v_mov_b32_e32 v4, v1
; %bb.145:
	s_or_b64 exec, exec, s[10:11]
                                        ; implicit-def: $vgpr1
                                        ; implicit-def: $vgpr0
.LBB31_146:
	s_andn2_saveexec_b64 s[6:7], s[6:7]
; %bb.147:
	v_add_f32_e32 v3, v1, v1
	v_mov_b32_e32 v4, v0
; %bb.148:
	s_or_b64 exec, exec, s[6:7]
	v_mov_b32_e32 v0, v4
	v_mov_b32_e32 v1, v3
.LBB31_149:
	s_or_b64 exec, exec, s[4:5]
	v_cvt_f16_f32_e32 v1, v1
	v_cvt_f16_f32_sdwa v0, v0 dst_sel:WORD_1 dst_unused:UNUSED_PAD src0_sel:DWORD
	v_or_b32_e32 v0, v0, v1
	s_or_b64 exec, exec, s[8:9]
	s_waitcnt lgkmcnt(0)
	s_setpc_b64 s[30:31]
.LBB31_150:
	v_mov_b32_e32 v2, 28
	v_cmp_gt_i16_sdwa s[8:9], v3, v2 src0_sel:BYTE_0 src1_sel:DWORD
	s_mov_b64 s[14:15], 0
                                        ; implicit-def: $vgpr2
	s_and_saveexec_b64 s[16:17], s[8:9]
	s_xor_b64 s[8:9], exec, s[16:17]
	s_cbranch_execz .LBB31_166
; %bb.151:
	v_mov_b32_e32 v2, 43
	v_cmp_gt_i16_sdwa s[12:13], v3, v2 src0_sel:BYTE_0 src1_sel:DWORD
	s_mov_b64 s[16:17], 0
	s_mov_b64 s[18:19], 0
                                        ; implicit-def: $vgpr2
	s_and_saveexec_b64 s[14:15], s[12:13]
	s_xor_b64 s[12:13], exec, s[14:15]
	s_cbranch_execz .LBB31_161
; %bb.152:
	v_mov_b32_e32 v2, 45
	v_cmp_gt_i16_sdwa s[18:19], v3, v2 src0_sel:BYTE_0 src1_sel:DWORD
	s_mov_b64 s[14:15], 0
                                        ; implicit-def: $vgpr2
	s_and_saveexec_b64 s[20:21], s[18:19]
	s_xor_b64 s[18:19], exec, s[20:21]
	s_cbranch_execz .LBB31_156
; %bb.153:
	v_mov_b32_e32 v2, 46
	v_cmp_eq_u16_sdwa s[22:23], v3, v2 src0_sel:BYTE_0 src1_sel:DWORD
	s_mov_b64 s[20:21], -1
                                        ; implicit-def: $vgpr2
	s_and_saveexec_b64 s[16:17], s[22:23]
	s_cbranch_execz .LBB31_155
; %bb.154:
	flat_load_dword v2, v[0:1]
	s_mov_b32 s20, 0x5040100
	s_mov_b64 s[14:15], exec
	s_waitcnt vmcnt(0) lgkmcnt(0)
	v_and_b32_e32 v3, 0xffff0000, v2
	v_lshlrev_b32_e32 v2, 16, v2
	v_cvt_f16_f32_e32 v2, v2
	v_cvt_f16_f32_e32 v3, v3
	v_perm_b32 v2, v3, v2, s20
	s_xor_b64 s[20:21], exec, -1
.LBB31_155:
	s_or_b64 exec, exec, s[16:17]
	s_and_b64 s[16:17], s[14:15], exec
	s_and_b64 s[14:15], s[20:21], exec
                                        ; implicit-def: $vgpr3
.LBB31_156:
	s_andn2_saveexec_b64 s[18:19], s[18:19]
	s_cbranch_execz .LBB31_160
; %bb.157:
	v_mov_b32_e32 v2, 44
	v_cmp_eq_u16_sdwa s[26:27], v3, v2 src0_sel:BYTE_0 src1_sel:DWORD
	s_mov_b64 s[24:25], -1
	s_mov_b64 s[22:23], s[16:17]
                                        ; implicit-def: $vgpr2
	s_and_saveexec_b64 s[20:21], s[26:27]
	s_cbranch_execz .LBB31_159
; %bb.158:
	flat_load_ubyte v2, v[0:1]
	s_movk_i32 s24, 0xff
	v_mov_b32_e32 v4, 0x7e00
	s_or_b64 s[22:23], s[16:17], exec
	s_waitcnt vmcnt(0) lgkmcnt(0)
	v_lshlrev_b32_e32 v3, 23, v2
	v_cvt_f16_f32_e32 v3, v3
	v_cmp_ne_u32_e32 vcc, s24, v2
	s_xor_b64 s[24:25], exec, -1
	v_cndmask_b32_e32 v3, v4, v3, vcc
	v_cmp_ne_u32_e32 vcc, 0, v2
	v_cndmask_b32_e32 v2, 0, v3, vcc
	v_and_b32_e32 v2, 0xffff, v2
.LBB31_159:
	s_or_b64 exec, exec, s[20:21]
	s_andn2_b64 s[16:17], s[16:17], exec
	s_and_b64 s[20:21], s[22:23], exec
	s_or_b64 s[16:17], s[16:17], s[20:21]
	s_andn2_b64 s[14:15], s[14:15], exec
	s_and_b64 s[20:21], s[24:25], exec
	s_or_b64 s[14:15], s[14:15], s[20:21]
.LBB31_160:
	s_or_b64 exec, exec, s[18:19]
	s_and_b64 s[18:19], s[16:17], exec
	s_and_b64 s[16:17], s[14:15], exec
                                        ; implicit-def: $vgpr3
.LBB31_161:
	s_andn2_saveexec_b64 s[12:13], s[12:13]
	s_cbranch_execz .LBB31_165
; %bb.162:
	v_mov_b32_e32 v2, 29
	v_cmp_eq_u16_sdwa s[24:25], v3, v2 src0_sel:BYTE_0 src1_sel:DWORD
	s_mov_b64 s[20:21], -1
	s_mov_b64 s[22:23], s[18:19]
                                        ; implicit-def: $vgpr2
	s_and_saveexec_b64 s[14:15], s[24:25]
	s_cbranch_execz .LBB31_164
; %bb.163:
	flat_load_dwordx2 v[2:3], v[0:1]
	s_or_b64 s[22:23], s[18:19], exec
	s_xor_b64 s[20:21], exec, -1
	s_waitcnt vmcnt(0) lgkmcnt(0)
	v_ffbh_u32_e32 v4, v3
	v_min_u32_e32 v4, 32, v4
	v_lshlrev_b64 v[2:3], v4, v[2:3]
	v_min_u32_e32 v2, 1, v2
	v_or_b32_e32 v2, v3, v2
	v_cvt_f32_u32_e32 v2, v2
	v_sub_u32_e32 v3, 32, v4
	v_ldexp_f32 v2, v2, v3
	v_cvt_f16_f32_e32 v2, v2
.LBB31_164:
	s_or_b64 exec, exec, s[14:15]
	s_andn2_b64 s[14:15], s[18:19], exec
	s_and_b64 s[18:19], s[22:23], exec
	s_or_b64 s[18:19], s[14:15], s[18:19]
	s_andn2_b64 s[14:15], s[16:17], exec
	s_and_b64 s[16:17], s[20:21], exec
	s_or_b64 s[16:17], s[14:15], s[16:17]
.LBB31_165:
	s_or_b64 exec, exec, s[12:13]
	s_and_b64 s[14:15], s[18:19], exec
	s_and_b64 s[12:13], s[16:17], exec
                                        ; implicit-def: $vgpr3
.LBB31_166:
	s_andn2_saveexec_b64 s[8:9], s[8:9]
	s_cbranch_execz .LBB31_180
; %bb.167:
	v_mov_b32_e32 v2, 26
	v_cmp_gt_i16_sdwa s[16:17], v3, v2 src0_sel:BYTE_0 src1_sel:DWORD
                                        ; implicit-def: $vgpr2
	s_and_saveexec_b64 s[18:19], s[16:17]
	s_xor_b64 s[16:17], exec, s[18:19]
	s_cbranch_execz .LBB31_173
; %bb.168:
	v_mov_b32_e32 v2, 27
	v_cmp_gt_i16_sdwa s[18:19], v3, v2 src0_sel:BYTE_0 src1_sel:DWORD
                                        ; implicit-def: $vgpr2
	s_and_saveexec_b64 s[20:21], s[18:19]
	s_xor_b64 s[18:19], exec, s[20:21]
	s_cbranch_execz .LBB31_170
; %bb.169:
	flat_load_dword v2, v[0:1]
	s_waitcnt vmcnt(0) lgkmcnt(0)
	v_cvt_f32_u32_e32 v2, v2
	v_cvt_f16_f32_e32 v2, v2
.LBB31_170:
	s_andn2_saveexec_b64 s[18:19], s[18:19]
	s_cbranch_execz .LBB31_172
; %bb.171:
	flat_load_ushort v2, v[0:1]
	s_waitcnt vmcnt(0) lgkmcnt(0)
	v_cvt_f16_u16_e32 v2, v2
.LBB31_172:
	s_or_b64 exec, exec, s[18:19]
.LBB31_173:
	s_andn2_saveexec_b64 s[16:17], s[16:17]
	s_cbranch_execz .LBB31_179
; %bb.174:
	flat_load_ubyte v3, v[0:1]
	s_movk_i32 s18, 0x7f
	s_waitcnt vmcnt(0) lgkmcnt(0)
	v_cmp_lt_i16_e32 vcc, s18, v3
	s_mov_b64 s[18:19], 0
	s_and_saveexec_b64 s[20:21], vcc
	s_xor_b64 s[20:21], exec, s[20:21]
	s_cbranch_execnz .LBB31_205
; %bb.175:
	s_or_saveexec_b64 s[20:21], s[20:21]
	v_mov_b32_e32 v2, 0x7e00
	s_xor_b64 exec, exec, s[20:21]
	s_cbranch_execnz .LBB31_208
.LBB31_176:
	s_or_b64 exec, exec, s[20:21]
	s_and_saveexec_b64 s[20:21], s[18:19]
	s_cbranch_execz .LBB31_178
.LBB31_177:
	v_lshlrev_b32_e32 v2, 24, v3
	v_and_b32_e32 v3, 0xffff, v3
	v_and_b32_e32 v4, 7, v3
	v_ffbh_u32_e32 v6, v4
	v_min_u32_e32 v6, 32, v6
	v_subrev_u32_e32 v7, 28, v6
	v_bfe_u32 v5, v3, 3, 4
	v_lshlrev_b32_e32 v3, v7, v3
	v_sub_u32_e32 v6, 29, v6
	v_and_b32_e32 v3, 7, v3
	v_cmp_eq_u32_e32 vcc, 0, v5
	v_cndmask_b32_e32 v5, v5, v6, vcc
	v_cndmask_b32_e32 v3, v4, v3, vcc
	v_mov_b32_e32 v4, 0x3b800000
	v_lshlrev_b32_e32 v3, 20, v3
	v_and_b32_e32 v2, 0x80000000, v2
	v_lshl_add_u32 v4, v5, 23, v4
	v_or3_b32 v2, v2, v4, v3
	v_cvt_f16_f32_e32 v2, v2
.LBB31_178:
	s_or_b64 exec, exec, s[20:21]
.LBB31_179:
	s_or_b64 exec, exec, s[16:17]
	s_or_b64 s[14:15], s[14:15], exec
.LBB31_180:
	s_or_b64 exec, exec, s[8:9]
	s_and_b64 s[8:9], s[14:15], exec
	s_and_b64 s[12:13], s[12:13], exec
                                        ; implicit-def: $vgpr3
	s_andn2_saveexec_b64 s[10:11], s[10:11]
	s_cbranch_execz .LBB31_6
.LBB31_181:
	v_mov_b32_e32 v2, 22
	v_cmp_gt_i16_sdwa s[6:7], v3, v2 src0_sel:BYTE_0 src1_sel:DWORD
	s_mov_b64 s[14:15], s[8:9]
                                        ; implicit-def: $vgpr2
	s_and_saveexec_b64 s[16:17], s[6:7]
	s_xor_b64 s[6:7], exec, s[16:17]
	s_cbranch_execz .LBB31_195
; %bb.182:
	v_mov_b32_e32 v2, 23
	v_cmp_gt_i16_sdwa s[14:15], v3, v2 src0_sel:BYTE_0 src1_sel:DWORD
                                        ; implicit-def: $vgpr2
	s_and_saveexec_b64 s[16:17], s[14:15]
	s_xor_b64 s[14:15], exec, s[16:17]
	s_cbranch_execz .LBB31_192
; %bb.183:
	v_mov_b32_e32 v2, 24
	v_cmp_gt_i16_sdwa s[16:17], v3, v2 src0_sel:BYTE_0 src1_sel:DWORD
                                        ; implicit-def: $vgpr2
	s_and_saveexec_b64 s[18:19], s[16:17]
	s_xor_b64 s[16:17], exec, s[18:19]
	s_cbranch_execz .LBB31_189
; %bb.184:
	flat_load_ubyte v3, v[0:1]
	s_movk_i32 s18, 0x7f
	s_waitcnt vmcnt(0) lgkmcnt(0)
	v_cmp_lt_i16_e32 vcc, s18, v3
	s_mov_b64 s[18:19], 0
	s_and_saveexec_b64 s[20:21], vcc
	s_xor_b64 s[20:21], exec, s[20:21]
	s_cbranch_execnz .LBB31_209
; %bb.185:
	s_or_saveexec_b64 s[20:21], s[20:21]
	v_mov_b32_e32 v2, 0x7e00
	s_xor_b64 exec, exec, s[20:21]
	s_cbranch_execnz .LBB31_212
.LBB31_186:
	s_or_b64 exec, exec, s[20:21]
	s_and_saveexec_b64 s[20:21], s[18:19]
	s_cbranch_execz .LBB31_188
.LBB31_187:
	v_lshlrev_b32_e32 v2, 24, v3
	v_and_b32_e32 v3, 0xffff, v3
	v_and_b32_e32 v4, 3, v3
	v_ffbh_u32_e32 v6, v4
	v_min_u32_e32 v6, 32, v6
	v_subrev_u32_e32 v7, 29, v6
	v_bfe_u32 v5, v3, 2, 5
	v_lshlrev_b32_e32 v3, v7, v3
	v_sub_u32_e32 v6, 30, v6
	v_and_b32_e32 v3, 3, v3
	v_cmp_eq_u32_e32 vcc, 0, v5
	v_cndmask_b32_e32 v5, v5, v6, vcc
	v_cndmask_b32_e32 v3, v4, v3, vcc
	v_mov_b32_e32 v4, 0x37800000
	v_lshlrev_b32_e32 v3, 21, v3
	v_and_b32_e32 v2, 0x80000000, v2
	v_lshl_add_u32 v4, v5, 23, v4
	v_or3_b32 v2, v2, v4, v3
	v_cvt_f16_f32_e32 v2, v2
.LBB31_188:
	s_or_b64 exec, exec, s[20:21]
.LBB31_189:
	s_andn2_saveexec_b64 s[16:17], s[16:17]
	s_cbranch_execz .LBB31_191
; %bb.190:
	flat_load_ubyte v2, v[0:1]
	s_mov_b32 s18, 0x7f800000
	s_waitcnt vmcnt(0) lgkmcnt(0)
	v_lshlrev_b32_e32 v2, 24, v2
	v_and_b32_e32 v3, 0x7f000000, v2
	v_ffbh_u32_e32 v4, v3
	v_min_u32_e32 v4, 32, v4
	v_sub_u32_e64 v4, v4, 4 clamp
	v_lshlrev_b32_e32 v6, v4, v3
	v_lshlrev_b32_e32 v4, 23, v4
	v_lshrrev_b32_e32 v6, 4, v6
	v_add_u32_e32 v5, 0x1000000, v3
	v_sub_u32_e32 v4, v6, v4
	v_ashrrev_i32_e32 v5, 8, v5
	v_add_u32_e32 v4, 0x3c000000, v4
	v_and_or_b32 v4, v5, s18, v4
	v_cmp_ne_u32_e32 vcc, 0, v3
	v_cndmask_b32_e32 v3, 0, v4, vcc
	s_brev_b32 s18, 1
	v_and_or_b32 v2, v2, s18, v3
	v_cvt_f16_f32_e32 v2, v2
.LBB31_191:
	s_or_b64 exec, exec, s[16:17]
.LBB31_192:
	s_andn2_saveexec_b64 s[14:15], s[14:15]
	s_cbranch_execz .LBB31_194
; %bb.193:
	flat_load_ubyte v2, v[0:1]
	s_movk_i32 s16, 0x7f00
	s_brev_b32 s17, 16
	s_waitcnt vmcnt(0) lgkmcnt(0)
	v_lshlrev_b16_e32 v3, 8, v2
	v_lshlrev_b32_e32 v2, 25, v2
	v_lshrrev_b32_e32 v4, 4, v2
	v_and_or_b32 v5, v3, s16, 0.5
	v_or_b32_e32 v4, 0x70000000, v4
	v_add_f32_e32 v5, -0.5, v5
	v_mul_f32_e32 v4, 0x7800000, v4
	v_cmp_gt_u32_e32 vcc, s17, v2
	v_bfe_i32 v3, v3, 0, 16
	v_cndmask_b32_e32 v2, v4, v5, vcc
	s_brev_b32 s16, 1
	v_and_or_b32 v2, v3, s16, v2
	v_cvt_f16_f32_e32 v2, v2
.LBB31_194:
	s_or_b64 exec, exec, s[14:15]
	s_or_b64 s[14:15], s[8:9], exec
                                        ; implicit-def: $vgpr3
.LBB31_195:
	s_or_saveexec_b64 s[6:7], s[6:7]
	s_mov_b64 s[18:19], 0
	s_mov_b64 s[16:17], s[12:13]
	s_xor_b64 exec, exec, s[6:7]
	s_cbranch_execz .LBB31_203
; %bb.196:
	v_mov_b32_e32 v2, 14
	v_cmp_gt_i16_sdwa s[20:21], v3, v2 src0_sel:BYTE_0 src1_sel:DWORD
	s_mov_b64 s[16:17], s[12:13]
	s_mov_b64 s[18:19], s[14:15]
                                        ; implicit-def: $vgpr2
	s_and_saveexec_b64 s[22:23], s[20:21]
	s_xor_b64 s[20:21], exec, s[22:23]
	s_cbranch_execz .LBB31_200
; %bb.197:
	v_mov_b32_e32 v2, 15
	v_cmp_eq_u16_sdwa s[24:25], v3, v2 src0_sel:BYTE_0 src1_sel:DWORD
	s_mov_b64 s[16:17], -1
	s_mov_b64 s[18:19], s[14:15]
                                        ; implicit-def: $vgpr2
	s_and_saveexec_b64 s[22:23], s[24:25]
	s_cbranch_execz .LBB31_199
; %bb.198:
	flat_load_ushort v2, v[0:1]
	s_or_b64 s[18:19], s[14:15], exec
	s_xor_b64 s[16:17], exec, -1
	s_waitcnt vmcnt(0) lgkmcnt(0)
	v_lshlrev_b32_e32 v2, 16, v2
	v_cvt_f16_f32_e32 v2, v2
.LBB31_199:
	s_or_b64 exec, exec, s[22:23]
	s_andn2_b64 s[22:23], s[14:15], exec
	s_and_b64 s[18:19], s[18:19], exec
	s_or_b64 s[18:19], s[22:23], s[18:19]
	s_andn2_b64 s[22:23], s[12:13], exec
	s_and_b64 s[16:17], s[16:17], exec
	s_or_b64 s[16:17], s[22:23], s[16:17]
                                        ; implicit-def: $vgpr3
.LBB31_200:
	s_or_saveexec_b64 s[20:21], s[20:21]
	s_mov_b64 s[22:23], 0
	s_xor_b64 exec, exec, s[20:21]
; %bb.201:
	v_mov_b32_e32 v4, 11
	v_cmp_ne_u16_sdwa s[24:25], v3, v4 src0_sel:BYTE_0 src1_sel:DWORD
	s_andn2_b64 s[16:17], s[16:17], exec
	s_and_b64 s[24:25], s[24:25], exec
	s_mov_b64 s[22:23], exec
	s_or_b64 s[16:17], s[16:17], s[24:25]
; %bb.202:
	s_or_b64 exec, exec, s[20:21]
	s_andn2_b64 s[14:15], s[14:15], exec
	s_and_b64 s[18:19], s[18:19], exec
	s_andn2_b64 s[20:21], s[12:13], exec
	s_and_b64 s[16:17], s[16:17], exec
	s_or_b64 s[14:15], s[14:15], s[18:19]
	s_and_b64 s[18:19], s[22:23], exec
	s_or_b64 s[16:17], s[20:21], s[16:17]
.LBB31_203:
	s_or_b64 exec, exec, s[6:7]
	s_andn2_b64 s[6:7], s[8:9], exec
	s_and_b64 s[8:9], s[14:15], exec
	s_andn2_b64 s[12:13], s[12:13], exec
	s_and_b64 s[14:15], s[16:17], exec
	s_or_b64 s[8:9], s[6:7], s[8:9]
	s_and_b64 s[6:7], s[18:19], exec
	s_or_b64 s[12:13], s[12:13], s[14:15]
	s_or_b64 exec, exec, s[10:11]
	s_and_saveexec_b64 s[10:11], s[12:13]
	s_cbranch_execz .LBB31_7
.LBB31_204:
	s_trap 2
	; divergent unreachable
	s_andn2_b64 s[6:7], s[6:7], exec
	s_or_b64 exec, exec, s[10:11]
	s_and_saveexec_b64 s[10:11], s[6:7]
	s_xor_b64 s[6:7], exec, s[10:11]
	s_cbranch_execnz .LBB31_8
	s_branch .LBB31_9
.LBB31_205:
	s_movk_i32 s18, 0x80
	v_cmp_eq_u16_e32 vcc, s18, v3
	s_mov_b64 s[18:19], -1
	s_and_saveexec_b64 s[22:23], vcc
; %bb.206:
	s_xor_b64 s[18:19], exec, -1
; %bb.207:
	s_or_b64 exec, exec, s[22:23]
	s_and_b64 s[18:19], s[18:19], exec
	s_or_saveexec_b64 s[20:21], s[20:21]
	v_mov_b32_e32 v2, 0x7e00
	s_xor_b64 exec, exec, s[20:21]
	s_cbranch_execz .LBB31_176
.LBB31_208:
	v_cmp_ne_u16_e32 vcc, 0, v3
	s_andn2_b64 s[18:19], s[18:19], exec
	s_and_b64 s[22:23], vcc, exec
	v_mov_b32_e32 v2, 0
	s_or_b64 s[18:19], s[18:19], s[22:23]
	s_or_b64 exec, exec, s[20:21]
	s_and_saveexec_b64 s[20:21], s[18:19]
	s_cbranch_execnz .LBB31_177
	s_branch .LBB31_178
.LBB31_209:
	s_movk_i32 s18, 0x80
	v_cmp_eq_u16_e32 vcc, s18, v3
	s_mov_b64 s[18:19], -1
	s_and_saveexec_b64 s[22:23], vcc
; %bb.210:
	s_xor_b64 s[18:19], exec, -1
; %bb.211:
	s_or_b64 exec, exec, s[22:23]
	s_and_b64 s[18:19], s[18:19], exec
	s_or_saveexec_b64 s[20:21], s[20:21]
	v_mov_b32_e32 v2, 0x7e00
	s_xor_b64 exec, exec, s[20:21]
	s_cbranch_execz .LBB31_186
.LBB31_212:
	v_cmp_ne_u16_e32 vcc, 0, v3
	s_andn2_b64 s[18:19], s[18:19], exec
	s_and_b64 s[22:23], vcc, exec
	v_mov_b32_e32 v2, 0
	s_or_b64 s[18:19], s[18:19], s[22:23]
	s_or_b64 exec, exec, s[20:21]
	s_and_saveexec_b64 s[20:21], s[18:19]
	s_cbranch_execnz .LBB31_187
	s_branch .LBB31_188
.Lfunc_end31:
	.size	_ZN2at6native6invokeIZZZNS0_16asin_kernel_cudaERNS_18TensorIteratorBaseEENKUlvE_clEvENKUlvE1_clEvEUlN3c107complexINS6_4HalfEEEE_j15function_traitsISA_EEENT1_11result_typeERKT_PrKPcPKT0_PKNS6_10ScalarTypeEi, .Lfunc_end31-_ZN2at6native6invokeIZZZNS0_16asin_kernel_cudaERNS_18TensorIteratorBaseEENKUlvE_clEvENKUlvE1_clEvEUlN3c107complexINS6_4HalfEEEE_j15function_traitsISA_EEENT1_11result_typeERKT_PrKPcPKT0_PKNS6_10ScalarTypeEi
                                        ; -- End function
	.set .L_ZN2at6native6invokeIZZZNS0_16asin_kernel_cudaERNS_18TensorIteratorBaseEENKUlvE_clEvENKUlvE1_clEvEUlN3c107complexINS6_4HalfEEEE_j15function_traitsISA_EEENT1_11result_typeERKT_PrKPcPKT0_PKNS6_10ScalarTypeEi.num_vgpr, 20
	.set .L_ZN2at6native6invokeIZZZNS0_16asin_kernel_cudaERNS_18TensorIteratorBaseEENKUlvE_clEvENKUlvE1_clEvEUlN3c107complexINS6_4HalfEEEE_j15function_traitsISA_EEENT1_11result_typeERKT_PrKPcPKT0_PKNS6_10ScalarTypeEi.num_agpr, 0
	.set .L_ZN2at6native6invokeIZZZNS0_16asin_kernel_cudaERNS_18TensorIteratorBaseEENKUlvE_clEvENKUlvE1_clEvEUlN3c107complexINS6_4HalfEEEE_j15function_traitsISA_EEENT1_11result_typeERKT_PrKPcPKT0_PKNS6_10ScalarTypeEi.numbered_sgpr, 33
	.set .L_ZN2at6native6invokeIZZZNS0_16asin_kernel_cudaERNS_18TensorIteratorBaseEENKUlvE_clEvENKUlvE1_clEvEUlN3c107complexINS6_4HalfEEEE_j15function_traitsISA_EEENT1_11result_typeERKT_PrKPcPKT0_PKNS6_10ScalarTypeEi.num_named_barrier, 0
	.set .L_ZN2at6native6invokeIZZZNS0_16asin_kernel_cudaERNS_18TensorIteratorBaseEENKUlvE_clEvENKUlvE1_clEvEUlN3c107complexINS6_4HalfEEEE_j15function_traitsISA_EEENT1_11result_typeERKT_PrKPcPKT0_PKNS6_10ScalarTypeEi.private_seg_size, 12
	.set .L_ZN2at6native6invokeIZZZNS0_16asin_kernel_cudaERNS_18TensorIteratorBaseEENKUlvE_clEvENKUlvE1_clEvEUlN3c107complexINS6_4HalfEEEE_j15function_traitsISA_EEENT1_11result_typeERKT_PrKPcPKT0_PKNS6_10ScalarTypeEi.uses_vcc, 1
	.set .L_ZN2at6native6invokeIZZZNS0_16asin_kernel_cudaERNS_18TensorIteratorBaseEENKUlvE_clEvENKUlvE1_clEvEUlN3c107complexINS6_4HalfEEEE_j15function_traitsISA_EEENT1_11result_typeERKT_PrKPcPKT0_PKNS6_10ScalarTypeEi.uses_flat_scratch, 0
	.set .L_ZN2at6native6invokeIZZZNS0_16asin_kernel_cudaERNS_18TensorIteratorBaseEENKUlvE_clEvENKUlvE1_clEvEUlN3c107complexINS6_4HalfEEEE_j15function_traitsISA_EEENT1_11result_typeERKT_PrKPcPKT0_PKNS6_10ScalarTypeEi.has_dyn_sized_stack, 0
	.set .L_ZN2at6native6invokeIZZZNS0_16asin_kernel_cudaERNS_18TensorIteratorBaseEENKUlvE_clEvENKUlvE1_clEvEUlN3c107complexINS6_4HalfEEEE_j15function_traitsISA_EEENT1_11result_typeERKT_PrKPcPKT0_PKNS6_10ScalarTypeEi.has_recursion, 0
	.set .L_ZN2at6native6invokeIZZZNS0_16asin_kernel_cudaERNS_18TensorIteratorBaseEENKUlvE_clEvENKUlvE1_clEvEUlN3c107complexINS6_4HalfEEEE_j15function_traitsISA_EEENT1_11result_typeERKT_PrKPcPKT0_PKNS6_10ScalarTypeEi.has_indirect_call, 0
	.section	.AMDGPU.csdata,"",@progbits
; Function info:
; codeLenInByte = 10108
; TotalNumSgprs: 37
; NumVgprs: 20
; ScratchSize: 12
; MemoryBound: 1
	.section	.text._ZN2at6native32elementwise_kernel_manual_unrollILi128ELi4EZNS0_15gpu_kernel_implIZZZNS0_16asin_kernel_cudaERNS_18TensorIteratorBaseEENKUlvE_clEvENKUlvE1_clEvEUlN3c107complexINS7_4HalfEEEE_EEvS4_RKT_EUlibE0_EEviT1_,"axG",@progbits,_ZN2at6native32elementwise_kernel_manual_unrollILi128ELi4EZNS0_15gpu_kernel_implIZZZNS0_16asin_kernel_cudaERNS_18TensorIteratorBaseEENKUlvE_clEvENKUlvE1_clEvEUlN3c107complexINS7_4HalfEEEE_EEvS4_RKT_EUlibE0_EEviT1_,comdat
	.globl	_ZN2at6native32elementwise_kernel_manual_unrollILi128ELi4EZNS0_15gpu_kernel_implIZZZNS0_16asin_kernel_cudaERNS_18TensorIteratorBaseEENKUlvE_clEvENKUlvE1_clEvEUlN3c107complexINS7_4HalfEEEE_EEvS4_RKT_EUlibE0_EEviT1_ ; -- Begin function _ZN2at6native32elementwise_kernel_manual_unrollILi128ELi4EZNS0_15gpu_kernel_implIZZZNS0_16asin_kernel_cudaERNS_18TensorIteratorBaseEENKUlvE_clEvENKUlvE1_clEvEUlN3c107complexINS7_4HalfEEEE_EEvS4_RKT_EUlibE0_EEviT1_
	.p2align	8
	.type	_ZN2at6native32elementwise_kernel_manual_unrollILi128ELi4EZNS0_15gpu_kernel_implIZZZNS0_16asin_kernel_cudaERNS_18TensorIteratorBaseEENKUlvE_clEvENKUlvE1_clEvEUlN3c107complexINS7_4HalfEEEE_EEvS4_RKT_EUlibE0_EEviT1_,@function
_ZN2at6native32elementwise_kernel_manual_unrollILi128ELi4EZNS0_15gpu_kernel_implIZZZNS0_16asin_kernel_cudaERNS_18TensorIteratorBaseEENKUlvE_clEvENKUlvE1_clEvEUlN3c107complexINS7_4HalfEEEE_EEvS4_RKT_EUlibE0_EEviT1_: ; @_ZN2at6native32elementwise_kernel_manual_unrollILi128ELi4EZNS0_15gpu_kernel_implIZZZNS0_16asin_kernel_cudaERNS_18TensorIteratorBaseEENKUlvE_clEvENKUlvE1_clEvEUlN3c107complexINS7_4HalfEEEE_EEvS4_RKT_EUlibE0_EEviT1_
; %bb.0:
	s_add_u32 flat_scratch_lo, s6, s9
	s_load_dword s74, s[4:5], 0x0
	s_load_dword s33, s[4:5], 0x8
	s_addc_u32 flat_scratch_hi, s7, 0
	s_add_u32 s0, s0, s9
	s_addc_u32 s1, s1, 0
	s_mov_b64 s[28:29], s[4:5]
	s_add_u32 s34, s28, 8
	s_addc_u32 s35, s29, 0
	v_lshl_or_b32 v23, s8, 9, v0
	s_waitcnt lgkmcnt(0)
	s_add_i32 s76, s33, -1
	v_or_b32_e32 v4, 0x180, v23
	s_cmp_gt_u32 s76, 1
	v_cmp_le_i32_e32 vcc, s74, v4
	s_cselect_b64 s[50:51], -1, 0
	s_mov_b64 s[48:49], 0
	s_mov_b64 s[40:41], 0
	s_mov_b32 s32, 0
	s_and_saveexec_b64 s[4:5], vcc
	s_xor_b64 s[52:53], exec, s[4:5]
	s_cbranch_execz .LBB32_566
; %bb.1:
	v_mov_b32_e32 v0, 0
	global_load_ushort v0, v0, s[34:35] offset:345
	s_load_dwordx4 s[44:47], s[34:35], 0x4
	s_load_dwordx2 s[54:55], s[34:35], 0x14
	s_load_dwordx4 s[40:43], s[34:35], 0xc4
	s_load_dwordx4 s[36:39], s[34:35], 0x148
	s_cmp_lg_u32 s33, 0
	s_cselect_b64 s[60:61], -1, 0
	s_add_u32 s58, s34, 0xc4
	s_addc_u32 s59, s35, 0
	s_min_u32 s78, s76, 15
	v_mov_b32_e32 v1, 8
	s_cmp_gt_u32 s33, 1
	v_cmp_gt_i32_e32 vcc, s74, v23
	s_mov_b64 s[4:5], -1
	s_mov_b64 s[68:69], 0
	s_cselect_b64 s[56:57], -1, 0
	s_mov_b64 s[62:63], 0
	s_waitcnt vmcnt(0)
	v_readfirstlane_b32 s77, v0
	v_lshrrev_b32_sdwa v20, v1, v0 dst_sel:DWORD dst_unused:UNUSED_PAD src0_sel:DWORD src1_sel:WORD_0
	s_and_saveexec_b64 s[64:65], vcc
	s_cbranch_execz .LBB32_138
; %bb.2:
	s_andn2_b64 vcc, exec, s[50:51]
	s_cbranch_vccnz .LBB32_7
; %bb.3:
	s_andn2_b64 vcc, exec, s[60:61]
	s_cbranch_vccnz .LBB32_8
; %bb.4:
	s_add_i32 s31, s78, 1
	s_cmp_eq_u32 s76, 2
	s_cbranch_scc1 .LBB32_9
; %bb.5:
	s_and_b32 s30, s31, 28
	v_mov_b32_e32 v2, 0
	s_mov_b32 s62, 0
	s_mov_b64 s[24:25], s[34:35]
	s_mov_b64 s[26:27], s[58:59]
	v_mov_b32_e32 v21, 0
	v_mov_b32_e32 v0, v23
.LBB32_6:                               ; =>This Inner Loop Header: Depth=1
	s_load_dwordx8 s[12:19], s[24:25], 0x4
	s_load_dwordx4 s[20:23], s[24:25], 0x24
	s_load_dwordx8 s[4:11], s[26:27], 0x0
	s_add_u32 s24, s24, 48
	s_addc_u32 s25, s25, 0
	s_waitcnt lgkmcnt(0)
	v_mul_hi_u32 v1, s13, v0
	s_add_i32 s62, s62, 4
	s_add_u32 s26, s26, 32
	s_addc_u32 s27, s27, 0
	v_add_u32_e32 v1, v0, v1
	v_lshrrev_b32_e32 v1, s14, v1
	v_mul_lo_u32 v3, v1, s12
	v_mul_hi_u32 v4, s16, v1
	s_cmp_lg_u32 s30, s62
	v_sub_u32_e32 v0, v0, v3
	v_add_u32_e32 v3, v1, v4
	v_mul_lo_u32 v4, v0, s4
	v_mul_lo_u32 v5, v0, s5
	v_lshrrev_b32_e32 v0, s17, v3
	v_mul_lo_u32 v3, v0, s15
	v_mul_hi_u32 v6, s19, v0
	v_sub_u32_e32 v1, v1, v3
	v_add_u32_e32 v3, v0, v6
	v_lshrrev_b32_e32 v3, s20, v3
	v_mul_hi_u32 v7, s22, v3
	v_mul_lo_u32 v8, v3, s18
	v_mul_lo_u32 v6, v1, s6
	v_mul_lo_u32 v1, v1, s7
	v_sub_u32_e32 v8, v0, v8
	v_add_u32_e32 v0, v3, v7
	v_lshrrev_b32_e32 v0, s23, v0
	v_mul_lo_u32 v7, v0, s21
	v_mul_lo_u32 v9, v8, s8
	;; [unrolled: 1-line block ×3, first 2 shown]
	v_add3_u32 v4, v4, v21, v6
	v_sub_u32_e32 v3, v3, v7
	v_mul_lo_u32 v7, v3, s10
	v_mul_lo_u32 v3, v3, s11
	v_add3_u32 v1, v5, v2, v1
	v_add3_u32 v21, v9, v4, v7
	;; [unrolled: 1-line block ×3, first 2 shown]
	s_cbranch_scc1 .LBB32_6
	s_branch .LBB32_10
.LBB32_7:
                                        ; implicit-def: $vgpr21
                                        ; implicit-def: $vgpr2
	s_andn2_b64 vcc, exec, s[4:5]
	s_cbranch_vccz .LBB32_14
	s_branch .LBB32_16
.LBB32_8:
	v_mov_b32_e32 v21, 0
	v_mov_b32_e32 v2, 0
	s_branch .LBB32_13
.LBB32_9:
	s_mov_b32 s30, 0
	v_mov_b32_e32 v21, 0
	v_mov_b32_e32 v2, 0
	;; [unrolled: 1-line block ×3, first 2 shown]
.LBB32_10:
	s_and_b32 s8, s31, 3
	s_cmp_eq_u32 s8, 0
	s_cbranch_scc1 .LBB32_13
; %bb.11:
	s_lshl_b32 s4, s30, 3
	s_add_u32 s4, s34, s4
	s_addc_u32 s5, s35, 0
	s_add_u32 s4, s4, 0xc4
	s_addc_u32 s5, s5, 0
	s_mul_i32 s6, s30, 12
	s_add_u32 s6, s34, s6
	s_addc_u32 s7, s35, 0
.LBB32_12:                              ; =>This Inner Loop Header: Depth=1
	s_load_dwordx2 s[10:11], s[6:7], 0x4
	s_load_dword s9, s[6:7], 0xc
	s_load_dwordx2 s[12:13], s[4:5], 0x0
	s_add_u32 s6, s6, 12
	s_addc_u32 s7, s7, 0
	s_waitcnt lgkmcnt(0)
	v_mul_hi_u32 v1, s11, v0
	s_add_u32 s4, s4, 8
	s_addc_u32 s5, s5, 0
	s_add_i32 s8, s8, -1
	v_add_u32_e32 v1, v0, v1
	v_lshrrev_b32_e32 v1, s9, v1
	v_mul_lo_u32 v3, v1, s10
	s_cmp_lg_u32 s8, 0
	v_sub_u32_e32 v0, v0, v3
	v_mad_u64_u32 v[21:22], s[10:11], v0, s12, v[21:22]
	v_mad_u64_u32 v[2:3], s[10:11], v0, s13, v[2:3]
	v_mov_b32_e32 v0, v1
	s_cbranch_scc1 .LBB32_12
.LBB32_13:
	s_cbranch_execnz .LBB32_16
.LBB32_14:
	s_waitcnt lgkmcnt(0)
	v_mul_hi_u32 v0, s45, v23
	s_andn2_b64 vcc, exec, s[56:57]
	v_add_u32_e32 v0, v23, v0
	v_lshrrev_b32_e32 v0, s46, v0
	v_mul_lo_u32 v1, v0, s44
	v_sub_u32_e32 v1, v23, v1
	v_mul_lo_u32 v21, v1, s40
	v_mul_lo_u32 v2, v1, s41
	s_cbranch_vccnz .LBB32_16
; %bb.15:
	v_mul_hi_u32 v1, s54, v0
	v_add_u32_e32 v1, v0, v1
	v_lshrrev_b32_e32 v1, s55, v1
	v_mul_lo_u32 v1, v1, s47
	v_sub_u32_e32 v0, v0, v1
	v_mad_u64_u32 v[21:22], s[4:5], v0, s42, v[21:22]
	v_mad_u64_u32 v[2:3], s[4:5], v0, s43, v[2:3]
.LBB32_16:
	s_getpc_b64 s[4:5]
	s_add_u32 s4, s4, _ZN2at6native6invokeIZZZNS0_16asin_kernel_cudaERNS_18TensorIteratorBaseEENKUlvE_clEvENKUlvE1_clEvEUlN3c107complexINS6_4HalfEEEE_j15function_traitsISA_EEENT1_11result_typeERKT_PrKPcPKT0_PKNS6_10ScalarTypeEi@rel32@lo+4
	s_addc_u32 s5, s5, _ZN2at6native6invokeIZZZNS0_16asin_kernel_cudaERNS_18TensorIteratorBaseEENKUlvE_clEvENKUlvE1_clEvEUlN3c107complexINS6_4HalfEEEE_j15function_traitsISA_EEENT1_11result_typeERKT_PrKPcPKT0_PKNS6_10ScalarTypeEi@rel32@hi+12
	s_waitcnt lgkmcnt(0)
	v_mov_b32_e32 v0, s38
	v_mov_b32_e32 v1, s39
	v_mov_b32_e32 v3, v20
	s_swappc_b64 s[30:31], s[4:5]
	v_mov_b32_e32 v2, s37
	s_and_b32 s12, s77, 0xff
	v_add_co_u32_e32 v1, vcc, s36, v21
	s_cmp_lt_i32 s12, 11
	v_addc_co_u32_e32 v2, vcc, 0, v2, vcc
	s_cbranch_scc1 .LBB32_23
; %bb.17:
	s_and_b32 s13, 0xffff, s12
	s_cmp_gt_i32 s13, 25
	s_cbranch_scc0 .LBB32_26
; %bb.18:
	s_cmp_gt_i32 s13, 28
	s_cbranch_scc0 .LBB32_27
; %bb.19:
	;; [unrolled: 3-line block ×4, first 2 shown]
	s_mov_b64 s[8:9], 0
	s_mov_b64 s[4:5], -1
	s_cmp_eq_u32 s13, 46
	s_mov_b64 s[6:7], 0
	s_cbranch_scc0 .LBB32_30
; %bb.22:
	v_cvt_f32_f16_sdwa v4, v0 dst_sel:DWORD dst_unused:UNUSED_PAD src0_sel:WORD_1
	v_cvt_f32_f16_e32 v3, v0
	s_movk_i32 s4, 0x7fff
	v_cmp_o_f16_sdwa vcc, v0, v0 src0_sel:WORD_1 src1_sel:WORD_1
	v_bfe_u32 v6, v4, 16, 1
	v_bfe_u32 v5, v3, 16, 1
	v_add3_u32 v4, v4, v6, s4
	v_add3_u32 v3, v3, v5, s4
	v_and_b32_e32 v4, 0xffff0000, v4
	v_mov_b32_e32 v5, 0x7fc00000
	v_cndmask_b32_e32 v4, v5, v4, vcc
	v_cmp_o_f16_e32 vcc, v0, v0
	v_mov_b32_e32 v5, 0x7fc0
	v_cndmask_b32_sdwa v3, v5, v3, vcc dst_sel:DWORD dst_unused:UNUSED_PAD src0_sel:DWORD src1_sel:WORD_1
	v_or_b32_e32 v3, v4, v3
	global_store_dword v[1:2], v3, off
	s_mov_b64 s[6:7], -1
	s_mov_b64 s[4:5], 0
	s_branch .LBB32_30
.LBB32_23:
	s_mov_b64 s[4:5], 0
	s_mov_b64 s[6:7], 0
	s_cbranch_execnz .LBB32_98
.LBB32_24:
	s_andn2_b64 vcc, exec, s[6:7]
	s_cbranch_vccnz .LBB32_136
.LBB32_25:
	v_add_u32_e32 v23, 0x80, v23
	s_mov_b64 s[6:7], -1
	s_branch .LBB32_137
.LBB32_26:
	s_mov_b64 s[4:5], 0
	s_mov_b64 s[6:7], 0
	s_cbranch_execnz .LBB32_57
	s_branch .LBB32_97
.LBB32_27:
	s_mov_b64 s[8:9], -1
	s_mov_b64 s[4:5], 0
	s_mov_b64 s[6:7], 0
	s_branch .LBB32_40
.LBB32_28:
	s_mov_b64 s[8:9], -1
	s_mov_b64 s[4:5], 0
	s_mov_b64 s[6:7], 0
	s_branch .LBB32_36
.LBB32_29:
	s_mov_b64 s[8:9], -1
	s_mov_b64 s[4:5], 0
	s_mov_b64 s[6:7], 0
.LBB32_30:
	s_and_b64 vcc, exec, s[8:9]
	s_cbranch_vccz .LBB32_35
; %bb.31:
	s_cmp_eq_u32 s13, 44
	s_mov_b64 s[4:5], -1
	s_cbranch_scc0 .LBB32_35
; %bb.32:
	v_cvt_f32_f16_e32 v3, v0
	s_movk_i32 s4, 0xff
	v_mov_b32_e32 v5, 0xff
	v_bfe_u32 v4, v3, 23, 8
	v_cmp_ne_u32_e32 vcc, s4, v4
	s_and_saveexec_b64 s[6:7], vcc
; %bb.33:
	s_mov_b32 s4, 0x3fffff
	v_lshrrev_b32_e32 v5, 23, v3
	v_and_b32_e32 v6, 0x400000, v3
	v_and_or_b32 v3, v3, s4, v4
	v_cmp_ne_u32_e32 vcc, 0, v6
	v_cmp_ne_u32_e64 s[4:5], 0, v3
	s_and_b64 s[4:5], vcc, s[4:5]
	v_cndmask_b32_e64 v3, 0, 1, s[4:5]
	v_add_u32_e32 v5, v5, v3
; %bb.34:
	s_or_b64 exec, exec, s[6:7]
	s_mov_b64 s[6:7], -1
	s_mov_b64 s[4:5], 0
	global_store_byte v[1:2], v5, off
.LBB32_35:
	s_mov_b64 s[8:9], 0
.LBB32_36:
	s_and_b64 vcc, exec, s[8:9]
	s_cbranch_vccz .LBB32_39
; %bb.37:
	s_cmp_eq_u32 s13, 29
	s_mov_b64 s[4:5], -1
	s_cbranch_scc0 .LBB32_39
; %bb.38:
	v_cvt_f32_f16_e32 v3, v0
	v_mov_b32_e32 v4, 0
	s_mov_b64 s[6:7], -1
	s_mov_b64 s[4:5], 0
	v_cvt_u32_f32_e32 v3, v3
	s_mov_b64 s[8:9], 0
	global_store_dwordx2 v[1:2], v[3:4], off
	s_branch .LBB32_40
.LBB32_39:
	s_mov_b64 s[8:9], 0
.LBB32_40:
	s_and_b64 vcc, exec, s[8:9]
	s_cbranch_vccz .LBB32_56
; %bb.41:
	s_cmp_lt_i32 s13, 27
	s_mov_b64 s[6:7], -1
	s_cbranch_scc1 .LBB32_47
; %bb.42:
	s_cmp_gt_i32 s13, 27
	s_cbranch_scc0 .LBB32_44
; %bb.43:
	v_cvt_f32_f16_e32 v3, v0
	s_mov_b64 s[6:7], 0
	v_cvt_u32_f32_e32 v3, v3
	global_store_dword v[1:2], v3, off
.LBB32_44:
	s_andn2_b64 vcc, exec, s[6:7]
	s_cbranch_vccnz .LBB32_46
; %bb.45:
	v_cvt_u16_f16_e32 v3, v0
	global_store_short v[1:2], v3, off
.LBB32_46:
	s_mov_b64 s[6:7], 0
.LBB32_47:
	s_andn2_b64 vcc, exec, s[6:7]
	s_cbranch_vccnz .LBB32_55
; %bb.48:
	v_cvt_f32_f16_e32 v3, v0
	s_mov_b32 s6, 0x43800000
	v_mov_b32_e32 v5, 0x80
	v_and_b32_e32 v4, 0x7fffffff, v3
	v_cmp_gt_u32_e32 vcc, s6, v4
	s_and_saveexec_b64 s[6:7], vcc
	s_cbranch_execz .LBB32_54
; %bb.49:
	s_mov_b32 s8, 0x3bffffff
	v_cmp_lt_u32_e32 vcc, s8, v4
	s_mov_b64 s[8:9], 0
                                        ; implicit-def: $vgpr4
	s_and_saveexec_b64 s[10:11], vcc
	s_xor_b64 s[10:11], exec, s[10:11]
	s_cbranch_execz .LBB32_169
; %bb.50:
	v_bfe_u32 v4, v3, 20, 1
	s_mov_b32 s14, 0x487ffff
	v_add3_u32 v4, v3, v4, s14
	s_mov_b64 s[8:9], exec
	v_lshrrev_b32_e32 v4, 20, v4
	s_andn2_saveexec_b64 s[10:11], s[10:11]
	s_cbranch_execnz .LBB32_170
.LBB32_51:
	s_or_b64 exec, exec, s[10:11]
	v_mov_b32_e32 v5, 0
	s_and_saveexec_b64 s[10:11], s[8:9]
.LBB32_52:
	v_lshrrev_b32_e32 v3, 24, v3
	s_movk_i32 s8, 0x80
	v_and_or_b32 v5, v3, s8, v4
.LBB32_53:
	s_or_b64 exec, exec, s[10:11]
.LBB32_54:
	s_or_b64 exec, exec, s[6:7]
	global_store_byte v[1:2], v5, off
.LBB32_55:
	s_mov_b64 s[6:7], -1
.LBB32_56:
	s_branch .LBB32_97
.LBB32_57:
	s_cmp_gt_i32 s13, 22
	s_mov_b64 s[8:9], -1
	s_cbranch_scc0 .LBB32_89
; %bb.58:
	s_cmp_lt_i32 s13, 24
	s_mov_b64 s[6:7], -1
	s_cbranch_scc1 .LBB32_78
; %bb.59:
	s_cmp_gt_i32 s13, 24
	s_cbranch_scc0 .LBB32_67
; %bb.60:
	v_cvt_f32_f16_e32 v3, v0
	s_mov_b32 s6, 0x47800000
	v_mov_b32_e32 v5, 0x80
	v_and_b32_e32 v4, 0x7fffffff, v3
	v_cmp_gt_u32_e32 vcc, s6, v4
	s_and_saveexec_b64 s[6:7], vcc
	s_cbranch_execz .LBB32_66
; %bb.61:
	s_mov_b32 s8, 0x37ffffff
	v_cmp_lt_u32_e32 vcc, s8, v4
	s_mov_b64 s[8:9], 0
                                        ; implicit-def: $vgpr4
	s_and_saveexec_b64 s[10:11], vcc
	s_xor_b64 s[10:11], exec, s[10:11]
	s_cbranch_execz .LBB32_172
; %bb.62:
	v_bfe_u32 v4, v3, 21, 1
	s_mov_b32 s14, 0x88fffff
	v_add3_u32 v4, v3, v4, s14
	s_mov_b64 s[8:9], exec
	v_lshrrev_b32_e32 v4, 21, v4
	s_andn2_saveexec_b64 s[10:11], s[10:11]
	s_cbranch_execnz .LBB32_173
.LBB32_63:
	s_or_b64 exec, exec, s[10:11]
	v_mov_b32_e32 v5, 0
	s_and_saveexec_b64 s[10:11], s[8:9]
.LBB32_64:
	v_lshrrev_b32_e32 v3, 24, v3
	s_movk_i32 s8, 0x80
	v_and_or_b32 v5, v3, s8, v4
.LBB32_65:
	s_or_b64 exec, exec, s[10:11]
.LBB32_66:
	s_or_b64 exec, exec, s[6:7]
	s_mov_b64 s[6:7], 0
	global_store_byte v[1:2], v5, off
.LBB32_67:
	s_and_b64 vcc, exec, s[6:7]
	s_cbranch_vccz .LBB32_77
; %bb.68:
	v_cvt_f32_f16_e32 v3, v0
	s_mov_b32 s6, 0x43f00000
                                        ; implicit-def: $vgpr4
	v_and_b32_e32 v5, 0x7fffffff, v3
	v_cmp_gt_u32_e32 vcc, s6, v5
	s_and_saveexec_b64 s[6:7], vcc
	s_xor_b64 s[6:7], exec, s[6:7]
	s_cbranch_execz .LBB32_74
; %bb.69:
	s_mov_b32 s8, 0x3c7fffff
	v_cmp_lt_u32_e32 vcc, s8, v5
                                        ; implicit-def: $vgpr4
	s_and_saveexec_b64 s[8:9], vcc
	s_xor_b64 s[8:9], exec, s[8:9]
; %bb.70:
	v_bfe_u32 v4, v3, 20, 1
	s_mov_b32 s10, 0x407ffff
	v_add3_u32 v4, v3, v4, s10
	v_lshrrev_b32_e32 v5, 20, v4
	v_and_b32_e32 v4, 0xff00000, v4
	s_mov_b32 s10, 0x7f00000
	v_mov_b32_e32 v6, 0x7e
	v_cmp_ne_u32_e32 vcc, s10, v4
	v_cndmask_b32_e32 v4, v6, v5, vcc
; %bb.71:
	s_andn2_saveexec_b64 s[8:9], s[8:9]
; %bb.72:
	s_mov_b32 s10, 0x46800000
	v_add_f32_e64 v4, |v3|, s10
; %bb.73:
	s_or_b64 exec, exec, s[8:9]
                                        ; implicit-def: $vgpr5
.LBB32_74:
	s_andn2_saveexec_b64 s[6:7], s[6:7]
; %bb.75:
	s_mov_b32 s8, 0x7f800000
	v_mov_b32_e32 v4, 0x7e
	v_mov_b32_e32 v6, 0x7f
	v_cmp_lt_u32_e32 vcc, s8, v5
	v_cndmask_b32_e32 v4, v4, v6, vcc
; %bb.76:
	s_or_b64 exec, exec, s[6:7]
	v_lshrrev_b32_e32 v3, 24, v3
	s_movk_i32 s6, 0x80
	v_and_or_b32 v3, v3, s6, v4
	global_store_byte v[1:2], v3, off
.LBB32_77:
	s_mov_b64 s[6:7], 0
.LBB32_78:
	s_andn2_b64 vcc, exec, s[6:7]
	s_cbranch_vccnz .LBB32_88
; %bb.79:
	v_cvt_f32_f16_e32 v3, v0
	s_mov_b32 s6, 0x47800000
                                        ; implicit-def: $vgpr4
	v_and_b32_e32 v5, 0x7fffffff, v3
	v_cmp_gt_u32_e32 vcc, s6, v5
	s_and_saveexec_b64 s[6:7], vcc
	s_xor_b64 s[6:7], exec, s[6:7]
	s_cbranch_execz .LBB32_85
; %bb.80:
	s_mov_b32 s8, 0x387fffff
	v_cmp_lt_u32_e32 vcc, s8, v5
                                        ; implicit-def: $vgpr4
	s_and_saveexec_b64 s[8:9], vcc
	s_xor_b64 s[8:9], exec, s[8:9]
; %bb.81:
	v_bfe_u32 v4, v3, 21, 1
	s_mov_b32 s10, 0x80fffff
	v_add3_u32 v4, v3, v4, s10
	v_lshrrev_b32_e32 v4, 21, v4
; %bb.82:
	s_andn2_saveexec_b64 s[8:9], s[8:9]
; %bb.83:
	s_mov_b32 s10, 0x43000000
	v_add_f32_e64 v4, |v3|, s10
; %bb.84:
	s_or_b64 exec, exec, s[8:9]
                                        ; implicit-def: $vgpr5
.LBB32_85:
	s_andn2_saveexec_b64 s[6:7], s[6:7]
; %bb.86:
	s_mov_b32 s8, 0x7f800000
	v_mov_b32_e32 v4, 0x7c
	v_mov_b32_e32 v6, 0x7f
	v_cmp_lt_u32_e32 vcc, s8, v5
	v_cndmask_b32_e32 v4, v4, v6, vcc
; %bb.87:
	s_or_b64 exec, exec, s[6:7]
	v_lshrrev_b32_e32 v3, 24, v3
	s_movk_i32 s6, 0x80
	v_and_or_b32 v3, v3, s6, v4
	global_store_byte v[1:2], v3, off
.LBB32_88:
	s_mov_b64 s[8:9], 0
	s_mov_b64 s[6:7], -1
.LBB32_89:
	s_andn2_b64 vcc, exec, s[8:9]
	s_cbranch_vccnz .LBB32_97
; %bb.90:
	s_cmp_gt_i32 s13, 14
	s_mov_b64 s[8:9], -1
	s_cbranch_scc0 .LBB32_94
; %bb.91:
	s_cmp_eq_u32 s13, 15
	s_mov_b64 s[4:5], -1
	s_cbranch_scc0 .LBB32_93
; %bb.92:
	v_cvt_f32_f16_e32 v3, v0
	s_movk_i32 s4, 0x7fff
	v_cmp_o_f16_e32 vcc, v0, v0
	v_mov_b32_e32 v4, 0x7fc0
	v_bfe_u32 v5, v3, 16, 1
	v_add3_u32 v3, v3, v5, s4
	v_cndmask_b32_sdwa v3, v4, v3, vcc dst_sel:DWORD dst_unused:UNUSED_PAD src0_sel:DWORD src1_sel:WORD_1
	global_store_short v[1:2], v3, off
	s_mov_b64 s[6:7], -1
	s_mov_b64 s[4:5], 0
.LBB32_93:
	s_mov_b64 s[8:9], 0
.LBB32_94:
	s_and_b64 vcc, exec, s[8:9]
	s_cbranch_vccz .LBB32_97
; %bb.95:
	s_cmp_eq_u32 s13, 11
	s_mov_b64 s[4:5], -1
	s_cbranch_scc0 .LBB32_97
; %bb.96:
	v_and_b32_e32 v3, 0x7fff7fff, v0
	v_cmp_ne_u32_e32 vcc, 0, v3
	v_cndmask_b32_e64 v3, 0, 1, vcc
	s_mov_b64 s[6:7], -1
	s_mov_b64 s[4:5], 0
	global_store_byte v[1:2], v3, off
.LBB32_97:
	s_branch .LBB32_24
.LBB32_98:
	s_and_b32 s8, 0xffff, s12
	s_cmp_lt_i32 s8, 5
	s_mov_b64 s[6:7], -1
	s_cbranch_scc1 .LBB32_119
; %bb.99:
	s_cmp_lt_i32 s8, 8
	s_cbranch_scc1 .LBB32_109
; %bb.100:
	s_cmp_lt_i32 s8, 9
	s_cbranch_scc1 .LBB32_106
; %bb.101:
	s_cmp_gt_i32 s8, 9
	s_cbranch_scc0 .LBB32_103
; %bb.102:
	v_cvt_f32_f16_e32 v3, v0
	v_cvt_f32_f16_sdwa v5, v0 dst_sel:DWORD dst_unused:UNUSED_PAD src0_sel:WORD_1
	s_mov_b64 s[6:7], 0
	v_cvt_f64_f32_e32 v[3:4], v3
	v_cvt_f64_f32_e32 v[5:6], v5
	global_store_dwordx4 v[1:2], v[3:6], off
.LBB32_103:
	s_andn2_b64 vcc, exec, s[6:7]
	s_cbranch_vccnz .LBB32_105
; %bb.104:
	v_cvt_f32_f16_e32 v3, v0
	v_cvt_f32_f16_sdwa v4, v0 dst_sel:DWORD dst_unused:UNUSED_PAD src0_sel:WORD_1
	global_store_dwordx2 v[1:2], v[3:4], off
.LBB32_105:
	s_mov_b64 s[6:7], 0
.LBB32_106:
	s_andn2_b64 vcc, exec, s[6:7]
	s_cbranch_vccnz .LBB32_108
; %bb.107:
	global_store_dword v[1:2], v0, off
.LBB32_108:
	s_mov_b64 s[6:7], 0
.LBB32_109:
	s_andn2_b64 vcc, exec, s[6:7]
	s_cbranch_vccnz .LBB32_118
; %bb.110:
	s_cmp_lt_i32 s8, 6
	s_mov_b64 s[6:7], -1
	s_cbranch_scc1 .LBB32_116
; %bb.111:
	s_cmp_gt_i32 s8, 6
	s_cbranch_scc0 .LBB32_113
; %bb.112:
	v_cvt_f32_f16_e32 v3, v0
	s_mov_b64 s[6:7], 0
	v_cvt_f64_f32_e32 v[3:4], v3
	global_store_dwordx2 v[1:2], v[3:4], off
.LBB32_113:
	s_andn2_b64 vcc, exec, s[6:7]
	s_cbranch_vccnz .LBB32_115
; %bb.114:
	v_cvt_f32_f16_e32 v3, v0
	global_store_dword v[1:2], v3, off
.LBB32_115:
	s_mov_b64 s[6:7], 0
.LBB32_116:
	s_andn2_b64 vcc, exec, s[6:7]
	s_cbranch_vccnz .LBB32_118
; %bb.117:
	global_store_short v[1:2], v0, off
.LBB32_118:
	s_mov_b64 s[6:7], 0
.LBB32_119:
	s_andn2_b64 vcc, exec, s[6:7]
	s_cbranch_vccnz .LBB32_135
; %bb.120:
	s_cmp_lt_i32 s8, 2
	s_mov_b64 s[6:7], -1
	s_cbranch_scc1 .LBB32_130
; %bb.121:
	s_cmp_lt_i32 s8, 3
	s_cbranch_scc1 .LBB32_127
; %bb.122:
	s_cmp_gt_i32 s8, 3
	s_cbranch_scc0 .LBB32_124
; %bb.123:
	v_cvt_f32_f16_e32 v3, v0
	s_mov_b64 s[6:7], 0
	v_cvt_i32_f32_e32 v3, v3
	v_ashrrev_i32_e32 v4, 31, v3
	global_store_dwordx2 v[1:2], v[3:4], off
.LBB32_124:
	s_andn2_b64 vcc, exec, s[6:7]
	s_cbranch_vccnz .LBB32_126
; %bb.125:
	v_cvt_f32_f16_e32 v3, v0
	v_cvt_i32_f32_e32 v3, v3
	global_store_dword v[1:2], v3, off
.LBB32_126:
	s_mov_b64 s[6:7], 0
.LBB32_127:
	s_andn2_b64 vcc, exec, s[6:7]
	s_cbranch_vccnz .LBB32_129
; %bb.128:
	v_cvt_i16_f16_e32 v3, v0
	global_store_short v[1:2], v3, off
.LBB32_129:
	s_mov_b64 s[6:7], 0
.LBB32_130:
	s_andn2_b64 vcc, exec, s[6:7]
	s_cbranch_vccnz .LBB32_135
; %bb.131:
	s_cmp_gt_i32 s8, 0
	s_mov_b64 s[6:7], -1
	s_cbranch_scc0 .LBB32_133
; %bb.132:
	v_cvt_i16_f16_e32 v3, v0
	global_store_byte v[1:2], v3, off
	s_mov_b64 s[6:7], 0
.LBB32_133:
	s_andn2_b64 vcc, exec, s[6:7]
	s_cbranch_vccnz .LBB32_135
; %bb.134:
	v_cvt_f32_f16_e32 v0, v0
	v_cvt_i32_f32_e32 v0, v0
	global_store_byte v[1:2], v0, off
.LBB32_135:
	s_branch .LBB32_25
.LBB32_136:
	s_mov_b64 s[6:7], 0
                                        ; implicit-def: $vgpr23
.LBB32_137:
	s_and_b64 s[62:63], s[4:5], exec
	s_orn2_b64 s[4:5], s[6:7], exec
.LBB32_138:
	s_or_b64 exec, exec, s[64:65]
	s_mov_b64 s[6:7], 0
                                        ; implicit-def: $sgpr14
                                        ; implicit-def: $vgpr1_vgpr2
                                        ; implicit-def: $vgpr0
	s_and_saveexec_b64 s[64:65], s[4:5]
	s_cbranch_execz .LBB32_145
; %bb.139:
	v_cmp_gt_i32_e32 vcc, s74, v23
	s_mov_b64 s[8:9], -1
	s_mov_b64 s[66:67], s[62:63]
	s_and_saveexec_b64 s[68:69], vcc
	s_cbranch_execz .LBB32_284
; %bb.140:
	s_andn2_b64 vcc, exec, s[50:51]
	s_cbranch_vccnz .LBB32_148
; %bb.141:
	s_andn2_b64 vcc, exec, s[60:61]
	s_cbranch_vccnz .LBB32_149
; %bb.142:
	s_add_i32 s31, s78, 1
	s_cmp_eq_u32 s76, 2
	s_cbranch_scc1 .LBB32_150
; %bb.143:
	s_and_b32 s30, s31, 28
	v_mov_b32_e32 v2, 0
	s_mov_b32 s66, 0
	s_mov_b64 s[24:25], s[34:35]
	s_mov_b64 s[26:27], s[58:59]
	v_mov_b32_e32 v21, 0
	v_mov_b32_e32 v0, v23
.LBB32_144:                             ; =>This Inner Loop Header: Depth=1
	s_load_dwordx8 s[12:19], s[24:25], 0x4
	s_load_dwordx4 s[20:23], s[24:25], 0x24
	s_load_dwordx8 s[4:11], s[26:27], 0x0
	s_add_u32 s24, s24, 48
	s_addc_u32 s25, s25, 0
	s_waitcnt lgkmcnt(0)
	v_mul_hi_u32 v1, s13, v0
	s_add_i32 s66, s66, 4
	s_add_u32 s26, s26, 32
	s_addc_u32 s27, s27, 0
	v_add_u32_e32 v1, v0, v1
	v_lshrrev_b32_e32 v1, s14, v1
	v_mul_lo_u32 v3, v1, s12
	v_mul_hi_u32 v4, s16, v1
	s_cmp_eq_u32 s30, s66
	v_sub_u32_e32 v0, v0, v3
	v_add_u32_e32 v3, v1, v4
	v_mul_lo_u32 v4, v0, s4
	v_mul_lo_u32 v5, v0, s5
	v_lshrrev_b32_e32 v0, s17, v3
	v_mul_lo_u32 v3, v0, s15
	v_mul_hi_u32 v6, s19, v0
	v_sub_u32_e32 v1, v1, v3
	v_add_u32_e32 v3, v0, v6
	v_lshrrev_b32_e32 v3, s20, v3
	v_mul_hi_u32 v7, s22, v3
	v_mul_lo_u32 v8, v3, s18
	v_mul_lo_u32 v6, v1, s6
	;; [unrolled: 1-line block ×3, first 2 shown]
	v_sub_u32_e32 v8, v0, v8
	v_add_u32_e32 v0, v3, v7
	v_lshrrev_b32_e32 v0, s23, v0
	v_mul_lo_u32 v7, v0, s21
	v_mul_lo_u32 v9, v8, s8
	;; [unrolled: 1-line block ×3, first 2 shown]
	v_add3_u32 v4, v4, v21, v6
	v_sub_u32_e32 v3, v3, v7
	v_mul_lo_u32 v7, v3, s10
	v_mul_lo_u32 v3, v3, s11
	v_add3_u32 v1, v5, v2, v1
	v_add3_u32 v21, v9, v4, v7
	;; [unrolled: 1-line block ×3, first 2 shown]
	s_cbranch_scc0 .LBB32_144
	s_branch .LBB32_151
.LBB32_145:
	s_or_b64 exec, exec, s[64:65]
	s_mov_b64 s[4:5], 0
	s_and_saveexec_b64 s[8:9], s[62:63]
	s_cbranch_execnz .LBB32_526
.LBB32_146:
	s_or_b64 exec, exec, s[8:9]
	s_and_saveexec_b64 s[8:9], s[68:69]
	s_xor_b64 s[8:9], exec, s[8:9]
	s_cbranch_execz .LBB32_527
.LBB32_147:
	v_and_b32_e32 v3, 0x7fff7fff, v0
	v_cmp_ne_u32_e32 vcc, 0, v3
	v_cndmask_b32_e64 v3, 0, 1, vcc
	global_store_byte v[1:2], v3, off
	s_or_b64 exec, exec, s[8:9]
	s_and_saveexec_b64 s[8:9], s[6:7]
	s_xor_b64 s[6:7], exec, s[8:9]
	s_cbranch_execz .LBB32_565
	s_branch .LBB32_528
.LBB32_148:
                                        ; implicit-def: $vgpr21
                                        ; implicit-def: $vgpr2
	s_branch .LBB32_155
.LBB32_149:
	v_mov_b32_e32 v21, 0
	v_mov_b32_e32 v2, 0
	s_branch .LBB32_154
.LBB32_150:
	s_mov_b32 s30, 0
	v_mov_b32_e32 v21, 0
	v_mov_b32_e32 v2, 0
	;; [unrolled: 1-line block ×3, first 2 shown]
.LBB32_151:
	s_and_b32 s8, s31, 3
	s_cmp_eq_u32 s8, 0
	s_cbranch_scc1 .LBB32_154
; %bb.152:
	s_lshl_b32 s4, s30, 3
	s_add_u32 s4, s34, s4
	s_addc_u32 s5, s35, 0
	s_add_u32 s4, s4, 0xc4
	s_addc_u32 s5, s5, 0
	s_mul_i32 s6, s30, 12
	s_add_u32 s6, s34, s6
	s_addc_u32 s7, s35, 0
.LBB32_153:                             ; =>This Inner Loop Header: Depth=1
	s_load_dwordx2 s[10:11], s[6:7], 0x4
	s_load_dword s9, s[6:7], 0xc
	s_load_dwordx2 s[12:13], s[4:5], 0x0
	s_add_u32 s6, s6, 12
	s_addc_u32 s7, s7, 0
	s_waitcnt lgkmcnt(0)
	v_mul_hi_u32 v1, s11, v0
	s_add_u32 s4, s4, 8
	s_addc_u32 s5, s5, 0
	s_add_i32 s8, s8, -1
	v_add_u32_e32 v1, v0, v1
	v_lshrrev_b32_e32 v1, s9, v1
	v_mul_lo_u32 v3, v1, s10
	s_cmp_lg_u32 s8, 0
	v_sub_u32_e32 v0, v0, v3
	v_mad_u64_u32 v[21:22], s[10:11], v0, s12, v[21:22]
	v_mad_u64_u32 v[2:3], s[10:11], v0, s13, v[2:3]
	v_mov_b32_e32 v0, v1
	s_cbranch_scc1 .LBB32_153
.LBB32_154:
	s_cbranch_execnz .LBB32_157
.LBB32_155:
	s_waitcnt lgkmcnt(0)
	v_mul_hi_u32 v0, s45, v23
	s_andn2_b64 vcc, exec, s[56:57]
	v_add_u32_e32 v0, v23, v0
	v_lshrrev_b32_e32 v0, s46, v0
	v_mul_lo_u32 v1, v0, s44
	v_sub_u32_e32 v1, v23, v1
	v_mul_lo_u32 v21, v1, s40
	v_mul_lo_u32 v2, v1, s41
	s_cbranch_vccnz .LBB32_157
; %bb.156:
	v_mul_hi_u32 v1, s54, v0
	v_add_u32_e32 v1, v0, v1
	v_lshrrev_b32_e32 v1, s55, v1
	v_mul_lo_u32 v1, v1, s47
	v_sub_u32_e32 v0, v0, v1
	v_mad_u64_u32 v[21:22], s[4:5], v0, s42, v[21:22]
	v_mad_u64_u32 v[2:3], s[4:5], v0, s43, v[2:3]
.LBB32_157:
	s_getpc_b64 s[4:5]
	s_add_u32 s4, s4, _ZN2at6native6invokeIZZZNS0_16asin_kernel_cudaERNS_18TensorIteratorBaseEENKUlvE_clEvENKUlvE1_clEvEUlN3c107complexINS6_4HalfEEEE_j15function_traitsISA_EEENT1_11result_typeERKT_PrKPcPKT0_PKNS6_10ScalarTypeEi@rel32@lo+4
	s_addc_u32 s5, s5, _ZN2at6native6invokeIZZZNS0_16asin_kernel_cudaERNS_18TensorIteratorBaseEENKUlvE_clEvENKUlvE1_clEvEUlN3c107complexINS6_4HalfEEEE_j15function_traitsISA_EEENT1_11result_typeERKT_PrKPcPKT0_PKNS6_10ScalarTypeEi@rel32@hi+12
	s_waitcnt lgkmcnt(0)
	v_mov_b32_e32 v0, s38
	v_mov_b32_e32 v1, s39
	;; [unrolled: 1-line block ×3, first 2 shown]
	s_swappc_b64 s[30:31], s[4:5]
	v_mov_b32_e32 v2, s37
	s_and_b32 s12, s77, 0xff
	v_add_co_u32_e32 v1, vcc, s36, v21
	s_cmp_lt_i32 s12, 11
	v_addc_co_u32_e32 v2, vcc, 0, v2, vcc
	s_cbranch_scc1 .LBB32_164
; %bb.158:
	s_and_b32 s13, 0xffff, s12
	s_cmp_gt_i32 s13, 25
	s_cbranch_scc0 .LBB32_167
; %bb.159:
	s_cmp_gt_i32 s13, 28
	s_cbranch_scc0 .LBB32_168
; %bb.160:
	s_cmp_gt_i32 s13, 43
	s_cbranch_scc0 .LBB32_171
; %bb.161:
	s_cmp_gt_i32 s13, 45
	s_cbranch_scc0 .LBB32_174
; %bb.162:
	s_mov_b64 s[8:9], 0
	s_mov_b64 s[4:5], -1
	s_cmp_eq_u32 s13, 46
	s_mov_b64 s[6:7], 0
	s_cbranch_scc0 .LBB32_175
; %bb.163:
	v_cvt_f32_f16_sdwa v4, v0 dst_sel:DWORD dst_unused:UNUSED_PAD src0_sel:WORD_1
	v_cvt_f32_f16_e32 v3, v0
	s_movk_i32 s4, 0x7fff
	v_cmp_o_f16_sdwa vcc, v0, v0 src0_sel:WORD_1 src1_sel:WORD_1
	v_bfe_u32 v6, v4, 16, 1
	v_bfe_u32 v5, v3, 16, 1
	v_add3_u32 v4, v4, v6, s4
	v_add3_u32 v3, v3, v5, s4
	v_and_b32_e32 v4, 0xffff0000, v4
	v_mov_b32_e32 v5, 0x7fc00000
	v_cndmask_b32_e32 v4, v5, v4, vcc
	v_cmp_o_f16_e32 vcc, v0, v0
	v_mov_b32_e32 v5, 0x7fc0
	v_cndmask_b32_sdwa v3, v5, v3, vcc dst_sel:DWORD dst_unused:UNUSED_PAD src0_sel:DWORD src1_sel:WORD_1
	v_or_b32_e32 v3, v4, v3
	global_store_dword v[1:2], v3, off
	s_mov_b64 s[6:7], -1
	s_mov_b64 s[4:5], 0
	s_branch .LBB32_175
.LBB32_164:
	s_mov_b64 s[6:7], 0
	s_mov_b64 s[4:5], s[62:63]
	s_cbranch_execnz .LBB32_244
.LBB32_165:
	s_andn2_b64 vcc, exec, s[6:7]
	s_cbranch_vccnz .LBB32_282
.LBB32_166:
	v_add_u32_e32 v23, 0x80, v23
	s_mov_b64 s[6:7], -1
	s_branch .LBB32_283
.LBB32_167:
	s_mov_b64 s[8:9], -1
	s_mov_b64 s[6:7], 0
	s_mov_b64 s[4:5], s[62:63]
	s_branch .LBB32_202
.LBB32_168:
	s_mov_b64 s[8:9], -1
	s_mov_b64 s[6:7], 0
	s_mov_b64 s[4:5], s[62:63]
	s_branch .LBB32_185
.LBB32_169:
	s_andn2_saveexec_b64 s[10:11], s[10:11]
	s_cbranch_execz .LBB32_51
.LBB32_170:
	s_mov_b32 s14, 0x46000000
	v_add_f32_e64 v4, |v3|, s14
	v_and_b32_e32 v4, 0xff, v4
	v_cmp_ne_u32_e32 vcc, 0, v4
	s_andn2_b64 s[8:9], s[8:9], exec
	s_and_b64 s[14:15], vcc, exec
	s_or_b64 s[8:9], s[8:9], s[14:15]
	s_or_b64 exec, exec, s[10:11]
	v_mov_b32_e32 v5, 0
	s_and_saveexec_b64 s[10:11], s[8:9]
	s_cbranch_execnz .LBB32_52
	s_branch .LBB32_53
.LBB32_171:
	s_mov_b64 s[8:9], -1
	s_mov_b64 s[6:7], 0
	s_mov_b64 s[4:5], s[62:63]
	s_branch .LBB32_181
.LBB32_172:
	s_andn2_saveexec_b64 s[10:11], s[10:11]
	s_cbranch_execz .LBB32_63
.LBB32_173:
	s_mov_b32 s14, 0x42800000
	v_add_f32_e64 v4, |v3|, s14
	v_and_b32_e32 v4, 0xff, v4
	v_cmp_ne_u32_e32 vcc, 0, v4
	s_andn2_b64 s[8:9], s[8:9], exec
	s_and_b64 s[14:15], vcc, exec
	s_or_b64 s[8:9], s[8:9], s[14:15]
	s_or_b64 exec, exec, s[10:11]
	v_mov_b32_e32 v5, 0
	s_and_saveexec_b64 s[10:11], s[8:9]
	s_cbranch_execnz .LBB32_64
	s_branch .LBB32_65
.LBB32_174:
	s_mov_b64 s[8:9], -1
	s_mov_b64 s[6:7], 0
	s_mov_b64 s[4:5], s[62:63]
.LBB32_175:
	s_and_b64 vcc, exec, s[8:9]
	s_cbranch_vccz .LBB32_180
; %bb.176:
	s_cmp_eq_u32 s13, 44
	s_mov_b64 s[4:5], -1
	s_cbranch_scc0 .LBB32_180
; %bb.177:
	v_cvt_f32_f16_e32 v3, v0
	s_movk_i32 s4, 0xff
	v_mov_b32_e32 v5, 0xff
	v_bfe_u32 v4, v3, 23, 8
	v_cmp_ne_u32_e32 vcc, s4, v4
	s_and_saveexec_b64 s[6:7], vcc
; %bb.178:
	s_mov_b32 s4, 0x3fffff
	v_lshrrev_b32_e32 v5, 23, v3
	v_and_b32_e32 v6, 0x400000, v3
	v_and_or_b32 v3, v3, s4, v4
	v_cmp_ne_u32_e32 vcc, 0, v6
	v_cmp_ne_u32_e64 s[4:5], 0, v3
	s_and_b64 s[4:5], vcc, s[4:5]
	v_cndmask_b32_e64 v3, 0, 1, s[4:5]
	v_add_u32_e32 v5, v5, v3
; %bb.179:
	s_or_b64 exec, exec, s[6:7]
	s_mov_b64 s[6:7], -1
	s_mov_b64 s[4:5], 0
	global_store_byte v[1:2], v5, off
.LBB32_180:
	s_mov_b64 s[8:9], 0
.LBB32_181:
	s_and_b64 vcc, exec, s[8:9]
	s_cbranch_vccz .LBB32_184
; %bb.182:
	s_cmp_eq_u32 s13, 29
	s_mov_b64 s[4:5], -1
	s_cbranch_scc0 .LBB32_184
; %bb.183:
	v_cvt_f32_f16_e32 v3, v0
	v_mov_b32_e32 v4, 0
	s_mov_b64 s[6:7], -1
	s_mov_b64 s[4:5], 0
	v_cvt_u32_f32_e32 v3, v3
	s_mov_b64 s[8:9], 0
	global_store_dwordx2 v[1:2], v[3:4], off
	s_branch .LBB32_185
.LBB32_184:
	s_mov_b64 s[8:9], 0
.LBB32_185:
	s_and_b64 vcc, exec, s[8:9]
	s_cbranch_vccz .LBB32_201
; %bb.186:
	s_cmp_lt_i32 s13, 27
	s_mov_b64 s[6:7], -1
	s_cbranch_scc1 .LBB32_192
; %bb.187:
	s_cmp_gt_i32 s13, 27
	s_cbranch_scc0 .LBB32_189
; %bb.188:
	v_cvt_f32_f16_e32 v3, v0
	s_mov_b64 s[6:7], 0
	v_cvt_u32_f32_e32 v3, v3
	global_store_dword v[1:2], v3, off
.LBB32_189:
	s_andn2_b64 vcc, exec, s[6:7]
	s_cbranch_vccnz .LBB32_191
; %bb.190:
	v_cvt_u16_f16_e32 v3, v0
	global_store_short v[1:2], v3, off
.LBB32_191:
	s_mov_b64 s[6:7], 0
.LBB32_192:
	s_andn2_b64 vcc, exec, s[6:7]
	s_cbranch_vccnz .LBB32_200
; %bb.193:
	v_cvt_f32_f16_e32 v3, v0
	s_mov_b32 s6, 0x43800000
	v_mov_b32_e32 v5, 0x80
	v_and_b32_e32 v4, 0x7fffffff, v3
	v_cmp_gt_u32_e32 vcc, s6, v4
	s_and_saveexec_b64 s[6:7], vcc
	s_cbranch_execz .LBB32_199
; %bb.194:
	s_mov_b32 s8, 0x3bffffff
	v_cmp_lt_u32_e32 vcc, s8, v4
	s_mov_b64 s[8:9], 0
                                        ; implicit-def: $vgpr4
	s_and_saveexec_b64 s[10:11], vcc
	s_xor_b64 s[10:11], exec, s[10:11]
	s_cbranch_execz .LBB32_311
; %bb.195:
	v_bfe_u32 v4, v3, 20, 1
	s_mov_b32 s14, 0x487ffff
	v_add3_u32 v4, v3, v4, s14
	s_mov_b64 s[8:9], exec
	v_lshrrev_b32_e32 v4, 20, v4
	s_andn2_saveexec_b64 s[10:11], s[10:11]
	s_cbranch_execnz .LBB32_312
.LBB32_196:
	s_or_b64 exec, exec, s[10:11]
	v_mov_b32_e32 v5, 0
	s_and_saveexec_b64 s[10:11], s[8:9]
.LBB32_197:
	v_lshrrev_b32_e32 v3, 24, v3
	s_movk_i32 s8, 0x80
	v_and_or_b32 v5, v3, s8, v4
.LBB32_198:
	s_or_b64 exec, exec, s[10:11]
.LBB32_199:
	s_or_b64 exec, exec, s[6:7]
	global_store_byte v[1:2], v5, off
.LBB32_200:
	s_mov_b64 s[6:7], -1
.LBB32_201:
	s_mov_b64 s[8:9], 0
.LBB32_202:
	s_and_b64 vcc, exec, s[8:9]
	s_cbranch_vccz .LBB32_243
; %bb.203:
	s_cmp_gt_i32 s13, 22
	s_mov_b64 s[8:9], -1
	s_cbranch_scc0 .LBB32_235
; %bb.204:
	s_cmp_lt_i32 s13, 24
	s_mov_b64 s[6:7], -1
	s_cbranch_scc1 .LBB32_224
; %bb.205:
	s_cmp_gt_i32 s13, 24
	s_cbranch_scc0 .LBB32_213
; %bb.206:
	v_cvt_f32_f16_e32 v3, v0
	s_mov_b32 s6, 0x47800000
	v_mov_b32_e32 v5, 0x80
	v_and_b32_e32 v4, 0x7fffffff, v3
	v_cmp_gt_u32_e32 vcc, s6, v4
	s_and_saveexec_b64 s[6:7], vcc
	s_cbranch_execz .LBB32_212
; %bb.207:
	s_mov_b32 s8, 0x37ffffff
	v_cmp_lt_u32_e32 vcc, s8, v4
	s_mov_b64 s[8:9], 0
                                        ; implicit-def: $vgpr4
	s_and_saveexec_b64 s[10:11], vcc
	s_xor_b64 s[10:11], exec, s[10:11]
	s_cbranch_execz .LBB32_314
; %bb.208:
	v_bfe_u32 v4, v3, 21, 1
	s_mov_b32 s14, 0x88fffff
	v_add3_u32 v4, v3, v4, s14
	s_mov_b64 s[8:9], exec
	v_lshrrev_b32_e32 v4, 21, v4
	s_andn2_saveexec_b64 s[10:11], s[10:11]
	s_cbranch_execnz .LBB32_315
.LBB32_209:
	s_or_b64 exec, exec, s[10:11]
	v_mov_b32_e32 v5, 0
	s_and_saveexec_b64 s[10:11], s[8:9]
.LBB32_210:
	v_lshrrev_b32_e32 v3, 24, v3
	s_movk_i32 s8, 0x80
	v_and_or_b32 v5, v3, s8, v4
.LBB32_211:
	s_or_b64 exec, exec, s[10:11]
.LBB32_212:
	s_or_b64 exec, exec, s[6:7]
	s_mov_b64 s[6:7], 0
	global_store_byte v[1:2], v5, off
.LBB32_213:
	s_and_b64 vcc, exec, s[6:7]
	s_cbranch_vccz .LBB32_223
; %bb.214:
	v_cvt_f32_f16_e32 v3, v0
	s_mov_b32 s6, 0x43f00000
                                        ; implicit-def: $vgpr4
	v_and_b32_e32 v5, 0x7fffffff, v3
	v_cmp_gt_u32_e32 vcc, s6, v5
	s_and_saveexec_b64 s[6:7], vcc
	s_xor_b64 s[6:7], exec, s[6:7]
	s_cbranch_execz .LBB32_220
; %bb.215:
	s_mov_b32 s8, 0x3c7fffff
	v_cmp_lt_u32_e32 vcc, s8, v5
                                        ; implicit-def: $vgpr4
	s_and_saveexec_b64 s[8:9], vcc
	s_xor_b64 s[8:9], exec, s[8:9]
; %bb.216:
	v_bfe_u32 v4, v3, 20, 1
	s_mov_b32 s10, 0x407ffff
	v_add3_u32 v4, v3, v4, s10
	v_lshrrev_b32_e32 v5, 20, v4
	v_and_b32_e32 v4, 0xff00000, v4
	s_mov_b32 s10, 0x7f00000
	v_mov_b32_e32 v6, 0x7e
	v_cmp_ne_u32_e32 vcc, s10, v4
	v_cndmask_b32_e32 v4, v6, v5, vcc
; %bb.217:
	s_andn2_saveexec_b64 s[8:9], s[8:9]
; %bb.218:
	s_mov_b32 s10, 0x46800000
	v_add_f32_e64 v4, |v3|, s10
; %bb.219:
	s_or_b64 exec, exec, s[8:9]
                                        ; implicit-def: $vgpr5
.LBB32_220:
	s_andn2_saveexec_b64 s[6:7], s[6:7]
; %bb.221:
	s_mov_b32 s8, 0x7f800000
	v_mov_b32_e32 v4, 0x7e
	v_mov_b32_e32 v6, 0x7f
	v_cmp_lt_u32_e32 vcc, s8, v5
	v_cndmask_b32_e32 v4, v4, v6, vcc
; %bb.222:
	s_or_b64 exec, exec, s[6:7]
	v_lshrrev_b32_e32 v3, 24, v3
	s_movk_i32 s6, 0x80
	v_and_or_b32 v3, v3, s6, v4
	global_store_byte v[1:2], v3, off
.LBB32_223:
	s_mov_b64 s[6:7], 0
.LBB32_224:
	s_andn2_b64 vcc, exec, s[6:7]
	s_cbranch_vccnz .LBB32_234
; %bb.225:
	v_cvt_f32_f16_e32 v3, v0
	s_mov_b32 s6, 0x47800000
                                        ; implicit-def: $vgpr4
	v_and_b32_e32 v5, 0x7fffffff, v3
	v_cmp_gt_u32_e32 vcc, s6, v5
	s_and_saveexec_b64 s[6:7], vcc
	s_xor_b64 s[6:7], exec, s[6:7]
	s_cbranch_execz .LBB32_231
; %bb.226:
	s_mov_b32 s8, 0x387fffff
	v_cmp_lt_u32_e32 vcc, s8, v5
                                        ; implicit-def: $vgpr4
	s_and_saveexec_b64 s[8:9], vcc
	s_xor_b64 s[8:9], exec, s[8:9]
; %bb.227:
	v_bfe_u32 v4, v3, 21, 1
	s_mov_b32 s10, 0x80fffff
	v_add3_u32 v4, v3, v4, s10
	v_lshrrev_b32_e32 v4, 21, v4
; %bb.228:
	s_andn2_saveexec_b64 s[8:9], s[8:9]
; %bb.229:
	s_mov_b32 s10, 0x43000000
	v_add_f32_e64 v4, |v3|, s10
; %bb.230:
	s_or_b64 exec, exec, s[8:9]
                                        ; implicit-def: $vgpr5
.LBB32_231:
	s_andn2_saveexec_b64 s[6:7], s[6:7]
; %bb.232:
	s_mov_b32 s8, 0x7f800000
	v_mov_b32_e32 v4, 0x7c
	v_mov_b32_e32 v6, 0x7f
	v_cmp_lt_u32_e32 vcc, s8, v5
	v_cndmask_b32_e32 v4, v4, v6, vcc
; %bb.233:
	s_or_b64 exec, exec, s[6:7]
	v_lshrrev_b32_e32 v3, 24, v3
	s_movk_i32 s6, 0x80
	v_and_or_b32 v3, v3, s6, v4
	global_store_byte v[1:2], v3, off
.LBB32_234:
	s_mov_b64 s[8:9], 0
	s_mov_b64 s[6:7], -1
.LBB32_235:
	s_andn2_b64 vcc, exec, s[8:9]
	s_cbranch_vccnz .LBB32_243
; %bb.236:
	s_cmp_gt_i32 s13, 14
	s_mov_b64 s[8:9], -1
	s_cbranch_scc0 .LBB32_240
; %bb.237:
	s_cmp_eq_u32 s13, 15
	s_mov_b64 s[4:5], -1
	s_cbranch_scc0 .LBB32_239
; %bb.238:
	v_cvt_f32_f16_e32 v3, v0
	s_movk_i32 s4, 0x7fff
	v_cmp_o_f16_e32 vcc, v0, v0
	v_mov_b32_e32 v4, 0x7fc0
	v_bfe_u32 v5, v3, 16, 1
	v_add3_u32 v3, v3, v5, s4
	v_cndmask_b32_sdwa v3, v4, v3, vcc dst_sel:DWORD dst_unused:UNUSED_PAD src0_sel:DWORD src1_sel:WORD_1
	global_store_short v[1:2], v3, off
	s_mov_b64 s[6:7], -1
	s_mov_b64 s[4:5], 0
.LBB32_239:
	s_mov_b64 s[8:9], 0
.LBB32_240:
	s_and_b64 vcc, exec, s[8:9]
	s_cbranch_vccz .LBB32_243
; %bb.241:
	s_cmp_eq_u32 s13, 11
	s_mov_b64 s[4:5], -1
	s_cbranch_scc0 .LBB32_243
; %bb.242:
	v_and_b32_e32 v3, 0x7fff7fff, v0
	v_cmp_ne_u32_e32 vcc, 0, v3
	v_cndmask_b32_e64 v3, 0, 1, vcc
	s_mov_b64 s[6:7], -1
	s_mov_b64 s[4:5], 0
	global_store_byte v[1:2], v3, off
.LBB32_243:
	s_branch .LBB32_165
.LBB32_244:
	s_and_b32 s8, 0xffff, s12
	s_cmp_lt_i32 s8, 5
	s_mov_b64 s[6:7], -1
	s_cbranch_scc1 .LBB32_265
; %bb.245:
	s_cmp_lt_i32 s8, 8
	s_cbranch_scc1 .LBB32_255
; %bb.246:
	s_cmp_lt_i32 s8, 9
	s_cbranch_scc1 .LBB32_252
; %bb.247:
	v_cvt_f32_f16_sdwa v4, v0 dst_sel:DWORD dst_unused:UNUSED_PAD src0_sel:WORD_1
	s_cmp_gt_i32 s8, 9
	s_cbranch_scc0 .LBB32_249
; %bb.248:
	v_cvt_f32_f16_e32 v3, v0
	v_cvt_f64_f32_e32 v[7:8], v4
	s_mov_b64 s[6:7], 0
	v_cvt_f64_f32_e32 v[5:6], v3
	global_store_dwordx4 v[1:2], v[5:8], off
.LBB32_249:
	s_andn2_b64 vcc, exec, s[6:7]
	s_cbranch_vccnz .LBB32_251
; %bb.250:
	v_cvt_f32_f16_e32 v3, v0
	global_store_dwordx2 v[1:2], v[3:4], off
.LBB32_251:
	s_mov_b64 s[6:7], 0
.LBB32_252:
	s_andn2_b64 vcc, exec, s[6:7]
	s_cbranch_vccnz .LBB32_254
; %bb.253:
	global_store_dword v[1:2], v0, off
.LBB32_254:
	s_mov_b64 s[6:7], 0
.LBB32_255:
	s_andn2_b64 vcc, exec, s[6:7]
	s_cbranch_vccnz .LBB32_264
; %bb.256:
	s_cmp_lt_i32 s8, 6
	s_mov_b64 s[6:7], -1
	s_cbranch_scc1 .LBB32_262
; %bb.257:
	s_cmp_gt_i32 s8, 6
	s_cbranch_scc0 .LBB32_259
; %bb.258:
	v_cvt_f32_f16_e32 v3, v0
	s_mov_b64 s[6:7], 0
	v_cvt_f64_f32_e32 v[3:4], v3
	global_store_dwordx2 v[1:2], v[3:4], off
.LBB32_259:
	s_andn2_b64 vcc, exec, s[6:7]
	s_cbranch_vccnz .LBB32_261
; %bb.260:
	v_cvt_f32_f16_e32 v3, v0
	global_store_dword v[1:2], v3, off
.LBB32_261:
	s_mov_b64 s[6:7], 0
.LBB32_262:
	s_andn2_b64 vcc, exec, s[6:7]
	s_cbranch_vccnz .LBB32_264
; %bb.263:
	global_store_short v[1:2], v0, off
.LBB32_264:
	s_mov_b64 s[6:7], 0
.LBB32_265:
	s_andn2_b64 vcc, exec, s[6:7]
	s_cbranch_vccnz .LBB32_281
; %bb.266:
	s_cmp_lt_i32 s8, 2
	s_mov_b64 s[6:7], -1
	s_cbranch_scc1 .LBB32_276
; %bb.267:
	s_cmp_lt_i32 s8, 3
	s_cbranch_scc1 .LBB32_273
; %bb.268:
	s_cmp_gt_i32 s8, 3
	s_cbranch_scc0 .LBB32_270
; %bb.269:
	v_cvt_f32_f16_e32 v3, v0
	s_mov_b64 s[6:7], 0
	v_cvt_i32_f32_e32 v3, v3
	v_ashrrev_i32_e32 v4, 31, v3
	global_store_dwordx2 v[1:2], v[3:4], off
.LBB32_270:
	s_andn2_b64 vcc, exec, s[6:7]
	s_cbranch_vccnz .LBB32_272
; %bb.271:
	v_cvt_f32_f16_e32 v3, v0
	v_cvt_i32_f32_e32 v3, v3
	global_store_dword v[1:2], v3, off
.LBB32_272:
	s_mov_b64 s[6:7], 0
.LBB32_273:
	s_andn2_b64 vcc, exec, s[6:7]
	s_cbranch_vccnz .LBB32_275
; %bb.274:
	v_cvt_i16_f16_e32 v3, v0
	global_store_short v[1:2], v3, off
.LBB32_275:
	s_mov_b64 s[6:7], 0
.LBB32_276:
	s_andn2_b64 vcc, exec, s[6:7]
	s_cbranch_vccnz .LBB32_281
; %bb.277:
	s_cmp_gt_i32 s8, 0
	s_mov_b64 s[6:7], -1
	s_cbranch_scc0 .LBB32_279
; %bb.278:
	v_cvt_i16_f16_e32 v3, v0
	s_mov_b64 s[6:7], 0
	global_store_byte v[1:2], v3, off
.LBB32_279:
	s_andn2_b64 vcc, exec, s[6:7]
	s_cbranch_vccnz .LBB32_281
; %bb.280:
	v_cvt_f32_f16_e32 v0, v0
	v_cvt_i32_f32_e32 v0, v0
	global_store_byte v[1:2], v0, off
.LBB32_281:
	s_branch .LBB32_166
.LBB32_282:
	s_mov_b64 s[6:7], 0
                                        ; implicit-def: $vgpr23
.LBB32_283:
	s_andn2_b64 s[8:9], s[62:63], exec
	s_and_b64 s[4:5], s[4:5], exec
	s_or_b64 s[66:67], s[8:9], s[4:5]
	s_orn2_b64 s[8:9], s[6:7], exec
.LBB32_284:
	s_or_b64 exec, exec, s[68:69]
	s_mov_b64 s[4:5], 0
	s_mov_b64 s[6:7], 0
                                        ; implicit-def: $sgpr14
                                        ; implicit-def: $vgpr1_vgpr2
                                        ; implicit-def: $vgpr0
	s_and_saveexec_b64 s[68:69], s[8:9]
	s_cbranch_execz .LBB32_525
; %bb.285:
	v_cmp_gt_i32_e32 vcc, s74, v23
	s_mov_b64 s[6:7], -1
	s_mov_b64 s[72:73], s[66:67]
	s_and_saveexec_b64 s[70:71], vcc
	s_cbranch_execz .LBB32_429
; %bb.286:
	s_andn2_b64 vcc, exec, s[50:51]
	s_cbranch_vccnz .LBB32_291
; %bb.287:
	s_andn2_b64 vcc, exec, s[60:61]
	s_cbranch_vccnz .LBB32_292
; %bb.288:
	s_add_i32 s31, s78, 1
	s_cmp_eq_u32 s76, 2
	s_cbranch_scc1 .LBB32_293
; %bb.289:
	s_and_b32 s30, s31, 28
	v_mov_b32_e32 v2, 0
	s_mov_b32 s72, 0
	s_mov_b64 s[24:25], s[34:35]
	s_mov_b64 s[26:27], s[58:59]
	v_mov_b32_e32 v21, 0
	v_mov_b32_e32 v0, v23
.LBB32_290:                             ; =>This Inner Loop Header: Depth=1
	s_load_dwordx8 s[12:19], s[24:25], 0x4
	s_load_dwordx4 s[20:23], s[24:25], 0x24
	s_load_dwordx8 s[4:11], s[26:27], 0x0
	s_add_u32 s24, s24, 48
	s_addc_u32 s25, s25, 0
	s_waitcnt lgkmcnt(0)
	v_mul_hi_u32 v1, s13, v0
	s_add_i32 s72, s72, 4
	s_add_u32 s26, s26, 32
	s_addc_u32 s27, s27, 0
	v_add_u32_e32 v1, v0, v1
	v_lshrrev_b32_e32 v1, s14, v1
	v_mul_lo_u32 v3, v1, s12
	v_mul_hi_u32 v4, s16, v1
	s_cmp_eq_u32 s30, s72
	v_sub_u32_e32 v0, v0, v3
	v_add_u32_e32 v3, v1, v4
	v_mul_lo_u32 v4, v0, s4
	v_mul_lo_u32 v5, v0, s5
	v_lshrrev_b32_e32 v0, s17, v3
	v_mul_lo_u32 v3, v0, s15
	v_mul_hi_u32 v6, s19, v0
	v_sub_u32_e32 v1, v1, v3
	v_add_u32_e32 v3, v0, v6
	v_lshrrev_b32_e32 v3, s20, v3
	v_mul_hi_u32 v7, s22, v3
	v_mul_lo_u32 v8, v3, s18
	v_mul_lo_u32 v6, v1, s6
	;; [unrolled: 1-line block ×3, first 2 shown]
	v_sub_u32_e32 v8, v0, v8
	v_add_u32_e32 v0, v3, v7
	v_lshrrev_b32_e32 v0, s23, v0
	v_mul_lo_u32 v7, v0, s21
	v_mul_lo_u32 v9, v8, s8
	;; [unrolled: 1-line block ×3, first 2 shown]
	v_add3_u32 v4, v4, v21, v6
	v_sub_u32_e32 v3, v3, v7
	v_mul_lo_u32 v7, v3, s10
	v_mul_lo_u32 v3, v3, s11
	v_add3_u32 v1, v5, v2, v1
	v_add3_u32 v21, v9, v4, v7
	v_add3_u32 v2, v8, v1, v3
	s_cbranch_scc0 .LBB32_290
	s_branch .LBB32_294
.LBB32_291:
	s_mov_b64 s[4:5], -1
                                        ; implicit-def: $vgpr21
                                        ; implicit-def: $vgpr2
	s_branch .LBB32_298
.LBB32_292:
	v_mov_b32_e32 v21, 0
	v_mov_b32_e32 v2, 0
	s_branch .LBB32_297
.LBB32_293:
	s_mov_b32 s30, 0
	v_mov_b32_e32 v21, 0
	v_mov_b32_e32 v2, 0
	;; [unrolled: 1-line block ×3, first 2 shown]
.LBB32_294:
	s_and_b32 s8, s31, 3
	s_cmp_eq_u32 s8, 0
	s_cbranch_scc1 .LBB32_297
; %bb.295:
	s_lshl_b32 s4, s30, 3
	s_add_u32 s4, s34, s4
	s_addc_u32 s5, s35, 0
	s_add_u32 s4, s4, 0xc4
	s_addc_u32 s5, s5, 0
	s_mul_i32 s6, s30, 12
	s_add_u32 s6, s34, s6
	s_addc_u32 s7, s35, 0
.LBB32_296:                             ; =>This Inner Loop Header: Depth=1
	s_load_dwordx2 s[10:11], s[6:7], 0x4
	s_load_dword s9, s[6:7], 0xc
	s_load_dwordx2 s[12:13], s[4:5], 0x0
	s_add_u32 s6, s6, 12
	s_addc_u32 s7, s7, 0
	s_waitcnt lgkmcnt(0)
	v_mul_hi_u32 v1, s11, v0
	s_add_u32 s4, s4, 8
	s_addc_u32 s5, s5, 0
	s_add_i32 s8, s8, -1
	v_add_u32_e32 v1, v0, v1
	v_lshrrev_b32_e32 v1, s9, v1
	v_mul_lo_u32 v3, v1, s10
	s_cmp_lg_u32 s8, 0
	v_sub_u32_e32 v0, v0, v3
	v_mad_u64_u32 v[21:22], s[10:11], v0, s12, v[21:22]
	v_mad_u64_u32 v[2:3], s[10:11], v0, s13, v[2:3]
	v_mov_b32_e32 v0, v1
	s_cbranch_scc1 .LBB32_296
.LBB32_297:
	s_mov_b64 s[4:5], 0
.LBB32_298:
	s_andn2_b64 vcc, exec, s[4:5]
	s_cbranch_vccnz .LBB32_301
; %bb.299:
	s_waitcnt lgkmcnt(0)
	v_mul_hi_u32 v0, s45, v23
	s_andn2_b64 vcc, exec, s[56:57]
	v_add_u32_e32 v0, v23, v0
	v_lshrrev_b32_e32 v0, s46, v0
	v_mul_lo_u32 v1, v0, s44
	v_sub_u32_e32 v1, v23, v1
	v_mul_lo_u32 v21, v1, s40
	v_mul_lo_u32 v2, v1, s41
	s_cbranch_vccnz .LBB32_301
; %bb.300:
	v_mul_hi_u32 v1, s54, v0
	v_add_u32_e32 v1, v0, v1
	v_lshrrev_b32_e32 v1, s55, v1
	v_mul_lo_u32 v1, v1, s47
	v_sub_u32_e32 v0, v0, v1
	v_mad_u64_u32 v[21:22], s[4:5], v0, s42, v[21:22]
	v_mad_u64_u32 v[2:3], s[4:5], v0, s43, v[2:3]
.LBB32_301:
	s_getpc_b64 s[4:5]
	s_add_u32 s4, s4, _ZN2at6native6invokeIZZZNS0_16asin_kernel_cudaERNS_18TensorIteratorBaseEENKUlvE_clEvENKUlvE1_clEvEUlN3c107complexINS6_4HalfEEEE_j15function_traitsISA_EEENT1_11result_typeERKT_PrKPcPKT0_PKNS6_10ScalarTypeEi@rel32@lo+4
	s_addc_u32 s5, s5, _ZN2at6native6invokeIZZZNS0_16asin_kernel_cudaERNS_18TensorIteratorBaseEENKUlvE_clEvENKUlvE1_clEvEUlN3c107complexINS6_4HalfEEEE_j15function_traitsISA_EEENT1_11result_typeERKT_PrKPcPKT0_PKNS6_10ScalarTypeEi@rel32@hi+12
	s_waitcnt lgkmcnt(0)
	v_mov_b32_e32 v0, s38
	v_mov_b32_e32 v1, s39
	;; [unrolled: 1-line block ×3, first 2 shown]
	s_swappc_b64 s[30:31], s[4:5]
	v_mov_b32_e32 v2, s37
	s_and_b32 s12, s77, 0xff
	v_add_co_u32_e32 v1, vcc, s36, v21
	s_cmp_lt_i32 s12, 11
	v_addc_co_u32_e32 v2, vcc, 0, v2, vcc
	s_cbranch_scc1 .LBB32_308
; %bb.302:
	s_and_b32 s13, 0xffff, s12
	s_cmp_gt_i32 s13, 25
	s_cbranch_scc0 .LBB32_309
; %bb.303:
	s_cmp_gt_i32 s13, 28
	s_cbranch_scc0 .LBB32_310
; %bb.304:
	;; [unrolled: 3-line block ×4, first 2 shown]
	s_mov_b64 s[8:9], 0
	s_mov_b64 s[4:5], -1
	s_cmp_eq_u32 s13, 46
	s_mov_b64 s[6:7], 0
	s_cbranch_scc0 .LBB32_317
; %bb.307:
	v_cvt_f32_f16_sdwa v4, v0 dst_sel:DWORD dst_unused:UNUSED_PAD src0_sel:WORD_1
	v_cvt_f32_f16_e32 v3, v0
	s_movk_i32 s4, 0x7fff
	v_cmp_o_f16_sdwa vcc, v0, v0 src0_sel:WORD_1 src1_sel:WORD_1
	v_bfe_u32 v6, v4, 16, 1
	v_bfe_u32 v5, v3, 16, 1
	v_add3_u32 v4, v4, v6, s4
	v_add3_u32 v3, v3, v5, s4
	v_and_b32_e32 v4, 0xffff0000, v4
	v_mov_b32_e32 v5, 0x7fc00000
	v_cndmask_b32_e32 v4, v5, v4, vcc
	v_cmp_o_f16_e32 vcc, v0, v0
	v_mov_b32_e32 v5, 0x7fc0
	v_cndmask_b32_sdwa v3, v5, v3, vcc dst_sel:DWORD dst_unused:UNUSED_PAD src0_sel:DWORD src1_sel:WORD_1
	v_or_b32_e32 v3, v4, v3
	global_store_dword v[1:2], v3, off
	s_mov_b64 s[6:7], -1
	s_mov_b64 s[4:5], 0
	s_branch .LBB32_317
.LBB32_308:
	s_mov_b64 s[8:9], -1
	s_mov_b64 s[6:7], 0
	s_mov_b64 s[4:5], s[66:67]
	s_branch .LBB32_386
.LBB32_309:
	s_mov_b64 s[8:9], -1
	s_mov_b64 s[6:7], 0
	s_mov_b64 s[4:5], s[66:67]
	s_branch .LBB32_344
.LBB32_310:
	s_mov_b64 s[8:9], -1
	s_mov_b64 s[6:7], 0
	s_mov_b64 s[4:5], s[66:67]
	s_branch .LBB32_327
.LBB32_311:
	s_andn2_saveexec_b64 s[10:11], s[10:11]
	s_cbranch_execz .LBB32_196
.LBB32_312:
	s_mov_b32 s14, 0x46000000
	v_add_f32_e64 v4, |v3|, s14
	v_and_b32_e32 v4, 0xff, v4
	v_cmp_ne_u32_e32 vcc, 0, v4
	s_andn2_b64 s[8:9], s[8:9], exec
	s_and_b64 s[14:15], vcc, exec
	s_or_b64 s[8:9], s[8:9], s[14:15]
	s_or_b64 exec, exec, s[10:11]
	v_mov_b32_e32 v5, 0
	s_and_saveexec_b64 s[10:11], s[8:9]
	s_cbranch_execnz .LBB32_197
	s_branch .LBB32_198
.LBB32_313:
	s_mov_b64 s[8:9], -1
	s_mov_b64 s[6:7], 0
	s_mov_b64 s[4:5], s[66:67]
	s_branch .LBB32_323
.LBB32_314:
	s_andn2_saveexec_b64 s[10:11], s[10:11]
	s_cbranch_execz .LBB32_209
.LBB32_315:
	s_mov_b32 s14, 0x42800000
	v_add_f32_e64 v4, |v3|, s14
	v_and_b32_e32 v4, 0xff, v4
	v_cmp_ne_u32_e32 vcc, 0, v4
	s_andn2_b64 s[8:9], s[8:9], exec
	s_and_b64 s[14:15], vcc, exec
	s_or_b64 s[8:9], s[8:9], s[14:15]
	s_or_b64 exec, exec, s[10:11]
	v_mov_b32_e32 v5, 0
	s_and_saveexec_b64 s[10:11], s[8:9]
	s_cbranch_execnz .LBB32_210
	s_branch .LBB32_211
.LBB32_316:
	s_mov_b64 s[8:9], -1
	s_mov_b64 s[6:7], 0
	s_mov_b64 s[4:5], s[66:67]
.LBB32_317:
	s_and_b64 vcc, exec, s[8:9]
	s_cbranch_vccz .LBB32_322
; %bb.318:
	s_cmp_eq_u32 s13, 44
	s_mov_b64 s[4:5], -1
	s_cbranch_scc0 .LBB32_322
; %bb.319:
	v_cvt_f32_f16_e32 v3, v0
	s_movk_i32 s4, 0xff
	v_mov_b32_e32 v5, 0xff
	v_bfe_u32 v4, v3, 23, 8
	v_cmp_ne_u32_e32 vcc, s4, v4
	s_and_saveexec_b64 s[6:7], vcc
; %bb.320:
	s_mov_b32 s4, 0x3fffff
	v_lshrrev_b32_e32 v5, 23, v3
	v_and_b32_e32 v6, 0x400000, v3
	v_and_or_b32 v3, v3, s4, v4
	v_cmp_ne_u32_e32 vcc, 0, v6
	v_cmp_ne_u32_e64 s[4:5], 0, v3
	s_and_b64 s[4:5], vcc, s[4:5]
	v_cndmask_b32_e64 v3, 0, 1, s[4:5]
	v_add_u32_e32 v5, v5, v3
; %bb.321:
	s_or_b64 exec, exec, s[6:7]
	s_mov_b64 s[6:7], -1
	s_mov_b64 s[4:5], 0
	global_store_byte v[1:2], v5, off
.LBB32_322:
	s_mov_b64 s[8:9], 0
.LBB32_323:
	s_and_b64 vcc, exec, s[8:9]
	s_cbranch_vccz .LBB32_326
; %bb.324:
	s_cmp_eq_u32 s13, 29
	s_mov_b64 s[4:5], -1
	s_cbranch_scc0 .LBB32_326
; %bb.325:
	v_cvt_f32_f16_e32 v3, v0
	v_mov_b32_e32 v4, 0
	s_mov_b64 s[6:7], -1
	s_mov_b64 s[4:5], 0
	v_cvt_u32_f32_e32 v3, v3
	s_mov_b64 s[8:9], 0
	global_store_dwordx2 v[1:2], v[3:4], off
	s_branch .LBB32_327
.LBB32_326:
	s_mov_b64 s[8:9], 0
.LBB32_327:
	s_and_b64 vcc, exec, s[8:9]
	s_cbranch_vccz .LBB32_343
; %bb.328:
	s_cmp_lt_i32 s13, 27
	s_mov_b64 s[6:7], -1
	s_cbranch_scc1 .LBB32_334
; %bb.329:
	s_cmp_gt_i32 s13, 27
	s_cbranch_scc0 .LBB32_331
; %bb.330:
	v_cvt_f32_f16_e32 v3, v0
	s_mov_b64 s[6:7], 0
	v_cvt_u32_f32_e32 v3, v3
	global_store_dword v[1:2], v3, off
.LBB32_331:
	s_andn2_b64 vcc, exec, s[6:7]
	s_cbranch_vccnz .LBB32_333
; %bb.332:
	v_cvt_u16_f16_e32 v3, v0
	global_store_short v[1:2], v3, off
.LBB32_333:
	s_mov_b64 s[6:7], 0
.LBB32_334:
	s_andn2_b64 vcc, exec, s[6:7]
	s_cbranch_vccnz .LBB32_342
; %bb.335:
	v_cvt_f32_f16_e32 v3, v0
	s_mov_b32 s6, 0x43800000
	v_mov_b32_e32 v5, 0x80
	v_and_b32_e32 v4, 0x7fffffff, v3
	v_cmp_gt_u32_e32 vcc, s6, v4
	s_and_saveexec_b64 s[6:7], vcc
	s_cbranch_execz .LBB32_341
; %bb.336:
	s_mov_b32 s8, 0x3bffffff
	v_cmp_lt_u32_e32 vcc, s8, v4
	s_mov_b64 s[8:9], 0
                                        ; implicit-def: $vgpr4
	s_and_saveexec_b64 s[10:11], vcc
	s_xor_b64 s[10:11], exec, s[10:11]
	s_cbranch_execz .LBB32_1112
; %bb.337:
	v_bfe_u32 v4, v3, 20, 1
	s_mov_b32 s14, 0x487ffff
	v_add3_u32 v4, v3, v4, s14
	s_mov_b64 s[8:9], exec
	v_lshrrev_b32_e32 v4, 20, v4
	s_andn2_saveexec_b64 s[10:11], s[10:11]
	s_cbranch_execnz .LBB32_1113
.LBB32_338:
	s_or_b64 exec, exec, s[10:11]
	v_mov_b32_e32 v5, 0
	s_and_saveexec_b64 s[10:11], s[8:9]
.LBB32_339:
	v_lshrrev_b32_e32 v3, 24, v3
	s_movk_i32 s8, 0x80
	v_and_or_b32 v5, v3, s8, v4
.LBB32_340:
	s_or_b64 exec, exec, s[10:11]
.LBB32_341:
	s_or_b64 exec, exec, s[6:7]
	global_store_byte v[1:2], v5, off
.LBB32_342:
	s_mov_b64 s[6:7], -1
.LBB32_343:
	s_mov_b64 s[8:9], 0
.LBB32_344:
	s_and_b64 vcc, exec, s[8:9]
	s_cbranch_vccz .LBB32_385
; %bb.345:
	s_cmp_gt_i32 s13, 22
	s_mov_b64 s[8:9], -1
	s_cbranch_scc0 .LBB32_377
; %bb.346:
	s_cmp_lt_i32 s13, 24
	s_mov_b64 s[6:7], -1
	s_cbranch_scc1 .LBB32_366
; %bb.347:
	s_cmp_gt_i32 s13, 24
	s_cbranch_scc0 .LBB32_355
; %bb.348:
	v_cvt_f32_f16_e32 v3, v0
	s_mov_b32 s6, 0x47800000
	v_mov_b32_e32 v5, 0x80
	v_and_b32_e32 v4, 0x7fffffff, v3
	v_cmp_gt_u32_e32 vcc, s6, v4
	s_and_saveexec_b64 s[6:7], vcc
	s_cbranch_execz .LBB32_354
; %bb.349:
	s_mov_b32 s8, 0x37ffffff
	v_cmp_lt_u32_e32 vcc, s8, v4
	s_mov_b64 s[8:9], 0
                                        ; implicit-def: $vgpr4
	s_and_saveexec_b64 s[10:11], vcc
	s_xor_b64 s[10:11], exec, s[10:11]
	s_cbranch_execz .LBB32_1119
; %bb.350:
	v_bfe_u32 v4, v3, 21, 1
	s_mov_b32 s14, 0x88fffff
	v_add3_u32 v4, v3, v4, s14
	s_mov_b64 s[8:9], exec
	v_lshrrev_b32_e32 v4, 21, v4
	s_andn2_saveexec_b64 s[10:11], s[10:11]
	s_cbranch_execnz .LBB32_1120
.LBB32_351:
	s_or_b64 exec, exec, s[10:11]
	v_mov_b32_e32 v5, 0
	s_and_saveexec_b64 s[10:11], s[8:9]
.LBB32_352:
	v_lshrrev_b32_e32 v3, 24, v3
	s_movk_i32 s8, 0x80
	v_and_or_b32 v5, v3, s8, v4
.LBB32_353:
	s_or_b64 exec, exec, s[10:11]
.LBB32_354:
	s_or_b64 exec, exec, s[6:7]
	s_mov_b64 s[6:7], 0
	global_store_byte v[1:2], v5, off
.LBB32_355:
	s_and_b64 vcc, exec, s[6:7]
	s_cbranch_vccz .LBB32_365
; %bb.356:
	v_cvt_f32_f16_e32 v3, v0
	s_mov_b32 s6, 0x43f00000
                                        ; implicit-def: $vgpr4
	v_and_b32_e32 v5, 0x7fffffff, v3
	v_cmp_gt_u32_e32 vcc, s6, v5
	s_and_saveexec_b64 s[6:7], vcc
	s_xor_b64 s[6:7], exec, s[6:7]
	s_cbranch_execz .LBB32_362
; %bb.357:
	s_mov_b32 s8, 0x3c7fffff
	v_cmp_lt_u32_e32 vcc, s8, v5
                                        ; implicit-def: $vgpr4
	s_and_saveexec_b64 s[8:9], vcc
	s_xor_b64 s[8:9], exec, s[8:9]
; %bb.358:
	v_bfe_u32 v4, v3, 20, 1
	s_mov_b32 s10, 0x407ffff
	v_add3_u32 v4, v3, v4, s10
	v_lshrrev_b32_e32 v5, 20, v4
	v_and_b32_e32 v4, 0xff00000, v4
	s_mov_b32 s10, 0x7f00000
	v_mov_b32_e32 v6, 0x7e
	v_cmp_ne_u32_e32 vcc, s10, v4
	v_cndmask_b32_e32 v4, v6, v5, vcc
; %bb.359:
	s_andn2_saveexec_b64 s[8:9], s[8:9]
; %bb.360:
	s_mov_b32 s10, 0x46800000
	v_add_f32_e64 v4, |v3|, s10
; %bb.361:
	s_or_b64 exec, exec, s[8:9]
                                        ; implicit-def: $vgpr5
.LBB32_362:
	s_andn2_saveexec_b64 s[6:7], s[6:7]
; %bb.363:
	s_mov_b32 s8, 0x7f800000
	v_mov_b32_e32 v4, 0x7e
	v_mov_b32_e32 v6, 0x7f
	v_cmp_lt_u32_e32 vcc, s8, v5
	v_cndmask_b32_e32 v4, v4, v6, vcc
; %bb.364:
	s_or_b64 exec, exec, s[6:7]
	v_lshrrev_b32_e32 v3, 24, v3
	s_movk_i32 s6, 0x80
	v_and_or_b32 v3, v3, s6, v4
	global_store_byte v[1:2], v3, off
.LBB32_365:
	s_mov_b64 s[6:7], 0
.LBB32_366:
	s_andn2_b64 vcc, exec, s[6:7]
	s_cbranch_vccnz .LBB32_376
; %bb.367:
	v_cvt_f32_f16_e32 v3, v0
	s_mov_b32 s6, 0x47800000
                                        ; implicit-def: $vgpr4
	v_and_b32_e32 v5, 0x7fffffff, v3
	v_cmp_gt_u32_e32 vcc, s6, v5
	s_and_saveexec_b64 s[6:7], vcc
	s_xor_b64 s[6:7], exec, s[6:7]
	s_cbranch_execz .LBB32_373
; %bb.368:
	s_mov_b32 s8, 0x387fffff
	v_cmp_lt_u32_e32 vcc, s8, v5
                                        ; implicit-def: $vgpr4
	s_and_saveexec_b64 s[8:9], vcc
	s_xor_b64 s[8:9], exec, s[8:9]
; %bb.369:
	v_bfe_u32 v4, v3, 21, 1
	s_mov_b32 s10, 0x80fffff
	v_add3_u32 v4, v3, v4, s10
	v_lshrrev_b32_e32 v4, 21, v4
; %bb.370:
	s_andn2_saveexec_b64 s[8:9], s[8:9]
; %bb.371:
	s_mov_b32 s10, 0x43000000
	v_add_f32_e64 v4, |v3|, s10
; %bb.372:
	s_or_b64 exec, exec, s[8:9]
                                        ; implicit-def: $vgpr5
.LBB32_373:
	s_andn2_saveexec_b64 s[6:7], s[6:7]
; %bb.374:
	s_mov_b32 s8, 0x7f800000
	v_mov_b32_e32 v4, 0x7c
	v_mov_b32_e32 v6, 0x7f
	v_cmp_lt_u32_e32 vcc, s8, v5
	v_cndmask_b32_e32 v4, v4, v6, vcc
; %bb.375:
	s_or_b64 exec, exec, s[6:7]
	v_lshrrev_b32_e32 v3, 24, v3
	s_movk_i32 s6, 0x80
	v_and_or_b32 v3, v3, s6, v4
	global_store_byte v[1:2], v3, off
.LBB32_376:
	s_mov_b64 s[8:9], 0
	s_mov_b64 s[6:7], -1
.LBB32_377:
	s_andn2_b64 vcc, exec, s[8:9]
	s_cbranch_vccnz .LBB32_385
; %bb.378:
	s_cmp_gt_i32 s13, 14
	s_mov_b64 s[8:9], -1
	s_cbranch_scc0 .LBB32_382
; %bb.379:
	s_cmp_eq_u32 s13, 15
	s_mov_b64 s[4:5], -1
	s_cbranch_scc0 .LBB32_381
; %bb.380:
	v_cvt_f32_f16_e32 v3, v0
	s_movk_i32 s4, 0x7fff
	v_cmp_o_f16_e32 vcc, v0, v0
	v_mov_b32_e32 v4, 0x7fc0
	v_bfe_u32 v5, v3, 16, 1
	v_add3_u32 v3, v3, v5, s4
	v_cndmask_b32_sdwa v3, v4, v3, vcc dst_sel:DWORD dst_unused:UNUSED_PAD src0_sel:DWORD src1_sel:WORD_1
	global_store_short v[1:2], v3, off
	s_mov_b64 s[6:7], -1
	s_mov_b64 s[4:5], 0
.LBB32_381:
	s_mov_b64 s[8:9], 0
.LBB32_382:
	s_and_b64 vcc, exec, s[8:9]
	s_cbranch_vccz .LBB32_385
; %bb.383:
	s_cmp_eq_u32 s13, 11
	s_mov_b64 s[4:5], -1
	s_cbranch_scc0 .LBB32_385
; %bb.384:
	v_and_b32_e32 v3, 0x7fff7fff, v0
	v_cmp_ne_u32_e32 vcc, 0, v3
	v_cndmask_b32_e64 v3, 0, 1, vcc
	s_mov_b64 s[6:7], -1
	s_mov_b64 s[4:5], 0
	global_store_byte v[1:2], v3, off
.LBB32_385:
	s_mov_b64 s[8:9], 0
.LBB32_386:
	s_and_b64 vcc, exec, s[8:9]
	s_cbranch_vccz .LBB32_425
; %bb.387:
	s_and_b32 s8, 0xffff, s12
	s_cmp_lt_i32 s8, 5
	s_mov_b64 s[6:7], -1
	s_cbranch_scc1 .LBB32_408
; %bb.388:
	s_cmp_lt_i32 s8, 8
	s_cbranch_scc1 .LBB32_398
; %bb.389:
	s_cmp_lt_i32 s8, 9
	s_cbranch_scc1 .LBB32_395
; %bb.390:
	v_cvt_f32_f16_sdwa v4, v0 dst_sel:DWORD dst_unused:UNUSED_PAD src0_sel:WORD_1
	s_cmp_gt_i32 s8, 9
	s_cbranch_scc0 .LBB32_392
; %bb.391:
	v_cvt_f32_f16_e32 v3, v0
	v_cvt_f64_f32_e32 v[7:8], v4
	s_mov_b64 s[6:7], 0
	v_cvt_f64_f32_e32 v[5:6], v3
	global_store_dwordx4 v[1:2], v[5:8], off
.LBB32_392:
	s_andn2_b64 vcc, exec, s[6:7]
	s_cbranch_vccnz .LBB32_394
; %bb.393:
	v_cvt_f32_f16_e32 v3, v0
	global_store_dwordx2 v[1:2], v[3:4], off
.LBB32_394:
	s_mov_b64 s[6:7], 0
.LBB32_395:
	s_andn2_b64 vcc, exec, s[6:7]
	s_cbranch_vccnz .LBB32_397
; %bb.396:
	global_store_dword v[1:2], v0, off
.LBB32_397:
	s_mov_b64 s[6:7], 0
.LBB32_398:
	s_andn2_b64 vcc, exec, s[6:7]
	s_cbranch_vccnz .LBB32_407
; %bb.399:
	s_cmp_lt_i32 s8, 6
	s_mov_b64 s[6:7], -1
	s_cbranch_scc1 .LBB32_405
; %bb.400:
	s_cmp_gt_i32 s8, 6
	s_cbranch_scc0 .LBB32_402
; %bb.401:
	v_cvt_f32_f16_e32 v3, v0
	s_mov_b64 s[6:7], 0
	v_cvt_f64_f32_e32 v[3:4], v3
	global_store_dwordx2 v[1:2], v[3:4], off
.LBB32_402:
	s_andn2_b64 vcc, exec, s[6:7]
	s_cbranch_vccnz .LBB32_404
; %bb.403:
	v_cvt_f32_f16_e32 v3, v0
	global_store_dword v[1:2], v3, off
.LBB32_404:
	s_mov_b64 s[6:7], 0
.LBB32_405:
	s_andn2_b64 vcc, exec, s[6:7]
	s_cbranch_vccnz .LBB32_407
; %bb.406:
	global_store_short v[1:2], v0, off
.LBB32_407:
	s_mov_b64 s[6:7], 0
.LBB32_408:
	s_andn2_b64 vcc, exec, s[6:7]
	s_cbranch_vccnz .LBB32_424
; %bb.409:
	s_cmp_lt_i32 s8, 2
	s_mov_b64 s[6:7], -1
	s_cbranch_scc1 .LBB32_419
; %bb.410:
	s_cmp_lt_i32 s8, 3
	s_cbranch_scc1 .LBB32_416
; %bb.411:
	s_cmp_gt_i32 s8, 3
	s_cbranch_scc0 .LBB32_413
; %bb.412:
	v_cvt_f32_f16_e32 v3, v0
	s_mov_b64 s[6:7], 0
	v_cvt_i32_f32_e32 v3, v3
	v_ashrrev_i32_e32 v4, 31, v3
	global_store_dwordx2 v[1:2], v[3:4], off
.LBB32_413:
	s_andn2_b64 vcc, exec, s[6:7]
	s_cbranch_vccnz .LBB32_415
; %bb.414:
	v_cvt_f32_f16_e32 v3, v0
	v_cvt_i32_f32_e32 v3, v3
	global_store_dword v[1:2], v3, off
.LBB32_415:
	s_mov_b64 s[6:7], 0
.LBB32_416:
	s_andn2_b64 vcc, exec, s[6:7]
	s_cbranch_vccnz .LBB32_418
; %bb.417:
	v_cvt_i16_f16_e32 v3, v0
	global_store_short v[1:2], v3, off
.LBB32_418:
	s_mov_b64 s[6:7], 0
.LBB32_419:
	s_andn2_b64 vcc, exec, s[6:7]
	s_cbranch_vccnz .LBB32_424
; %bb.420:
	s_cmp_gt_i32 s8, 0
	s_mov_b64 s[6:7], -1
	s_cbranch_scc0 .LBB32_422
; %bb.421:
	v_cvt_i16_f16_e32 v3, v0
	s_mov_b64 s[6:7], 0
	global_store_byte v[1:2], v3, off
.LBB32_422:
	s_andn2_b64 vcc, exec, s[6:7]
	s_cbranch_vccnz .LBB32_424
; %bb.423:
	v_cvt_f32_f16_e32 v0, v0
	v_cvt_i32_f32_e32 v0, v0
	global_store_byte v[1:2], v0, off
.LBB32_424:
	s_mov_b64 s[6:7], -1
.LBB32_425:
	s_andn2_b64 vcc, exec, s[6:7]
	s_cbranch_vccnz .LBB32_427
; %bb.426:
	v_add_u32_e32 v23, 0x80, v23
	s_mov_b64 s[6:7], -1
	s_branch .LBB32_428
.LBB32_427:
	s_mov_b64 s[6:7], 0
                                        ; implicit-def: $vgpr23
.LBB32_428:
	s_andn2_b64 s[8:9], s[66:67], exec
	s_and_b64 s[4:5], s[4:5], exec
	s_or_b64 s[72:73], s[8:9], s[4:5]
	s_orn2_b64 s[6:7], s[6:7], exec
.LBB32_429:
	s_or_b64 exec, exec, s[70:71]
	s_mov_b64 s[4:5], 0
	s_mov_b64 s[10:11], 0
                                        ; implicit-def: $sgpr14
                                        ; implicit-def: $vgpr1_vgpr2
                                        ; implicit-def: $vgpr0
	s_and_saveexec_b64 s[70:71], s[6:7]
	s_cbranch_execz .LBB32_524
; %bb.430:
	v_cmp_gt_i32_e32 vcc, s74, v23
	s_mov_b64 s[6:7], 0
	s_mov_b64 s[8:9], s[72:73]
                                        ; implicit-def: $sgpr14
                                        ; implicit-def: $vgpr1_vgpr2
                                        ; implicit-def: $vgpr0
	s_and_saveexec_b64 s[74:75], vcc
	s_cbranch_execz .LBB32_523
; %bb.431:
	s_andn2_b64 vcc, exec, s[50:51]
	s_cbranch_vccnz .LBB32_436
; %bb.432:
	s_andn2_b64 vcc, exec, s[60:61]
	s_cbranch_vccnz .LBB32_437
; %bb.433:
	s_add_i32 s78, s78, 1
	s_cmp_eq_u32 s76, 2
	s_cbranch_scc1 .LBB32_438
; %bb.434:
	s_and_b32 s26, s78, 28
	v_mov_b32_e32 v2, 0
	s_mov_b32 s27, 0
	s_mov_b64 s[24:25], s[34:35]
	v_mov_b32_e32 v21, 0
	v_mov_b32_e32 v0, v23
.LBB32_435:                             ; =>This Inner Loop Header: Depth=1
	s_load_dwordx8 s[12:19], s[24:25], 0x4
	s_load_dwordx4 s[20:23], s[24:25], 0x24
	s_load_dwordx8 s[4:11], s[58:59], 0x0
	s_add_u32 s24, s24, 48
	s_addc_u32 s25, s25, 0
	s_waitcnt lgkmcnt(0)
	v_mul_hi_u32 v1, s13, v0
	s_add_i32 s27, s27, 4
	s_add_u32 s58, s58, 32
	s_addc_u32 s59, s59, 0
	v_add_u32_e32 v1, v0, v1
	v_lshrrev_b32_e32 v1, s14, v1
	v_mul_lo_u32 v3, v1, s12
	v_mul_hi_u32 v4, s16, v1
	s_cmp_eq_u32 s26, s27
	v_sub_u32_e32 v0, v0, v3
	v_add_u32_e32 v3, v1, v4
	v_mul_lo_u32 v4, v0, s4
	v_mul_lo_u32 v5, v0, s5
	v_lshrrev_b32_e32 v0, s17, v3
	v_mul_lo_u32 v3, v0, s15
	v_mul_hi_u32 v6, s19, v0
	v_sub_u32_e32 v1, v1, v3
	v_add_u32_e32 v3, v0, v6
	v_lshrrev_b32_e32 v3, s20, v3
	v_mul_hi_u32 v7, s22, v3
	v_mul_lo_u32 v8, v3, s18
	v_mul_lo_u32 v6, v1, s6
	;; [unrolled: 1-line block ×3, first 2 shown]
	v_sub_u32_e32 v8, v0, v8
	v_add_u32_e32 v0, v3, v7
	v_lshrrev_b32_e32 v0, s23, v0
	v_mul_lo_u32 v7, v0, s21
	v_mul_lo_u32 v9, v8, s8
	;; [unrolled: 1-line block ×3, first 2 shown]
	v_add3_u32 v4, v4, v21, v6
	v_sub_u32_e32 v3, v3, v7
	v_mul_lo_u32 v7, v3, s10
	v_mul_lo_u32 v3, v3, s11
	v_add3_u32 v1, v5, v2, v1
	v_add3_u32 v21, v9, v4, v7
	;; [unrolled: 1-line block ×3, first 2 shown]
	s_cbranch_scc0 .LBB32_435
	s_branch .LBB32_439
.LBB32_436:
	s_mov_b64 s[4:5], -1
                                        ; implicit-def: $vgpr21
                                        ; implicit-def: $vgpr2
	s_branch .LBB32_443
.LBB32_437:
	v_mov_b32_e32 v21, 0
	v_mov_b32_e32 v2, 0
	s_branch .LBB32_442
.LBB32_438:
	s_mov_b32 s26, 0
	v_mov_b32_e32 v21, 0
	v_mov_b32_e32 v2, 0
	v_mov_b32_e32 v0, v23
.LBB32_439:
	s_and_b32 s8, s78, 3
	s_cmp_eq_u32 s8, 0
	s_cbranch_scc1 .LBB32_442
; %bb.440:
	s_lshl_b32 s4, s26, 3
	s_add_u32 s4, s34, s4
	s_addc_u32 s5, s35, 0
	s_add_u32 s4, s4, 0xc4
	s_addc_u32 s5, s5, 0
	s_mul_i32 s6, s26, 12
	s_add_u32 s6, s34, s6
	s_addc_u32 s7, s35, 0
.LBB32_441:                             ; =>This Inner Loop Header: Depth=1
	s_load_dwordx2 s[10:11], s[6:7], 0x4
	s_load_dword s9, s[6:7], 0xc
	s_load_dwordx2 s[12:13], s[4:5], 0x0
	s_add_u32 s6, s6, 12
	s_addc_u32 s7, s7, 0
	s_waitcnt lgkmcnt(0)
	v_mul_hi_u32 v1, s11, v0
	s_add_u32 s4, s4, 8
	s_addc_u32 s5, s5, 0
	s_add_i32 s8, s8, -1
	v_add_u32_e32 v1, v0, v1
	v_lshrrev_b32_e32 v1, s9, v1
	v_mul_lo_u32 v3, v1, s10
	s_cmp_lg_u32 s8, 0
	v_sub_u32_e32 v0, v0, v3
	v_mad_u64_u32 v[21:22], s[10:11], v0, s12, v[21:22]
	v_mad_u64_u32 v[2:3], s[10:11], v0, s13, v[2:3]
	v_mov_b32_e32 v0, v1
	s_cbranch_scc1 .LBB32_441
.LBB32_442:
	s_mov_b64 s[4:5], 0
.LBB32_443:
	s_andn2_b64 vcc, exec, s[4:5]
	s_cbranch_vccnz .LBB32_446
; %bb.444:
	s_waitcnt lgkmcnt(0)
	v_mul_hi_u32 v0, s45, v23
	s_andn2_b64 vcc, exec, s[56:57]
	v_add_u32_e32 v0, v23, v0
	v_lshrrev_b32_e32 v0, s46, v0
	v_mul_lo_u32 v1, v0, s44
	v_sub_u32_e32 v1, v23, v1
	v_mul_lo_u32 v21, v1, s40
	v_mul_lo_u32 v2, v1, s41
	s_cbranch_vccnz .LBB32_446
; %bb.445:
	v_mul_hi_u32 v1, s54, v0
	v_add_u32_e32 v1, v0, v1
	v_lshrrev_b32_e32 v1, s55, v1
	v_mul_lo_u32 v1, v1, s47
	v_sub_u32_e32 v0, v0, v1
	v_mad_u64_u32 v[21:22], s[4:5], v0, s42, v[21:22]
	v_mad_u64_u32 v[2:3], s[4:5], v0, s43, v[2:3]
.LBB32_446:
	s_getpc_b64 s[4:5]
	s_add_u32 s4, s4, _ZN2at6native6invokeIZZZNS0_16asin_kernel_cudaERNS_18TensorIteratorBaseEENKUlvE_clEvENKUlvE1_clEvEUlN3c107complexINS6_4HalfEEEE_j15function_traitsISA_EEENT1_11result_typeERKT_PrKPcPKT0_PKNS6_10ScalarTypeEi@rel32@lo+4
	s_addc_u32 s5, s5, _ZN2at6native6invokeIZZZNS0_16asin_kernel_cudaERNS_18TensorIteratorBaseEENKUlvE_clEvENKUlvE1_clEvEUlN3c107complexINS6_4HalfEEEE_j15function_traitsISA_EEENT1_11result_typeERKT_PrKPcPKT0_PKNS6_10ScalarTypeEi@rel32@hi+12
	s_waitcnt lgkmcnt(0)
	v_mov_b32_e32 v0, s38
	v_mov_b32_e32 v1, s39
	;; [unrolled: 1-line block ×3, first 2 shown]
	s_swappc_b64 s[30:31], s[4:5]
	v_mov_b32_e32 v2, s37
	s_and_b32 s14, s77, 0xff
	v_add_co_u32_e32 v1, vcc, s36, v21
	s_cmp_lt_i32 s14, 11
	v_addc_co_u32_e32 v2, vcc, 0, v2, vcc
	s_cbranch_scc1 .LBB32_463
; %bb.447:
	s_and_b32 s15, 0xffff, s14
	s_mov_b64 s[8:9], -1
	s_cmp_gt_i32 s15, 25
	s_mov_b64 s[4:5], s[72:73]
	s_cbranch_scc0 .LBB32_481
; %bb.448:
	s_mov_b64 s[6:7], -1
	s_cmp_gt_i32 s15, 28
	s_mov_b64 s[4:5], s[72:73]
	s_cbranch_scc0 .LBB32_465
; %bb.449:
	s_cmp_gt_i32 s15, 43
	s_mov_b64 s[4:5], s[72:73]
	s_cbranch_scc0 .LBB32_460
; %bb.450:
	;; [unrolled: 4-line block ×3, first 2 shown]
	s_cmp_eq_u32 s15, 46
	s_mov_b64 s[4:5], -1
	s_cbranch_scc0 .LBB32_453
; %bb.452:
	v_cvt_f32_f16_sdwa v4, v0 dst_sel:DWORD dst_unused:UNUSED_PAD src0_sel:WORD_1
	v_cvt_f32_f16_e32 v3, v0
	s_movk_i32 s4, 0x7fff
	v_cmp_o_f16_sdwa vcc, v0, v0 src0_sel:WORD_1 src1_sel:WORD_1
	v_bfe_u32 v6, v4, 16, 1
	v_bfe_u32 v5, v3, 16, 1
	v_add3_u32 v4, v4, v6, s4
	v_add3_u32 v3, v3, v5, s4
	v_and_b32_e32 v4, 0xffff0000, v4
	v_mov_b32_e32 v5, 0x7fc00000
	v_cndmask_b32_e32 v4, v5, v4, vcc
	v_cmp_o_f16_e32 vcc, v0, v0
	v_mov_b32_e32 v5, 0x7fc0
	v_cndmask_b32_sdwa v3, v5, v3, vcc dst_sel:DWORD dst_unused:UNUSED_PAD src0_sel:DWORD src1_sel:WORD_1
	v_or_b32_e32 v3, v4, v3
	global_store_dword v[1:2], v3, off
	s_mov_b64 s[4:5], 0
.LBB32_453:
	s_mov_b64 s[6:7], 0
.LBB32_454:
	s_and_b64 vcc, exec, s[6:7]
	s_cbranch_vccz .LBB32_459
; %bb.455:
	s_cmp_eq_u32 s15, 44
	s_mov_b64 s[4:5], -1
	s_cbranch_scc0 .LBB32_459
; %bb.456:
	v_cvt_f32_f16_e32 v3, v0
	s_movk_i32 s4, 0xff
	v_mov_b32_e32 v5, 0xff
	v_bfe_u32 v4, v3, 23, 8
	v_cmp_ne_u32_e32 vcc, s4, v4
	s_and_saveexec_b64 s[6:7], vcc
; %bb.457:
	s_mov_b32 s4, 0x3fffff
	v_lshrrev_b32_e32 v5, 23, v3
	v_and_b32_e32 v6, 0x400000, v3
	v_and_or_b32 v3, v3, s4, v4
	v_cmp_ne_u32_e32 vcc, 0, v6
	v_cmp_ne_u32_e64 s[4:5], 0, v3
	s_and_b64 s[4:5], vcc, s[4:5]
	v_cndmask_b32_e64 v3, 0, 1, s[4:5]
	v_add_u32_e32 v5, v5, v3
; %bb.458:
	s_or_b64 exec, exec, s[6:7]
	s_mov_b64 s[4:5], 0
	global_store_byte v[1:2], v5, off
.LBB32_459:
	s_mov_b64 s[6:7], 0
.LBB32_460:
	s_and_b64 vcc, exec, s[6:7]
	s_cbranch_vccz .LBB32_464
; %bb.461:
	s_cmp_eq_u32 s15, 29
	s_mov_b64 s[4:5], -1
	s_cbranch_scc0 .LBB32_464
; %bb.462:
	v_cvt_f32_f16_e32 v3, v0
	v_mov_b32_e32 v4, 0
	s_mov_b64 s[4:5], 0
	s_mov_b64 s[6:7], 0
	v_cvt_u32_f32_e32 v3, v3
	global_store_dwordx2 v[1:2], v[3:4], off
	s_branch .LBB32_465
.LBB32_463:
	s_mov_b64 s[8:9], 0
	s_mov_b64 s[6:7], -1
	s_mov_b64 s[4:5], s[72:73]
	s_branch .LBB32_522
.LBB32_464:
	s_mov_b64 s[6:7], 0
.LBB32_465:
	s_and_b64 vcc, exec, s[6:7]
	s_cbranch_vccz .LBB32_480
; %bb.466:
	s_cmp_lt_i32 s15, 27
	s_mov_b64 s[6:7], -1
	s_cbranch_scc1 .LBB32_472
; %bb.467:
	s_cmp_gt_i32 s15, 27
	s_cbranch_scc0 .LBB32_469
; %bb.468:
	v_cvt_f32_f16_e32 v3, v0
	s_mov_b64 s[6:7], 0
	v_cvt_u32_f32_e32 v3, v3
	global_store_dword v[1:2], v3, off
.LBB32_469:
	s_andn2_b64 vcc, exec, s[6:7]
	s_cbranch_vccnz .LBB32_471
; %bb.470:
	v_cvt_u16_f16_e32 v3, v0
	global_store_short v[1:2], v3, off
.LBB32_471:
	s_mov_b64 s[6:7], 0
.LBB32_472:
	s_andn2_b64 vcc, exec, s[6:7]
	s_cbranch_vccnz .LBB32_480
; %bb.473:
	v_cvt_f32_f16_e32 v3, v0
	s_mov_b32 s6, 0x43800000
	v_mov_b32_e32 v5, 0x80
	v_and_b32_e32 v4, 0x7fffffff, v3
	v_cmp_gt_u32_e32 vcc, s6, v4
	s_and_saveexec_b64 s[6:7], vcc
	s_cbranch_execz .LBB32_479
; %bb.474:
	s_mov_b32 s8, 0x3bffffff
	v_cmp_lt_u32_e32 vcc, s8, v4
	s_mov_b64 s[8:9], 0
                                        ; implicit-def: $vgpr4
	s_and_saveexec_b64 s[10:11], vcc
	s_xor_b64 s[10:11], exec, s[10:11]
	s_cbranch_execz .LBB32_1121
; %bb.475:
	v_bfe_u32 v4, v3, 20, 1
	s_mov_b32 s12, 0x487ffff
	v_add3_u32 v4, v3, v4, s12
	s_mov_b64 s[8:9], exec
	v_lshrrev_b32_e32 v4, 20, v4
	s_andn2_saveexec_b64 s[10:11], s[10:11]
	s_cbranch_execnz .LBB32_1122
.LBB32_476:
	s_or_b64 exec, exec, s[10:11]
	v_mov_b32_e32 v5, 0
	s_and_saveexec_b64 s[10:11], s[8:9]
.LBB32_477:
	v_lshrrev_b32_e32 v3, 24, v3
	s_movk_i32 s8, 0x80
	v_and_or_b32 v5, v3, s8, v4
.LBB32_478:
	s_or_b64 exec, exec, s[10:11]
.LBB32_479:
	s_or_b64 exec, exec, s[6:7]
	global_store_byte v[1:2], v5, off
.LBB32_480:
	s_mov_b64 s[8:9], 0
.LBB32_481:
	s_mov_b64 s[6:7], 0
	s_and_b64 vcc, exec, s[8:9]
	s_cbranch_vccz .LBB32_521
; %bb.482:
	s_cmp_gt_i32 s15, 22
	s_mov_b64 s[8:9], -1
	s_cbranch_scc0 .LBB32_514
; %bb.483:
	s_cmp_lt_i32 s15, 24
	s_cbranch_scc1 .LBB32_503
; %bb.484:
	s_cmp_gt_i32 s15, 24
	s_cbranch_scc0 .LBB32_492
; %bb.485:
	v_cvt_f32_f16_e32 v3, v0
	s_mov_b32 s8, 0x47800000
	v_mov_b32_e32 v5, 0x80
	v_and_b32_e32 v4, 0x7fffffff, v3
	v_cmp_gt_u32_e32 vcc, s8, v4
	s_and_saveexec_b64 s[8:9], vcc
	s_cbranch_execz .LBB32_491
; %bb.486:
	s_mov_b32 s10, 0x37ffffff
	v_cmp_lt_u32_e32 vcc, s10, v4
	s_mov_b64 s[10:11], 0
                                        ; implicit-def: $vgpr4
	s_and_saveexec_b64 s[12:13], vcc
	s_xor_b64 s[12:13], exec, s[12:13]
	s_cbranch_execz .LBB32_1125
; %bb.487:
	v_bfe_u32 v4, v3, 21, 1
	s_mov_b32 s16, 0x88fffff
	v_add3_u32 v4, v3, v4, s16
	s_mov_b64 s[10:11], exec
	v_lshrrev_b32_e32 v4, 21, v4
	s_andn2_saveexec_b64 s[12:13], s[12:13]
	s_cbranch_execnz .LBB32_1126
.LBB32_488:
	s_or_b64 exec, exec, s[12:13]
	v_mov_b32_e32 v5, 0
	s_and_saveexec_b64 s[12:13], s[10:11]
.LBB32_489:
	v_lshrrev_b32_e32 v3, 24, v3
	s_movk_i32 s10, 0x80
	v_and_or_b32 v5, v3, s10, v4
.LBB32_490:
	s_or_b64 exec, exec, s[12:13]
.LBB32_491:
	s_or_b64 exec, exec, s[8:9]
	s_mov_b64 s[8:9], 0
	global_store_byte v[1:2], v5, off
.LBB32_492:
	s_and_b64 vcc, exec, s[8:9]
	s_cbranch_vccz .LBB32_502
; %bb.493:
	v_cvt_f32_f16_e32 v3, v0
	s_mov_b32 s8, 0x43f00000
                                        ; implicit-def: $vgpr4
	v_and_b32_e32 v5, 0x7fffffff, v3
	v_cmp_gt_u32_e32 vcc, s8, v5
	s_and_saveexec_b64 s[8:9], vcc
	s_xor_b64 s[8:9], exec, s[8:9]
	s_cbranch_execz .LBB32_499
; %bb.494:
	s_mov_b32 s10, 0x3c7fffff
	v_cmp_lt_u32_e32 vcc, s10, v5
                                        ; implicit-def: $vgpr4
	s_and_saveexec_b64 s[10:11], vcc
	s_xor_b64 s[10:11], exec, s[10:11]
; %bb.495:
	v_bfe_u32 v4, v3, 20, 1
	s_mov_b32 s12, 0x407ffff
	v_add3_u32 v4, v3, v4, s12
	v_lshrrev_b32_e32 v5, 20, v4
	v_and_b32_e32 v4, 0xff00000, v4
	s_mov_b32 s12, 0x7f00000
	v_mov_b32_e32 v6, 0x7e
	v_cmp_ne_u32_e32 vcc, s12, v4
	v_cndmask_b32_e32 v4, v6, v5, vcc
; %bb.496:
	s_andn2_saveexec_b64 s[10:11], s[10:11]
; %bb.497:
	s_mov_b32 s12, 0x46800000
	v_add_f32_e64 v4, |v3|, s12
; %bb.498:
	s_or_b64 exec, exec, s[10:11]
                                        ; implicit-def: $vgpr5
.LBB32_499:
	s_andn2_saveexec_b64 s[8:9], s[8:9]
; %bb.500:
	s_mov_b32 s10, 0x7f800000
	v_mov_b32_e32 v4, 0x7e
	v_mov_b32_e32 v6, 0x7f
	v_cmp_lt_u32_e32 vcc, s10, v5
	v_cndmask_b32_e32 v4, v4, v6, vcc
; %bb.501:
	s_or_b64 exec, exec, s[8:9]
	v_lshrrev_b32_e32 v3, 24, v3
	s_movk_i32 s8, 0x80
	v_and_or_b32 v3, v3, s8, v4
	global_store_byte v[1:2], v3, off
.LBB32_502:
	s_mov_b64 s[8:9], 0
.LBB32_503:
	s_andn2_b64 vcc, exec, s[8:9]
	s_cbranch_vccnz .LBB32_513
; %bb.504:
	v_cvt_f32_f16_e32 v3, v0
	s_mov_b32 s8, 0x47800000
                                        ; implicit-def: $vgpr4
	v_and_b32_e32 v5, 0x7fffffff, v3
	v_cmp_gt_u32_e32 vcc, s8, v5
	s_and_saveexec_b64 s[8:9], vcc
	s_xor_b64 s[8:9], exec, s[8:9]
	s_cbranch_execz .LBB32_510
; %bb.505:
	s_mov_b32 s10, 0x387fffff
	v_cmp_lt_u32_e32 vcc, s10, v5
                                        ; implicit-def: $vgpr4
	s_and_saveexec_b64 s[10:11], vcc
	s_xor_b64 s[10:11], exec, s[10:11]
; %bb.506:
	v_bfe_u32 v4, v3, 21, 1
	s_mov_b32 s12, 0x80fffff
	v_add3_u32 v4, v3, v4, s12
	v_lshrrev_b32_e32 v4, 21, v4
; %bb.507:
	s_andn2_saveexec_b64 s[10:11], s[10:11]
; %bb.508:
	s_mov_b32 s12, 0x43000000
	v_add_f32_e64 v4, |v3|, s12
; %bb.509:
	s_or_b64 exec, exec, s[10:11]
                                        ; implicit-def: $vgpr5
.LBB32_510:
	s_andn2_saveexec_b64 s[8:9], s[8:9]
; %bb.511:
	s_mov_b32 s10, 0x7f800000
	v_mov_b32_e32 v4, 0x7c
	v_mov_b32_e32 v6, 0x7f
	v_cmp_lt_u32_e32 vcc, s10, v5
	v_cndmask_b32_e32 v4, v4, v6, vcc
; %bb.512:
	s_or_b64 exec, exec, s[8:9]
	v_lshrrev_b32_e32 v3, 24, v3
	s_movk_i32 s8, 0x80
	v_and_or_b32 v3, v3, s8, v4
	global_store_byte v[1:2], v3, off
.LBB32_513:
	s_mov_b64 s[8:9], 0
.LBB32_514:
	s_andn2_b64 vcc, exec, s[8:9]
	s_mov_b64 s[8:9], 0
	s_cbranch_vccnz .LBB32_522
; %bb.515:
	s_cmp_gt_i32 s15, 14
	s_mov_b64 s[10:11], -1
	s_cbranch_scc0 .LBB32_519
; %bb.516:
	s_cmp_eq_u32 s15, 15
	s_mov_b64 s[4:5], -1
	s_cbranch_scc0 .LBB32_518
; %bb.517:
	v_cvt_f32_f16_e32 v3, v0
	s_movk_i32 s4, 0x7fff
	v_cmp_o_f16_e32 vcc, v0, v0
	v_mov_b32_e32 v4, 0x7fc0
	v_bfe_u32 v5, v3, 16, 1
	v_add3_u32 v3, v3, v5, s4
	v_cndmask_b32_sdwa v3, v4, v3, vcc dst_sel:DWORD dst_unused:UNUSED_PAD src0_sel:DWORD src1_sel:WORD_1
	global_store_short v[1:2], v3, off
	s_mov_b64 s[4:5], 0
.LBB32_518:
	s_mov_b64 s[10:11], 0
.LBB32_519:
	s_and_b64 vcc, exec, s[10:11]
	s_cbranch_vccz .LBB32_522
; %bb.520:
	s_cmp_lg_u32 s15, 11
	s_cselect_b64 s[10:11], -1, 0
	s_andn2_b64 s[4:5], s[4:5], exec
	s_and_b64 s[10:11], s[10:11], exec
	s_mov_b64 s[8:9], -1
	s_or_b64 s[4:5], s[4:5], s[10:11]
	s_branch .LBB32_522
.LBB32_521:
	s_mov_b64 s[8:9], 0
.LBB32_522:
	s_and_b64 s[10:11], s[6:7], exec
	s_and_b64 s[6:7], s[8:9], exec
	s_andn2_b64 s[8:9], s[72:73], exec
	s_and_b64 s[4:5], s[4:5], exec
	s_or_b64 s[8:9], s[8:9], s[4:5]
.LBB32_523:
	s_or_b64 exec, exec, s[74:75]
	s_and_b64 s[4:5], s[6:7], exec
	s_andn2_b64 s[6:7], s[72:73], exec
	s_and_b64 s[8:9], s[8:9], exec
	s_and_b64 s[10:11], s[10:11], exec
	s_or_b64 s[72:73], s[6:7], s[8:9]
.LBB32_524:
	s_or_b64 exec, exec, s[70:71]
	s_and_b64 s[6:7], s[10:11], exec
	s_andn2_b64 s[8:9], s[66:67], exec
	s_and_b64 s[10:11], s[72:73], exec
	s_and_b64 s[4:5], s[4:5], exec
	s_or_b64 s[66:67], s[8:9], s[10:11]
.LBB32_525:
	s_or_b64 exec, exec, s[68:69]
	s_and_b64 s[68:69], s[4:5], exec
	s_andn2_b64 s[4:5], s[62:63], exec
	s_and_b64 s[8:9], s[66:67], exec
	s_and_b64 s[6:7], s[6:7], exec
	s_or_b64 s[62:63], s[4:5], s[8:9]
	s_or_b64 exec, exec, s[64:65]
	s_mov_b64 s[4:5], 0
	s_and_saveexec_b64 s[8:9], s[62:63]
	s_cbranch_execz .LBB32_146
.LBB32_526:
	s_mov_b64 s[4:5], exec
	s_andn2_b64 s[68:69], s[68:69], exec
	s_trap 2
	s_or_b64 exec, exec, s[8:9]
	s_and_saveexec_b64 s[8:9], s[68:69]
	s_xor_b64 s[8:9], exec, s[8:9]
	s_cbranch_execnz .LBB32_147
.LBB32_527:
	s_or_b64 exec, exec, s[8:9]
	s_and_saveexec_b64 s[8:9], s[6:7]
	s_xor_b64 s[6:7], exec, s[8:9]
	s_cbranch_execz .LBB32_565
.LBB32_528:
	s_sext_i32_i16 s10, s14
	s_cmp_lt_i32 s10, 5
	s_mov_b64 s[8:9], -1
	s_cbranch_scc1 .LBB32_549
; %bb.529:
	s_cmp_lt_i32 s10, 8
	s_cbranch_scc1 .LBB32_539
; %bb.530:
	s_cmp_lt_i32 s10, 9
	s_cbranch_scc1 .LBB32_536
; %bb.531:
	s_cmp_gt_i32 s10, 9
	s_cbranch_scc0 .LBB32_533
; %bb.532:
	v_cvt_f32_f16_e32 v3, v0
	v_cvt_f32_f16_sdwa v5, v0 dst_sel:DWORD dst_unused:UNUSED_PAD src0_sel:WORD_1
	s_mov_b64 s[8:9], 0
	v_cvt_f64_f32_e32 v[3:4], v3
	v_cvt_f64_f32_e32 v[5:6], v5
	global_store_dwordx4 v[1:2], v[3:6], off
.LBB32_533:
	s_andn2_b64 vcc, exec, s[8:9]
	s_cbranch_vccnz .LBB32_535
; %bb.534:
	v_cvt_f32_f16_e32 v3, v0
	v_cvt_f32_f16_sdwa v4, v0 dst_sel:DWORD dst_unused:UNUSED_PAD src0_sel:WORD_1
	global_store_dwordx2 v[1:2], v[3:4], off
.LBB32_535:
	s_mov_b64 s[8:9], 0
.LBB32_536:
	s_andn2_b64 vcc, exec, s[8:9]
	s_cbranch_vccnz .LBB32_538
; %bb.537:
	global_store_dword v[1:2], v0, off
.LBB32_538:
	s_mov_b64 s[8:9], 0
.LBB32_539:
	s_andn2_b64 vcc, exec, s[8:9]
	s_cbranch_vccnz .LBB32_548
; %bb.540:
	s_sext_i32_i16 s10, s14
	s_cmp_lt_i32 s10, 6
	s_mov_b64 s[8:9], -1
	s_cbranch_scc1 .LBB32_546
; %bb.541:
	s_cmp_gt_i32 s10, 6
	s_cbranch_scc0 .LBB32_543
; %bb.542:
	v_cvt_f32_f16_e32 v3, v0
	s_mov_b64 s[8:9], 0
	v_cvt_f64_f32_e32 v[3:4], v3
	global_store_dwordx2 v[1:2], v[3:4], off
.LBB32_543:
	s_andn2_b64 vcc, exec, s[8:9]
	s_cbranch_vccnz .LBB32_545
; %bb.544:
	v_cvt_f32_f16_e32 v3, v0
	global_store_dword v[1:2], v3, off
.LBB32_545:
	s_mov_b64 s[8:9], 0
.LBB32_546:
	s_andn2_b64 vcc, exec, s[8:9]
	s_cbranch_vccnz .LBB32_548
; %bb.547:
	global_store_short v[1:2], v0, off
.LBB32_548:
	s_mov_b64 s[8:9], 0
.LBB32_549:
	s_andn2_b64 vcc, exec, s[8:9]
	s_cbranch_vccnz .LBB32_565
; %bb.550:
	s_sext_i32_i16 s10, s14
	s_cmp_lt_i32 s10, 2
	s_mov_b64 s[8:9], -1
	s_cbranch_scc1 .LBB32_560
; %bb.551:
	s_cmp_lt_i32 s10, 3
	s_cbranch_scc1 .LBB32_557
; %bb.552:
	s_cmp_gt_i32 s10, 3
	s_cbranch_scc0 .LBB32_554
; %bb.553:
	v_cvt_f32_f16_e32 v3, v0
	s_mov_b64 s[8:9], 0
	v_cvt_i32_f32_e32 v3, v3
	v_ashrrev_i32_e32 v4, 31, v3
	global_store_dwordx2 v[1:2], v[3:4], off
.LBB32_554:
	s_andn2_b64 vcc, exec, s[8:9]
	s_cbranch_vccnz .LBB32_556
; %bb.555:
	v_cvt_f32_f16_e32 v3, v0
	v_cvt_i32_f32_e32 v3, v3
	global_store_dword v[1:2], v3, off
.LBB32_556:
	s_mov_b64 s[8:9], 0
.LBB32_557:
	s_andn2_b64 vcc, exec, s[8:9]
	s_cbranch_vccnz .LBB32_559
; %bb.558:
	v_cvt_i16_f16_e32 v3, v0
	global_store_short v[1:2], v3, off
.LBB32_559:
	s_mov_b64 s[8:9], 0
.LBB32_560:
	s_andn2_b64 vcc, exec, s[8:9]
	s_cbranch_vccnz .LBB32_565
; %bb.561:
	s_sext_i32_i16 s8, s14
	s_cmp_gt_i32 s8, 0
	s_mov_b64 s[8:9], -1
	s_cbranch_scc0 .LBB32_563
; %bb.562:
	v_cvt_i16_f16_e32 v3, v0
	s_mov_b64 s[8:9], 0
	global_store_byte v[1:2], v3, off
.LBB32_563:
	s_andn2_b64 vcc, exec, s[8:9]
	s_cbranch_vccnz .LBB32_565
; %bb.564:
	v_cvt_f32_f16_e32 v0, v0
	v_cvt_i32_f32_e32 v0, v0
	global_store_byte v[1:2], v0, off
.LBB32_565:
	s_or_b64 exec, exec, s[6:7]
	s_waitcnt lgkmcnt(0)
	s_and_b64 s[40:41], s[4:5], exec
                                        ; implicit-def: $vgpr4
                                        ; implicit-def: $vgpr23
.LBB32_566:
	s_or_saveexec_b64 s[42:43], s[52:53]
	s_mov_b64 s[4:5], 0
                                        ; implicit-def: $sgpr16
                                        ; implicit-def: $vgpr1_vgpr2
                                        ; implicit-def: $vgpr0
	s_xor_b64 exec, exec, s[42:43]
	s_cbranch_execz .LBB32_1055
; %bb.567:
	v_cndmask_b32_e64 v0, 0, 1, s[50:51]
	v_cmp_ne_u32_e64 s[4:5], 1, v0
	s_andn2_b64 vcc, exec, s[50:51]
	s_cbranch_vccnz .LBB32_573
; %bb.568:
	s_cmp_lg_u32 s33, 0
	s_mov_b32 s36, 0
	s_cbranch_scc0 .LBB32_574
; %bb.569:
	s_min_u32 s37, s76, 15
	s_add_i32 s37, s37, 1
	s_cmp_eq_u32 s76, 2
	s_cbranch_scc1 .LBB32_575
; %bb.570:
	s_and_b32 s36, s37, 28
	s_add_u32 s6, s34, 0xc4
	s_addc_u32 s7, s35, 0
	v_mov_b32_e32 v2, 0
	s_mov_b32 s38, 0
	s_mov_b64 s[30:31], s[34:35]
	v_mov_b32_e32 v31, 0
	v_mov_b32_e32 v0, v23
.LBB32_571:                             ; =>This Inner Loop Header: Depth=1
	s_load_dwordx8 s[16:23], s[30:31], 0x4
	s_load_dwordx4 s[24:27], s[30:31], 0x24
	s_load_dwordx8 s[8:15], s[6:7], 0x0
	s_add_u32 s30, s30, 48
	s_addc_u32 s31, s31, 0
	s_waitcnt lgkmcnt(0)
	v_mul_hi_u32 v1, s17, v0
	s_add_i32 s38, s38, 4
	s_add_u32 s6, s6, 32
	s_addc_u32 s7, s7, 0
	v_add_u32_e32 v1, v0, v1
	v_lshrrev_b32_e32 v1, s18, v1
	v_mul_lo_u32 v3, v1, s16
	v_mul_hi_u32 v5, s20, v1
	s_cmp_lg_u32 s36, s38
	v_sub_u32_e32 v0, v0, v3
	v_add_u32_e32 v3, v1, v5
	v_mul_lo_u32 v5, v0, s8
	v_mul_lo_u32 v6, v0, s9
	v_lshrrev_b32_e32 v0, s21, v3
	v_mul_lo_u32 v3, v0, s19
	v_mul_hi_u32 v7, s23, v0
	v_sub_u32_e32 v1, v1, v3
	v_add_u32_e32 v3, v0, v7
	v_lshrrev_b32_e32 v3, s24, v3
	v_mul_hi_u32 v8, s26, v3
	v_mul_lo_u32 v9, v3, s22
	v_mul_lo_u32 v7, v1, s10
	;; [unrolled: 1-line block ×3, first 2 shown]
	v_sub_u32_e32 v9, v0, v9
	v_add_u32_e32 v0, v3, v8
	v_lshrrev_b32_e32 v0, s27, v0
	v_mul_lo_u32 v8, v0, s25
	v_mul_lo_u32 v10, v9, s12
	;; [unrolled: 1-line block ×3, first 2 shown]
	v_add3_u32 v5, v5, v31, v7
	v_sub_u32_e32 v3, v3, v8
	v_mul_lo_u32 v8, v3, s14
	v_mul_lo_u32 v3, v3, s15
	v_add3_u32 v1, v6, v2, v1
	v_add3_u32 v31, v10, v5, v8
	;; [unrolled: 1-line block ×3, first 2 shown]
	s_cbranch_scc1 .LBB32_571
; %bb.572:
	s_and_b32 s10, s37, 3
	s_cmp_eq_u32 s10, 0
	s_cbranch_scc0 .LBB32_576
	s_branch .LBB32_578
.LBB32_573:
                                        ; implicit-def: $vgpr31
                                        ; implicit-def: $vgpr2
	s_branch .LBB32_579
.LBB32_574:
	v_mov_b32_e32 v31, 0
	v_mov_b32_e32 v2, 0
	s_branch .LBB32_578
.LBB32_575:
	v_mov_b32_e32 v31, 0
	v_mov_b32_e32 v2, 0
	;; [unrolled: 1-line block ×3, first 2 shown]
	s_and_b32 s10, s37, 3
	s_cmp_eq_u32 s10, 0
	s_cbranch_scc1 .LBB32_578
.LBB32_576:
	s_lshl_b32 s6, s36, 3
	s_add_u32 s6, s34, s6
	s_addc_u32 s7, s35, 0
	s_add_u32 s6, s6, 0xc4
	s_addc_u32 s7, s7, 0
	s_mul_i32 s8, s36, 12
	s_add_u32 s8, s34, s8
	s_addc_u32 s9, s35, 0
.LBB32_577:                             ; =>This Inner Loop Header: Depth=1
	s_load_dwordx2 s[12:13], s[8:9], 0x4
	s_load_dword s11, s[8:9], 0xc
	s_load_dwordx2 s[14:15], s[6:7], 0x0
	s_add_u32 s8, s8, 12
	s_addc_u32 s9, s9, 0
	s_waitcnt lgkmcnt(0)
	v_mul_hi_u32 v1, s13, v0
	s_add_u32 s6, s6, 8
	s_addc_u32 s7, s7, 0
	s_add_i32 s10, s10, -1
	v_add_u32_e32 v1, v0, v1
	v_lshrrev_b32_e32 v1, s11, v1
	v_mul_lo_u32 v3, v1, s12
	s_cmp_lg_u32 s10, 0
	v_sub_u32_e32 v0, v0, v3
	v_mad_u64_u32 v[31:32], s[12:13], v0, s14, v[31:32]
	v_mad_u64_u32 v[2:3], s[12:13], v0, s15, v[2:3]
	v_mov_b32_e32 v0, v1
	s_cbranch_scc1 .LBB32_577
.LBB32_578:
	s_cbranch_execnz .LBB32_581
.LBB32_579:
	s_load_dwordx4 s[8:11], s[34:35], 0x4
	s_load_dwordx2 s[6:7], s[34:35], 0xc4
	s_cmp_lt_u32 s33, 2
	s_waitcnt lgkmcnt(0)
	v_mul_hi_u32 v0, s9, v23
	v_add_u32_e32 v0, v23, v0
	v_lshrrev_b32_e32 v0, s10, v0
	v_mul_lo_u32 v1, v0, s8
	v_sub_u32_e32 v1, v23, v1
	v_mul_lo_u32 v31, v1, s6
	v_mul_lo_u32 v2, v1, s7
	s_cbranch_scc1 .LBB32_581
; %bb.580:
	s_load_dwordx4 s[8:11], s[34:35], 0x10
	s_load_dwordx2 s[6:7], s[34:35], 0xcc
	s_waitcnt lgkmcnt(0)
	v_mul_hi_u32 v1, s9, v0
	v_add_u32_e32 v1, v0, v1
	v_lshrrev_b32_e32 v1, s10, v1
	v_mul_lo_u32 v1, v1, s8
	v_sub_u32_e32 v0, v0, v1
	v_mad_u64_u32 v[31:32], s[8:9], v0, s6, v[31:32]
	v_mad_u64_u32 v[2:3], s[6:7], v0, s7, v[2:3]
.LBB32_581:
	s_and_b64 vcc, exec, s[4:5]
	v_add_u32_e32 v0, 0x80, v23
	s_cbranch_vccnz .LBB32_587
; %bb.582:
	s_cmp_lg_u32 s33, 0
	s_mov_b32 s36, 0
	s_cbranch_scc0 .LBB32_588
; %bb.583:
	s_min_u32 s37, s76, 15
	s_add_i32 s37, s37, 1
	s_cmp_eq_u32 s76, 2
	s_cbranch_scc1 .LBB32_589
; %bb.584:
	s_and_b32 s36, s37, 28
	s_add_u32 s6, s34, 0xc4
	s_addc_u32 s7, s35, 0
	v_mov_b32_e32 v20, 0
	s_mov_b32 s38, 0
	s_mov_b64 s[30:31], s[34:35]
	v_mov_b32_e32 v29, 0
	v_mov_b32_e32 v1, v0
.LBB32_585:                             ; =>This Inner Loop Header: Depth=1
	s_load_dwordx8 s[16:23], s[30:31], 0x4
	s_load_dwordx4 s[24:27], s[30:31], 0x24
	s_load_dwordx8 s[8:15], s[6:7], 0x0
	s_add_u32 s30, s30, 48
	s_addc_u32 s31, s31, 0
	s_waitcnt lgkmcnt(0)
	v_mul_hi_u32 v3, s17, v1
	s_add_i32 s38, s38, 4
	s_add_u32 s6, s6, 32
	s_addc_u32 s7, s7, 0
	v_add_u32_e32 v3, v1, v3
	v_lshrrev_b32_e32 v3, s18, v3
	v_mul_lo_u32 v5, v3, s16
	v_mul_hi_u32 v6, s20, v3
	s_cmp_lg_u32 s36, s38
	v_sub_u32_e32 v1, v1, v5
	v_add_u32_e32 v5, v3, v6
	v_mul_lo_u32 v6, v1, s8
	v_mul_lo_u32 v7, v1, s9
	v_lshrrev_b32_e32 v1, s21, v5
	v_mul_lo_u32 v5, v1, s19
	v_mul_hi_u32 v8, s23, v1
	v_sub_u32_e32 v3, v3, v5
	v_add_u32_e32 v5, v1, v8
	v_lshrrev_b32_e32 v5, s24, v5
	v_mul_hi_u32 v9, s26, v5
	v_mul_lo_u32 v10, v5, s22
	v_mul_lo_u32 v8, v3, s10
	;; [unrolled: 1-line block ×3, first 2 shown]
	v_sub_u32_e32 v10, v1, v10
	v_add_u32_e32 v1, v5, v9
	v_lshrrev_b32_e32 v1, s27, v1
	v_mul_lo_u32 v9, v1, s25
	v_mul_lo_u32 v11, v10, s12
	;; [unrolled: 1-line block ×3, first 2 shown]
	v_add3_u32 v6, v6, v29, v8
	v_sub_u32_e32 v5, v5, v9
	v_mul_lo_u32 v9, v5, s14
	v_mul_lo_u32 v5, v5, s15
	v_add3_u32 v3, v7, v20, v3
	v_add3_u32 v29, v11, v6, v9
	;; [unrolled: 1-line block ×3, first 2 shown]
	s_cbranch_scc1 .LBB32_585
; %bb.586:
	s_and_b32 s10, s37, 3
	s_cmp_eq_u32 s10, 0
	s_cbranch_scc0 .LBB32_590
	s_branch .LBB32_592
.LBB32_587:
                                        ; implicit-def: $vgpr29
                                        ; implicit-def: $vgpr20
	s_branch .LBB32_593
.LBB32_588:
	v_mov_b32_e32 v29, 0
	v_mov_b32_e32 v20, 0
	s_branch .LBB32_592
.LBB32_589:
	v_mov_b32_e32 v29, 0
	v_mov_b32_e32 v20, 0
	;; [unrolled: 1-line block ×3, first 2 shown]
	s_and_b32 s10, s37, 3
	s_cmp_eq_u32 s10, 0
	s_cbranch_scc1 .LBB32_592
.LBB32_590:
	s_lshl_b32 s6, s36, 3
	s_add_u32 s6, s34, s6
	s_addc_u32 s7, s35, 0
	s_add_u32 s6, s6, 0xc4
	s_addc_u32 s7, s7, 0
	s_mul_i32 s8, s36, 12
	s_add_u32 s8, s34, s8
	s_addc_u32 s9, s35, 0
.LBB32_591:                             ; =>This Inner Loop Header: Depth=1
	s_load_dwordx2 s[12:13], s[8:9], 0x4
	s_load_dword s11, s[8:9], 0xc
	s_load_dwordx2 s[14:15], s[6:7], 0x0
	s_add_u32 s8, s8, 12
	s_addc_u32 s9, s9, 0
	s_waitcnt lgkmcnt(0)
	v_mul_hi_u32 v3, s13, v1
	s_add_u32 s6, s6, 8
	s_addc_u32 s7, s7, 0
	s_add_i32 s10, s10, -1
	v_add_u32_e32 v3, v1, v3
	v_lshrrev_b32_e32 v3, s11, v3
	v_mul_lo_u32 v5, v3, s12
	s_cmp_lg_u32 s10, 0
	v_sub_u32_e32 v1, v1, v5
	v_mad_u64_u32 v[29:30], s[12:13], v1, s14, v[29:30]
	v_mad_u64_u32 v[20:21], s[12:13], v1, s15, v[20:21]
	v_mov_b32_e32 v1, v3
	s_cbranch_scc1 .LBB32_591
.LBB32_592:
	s_cbranch_execnz .LBB32_595
.LBB32_593:
	s_load_dwordx4 s[8:11], s[34:35], 0x4
	s_load_dwordx2 s[6:7], s[34:35], 0xc4
	s_cmp_lt_u32 s33, 2
	s_waitcnt lgkmcnt(0)
	v_mul_hi_u32 v1, s9, v0
	v_add_u32_e32 v1, v0, v1
	v_lshrrev_b32_e32 v1, s10, v1
	v_mul_lo_u32 v3, v1, s8
	v_sub_u32_e32 v0, v0, v3
	v_mul_lo_u32 v29, v0, s6
	v_mul_lo_u32 v20, v0, s7
	s_cbranch_scc1 .LBB32_595
; %bb.594:
	s_load_dwordx4 s[8:11], s[34:35], 0x10
	s_load_dwordx2 s[6:7], s[34:35], 0xcc
	s_waitcnt lgkmcnt(0)
	v_mul_hi_u32 v0, s9, v1
	v_add_u32_e32 v0, v1, v0
	v_lshrrev_b32_e32 v0, s10, v0
	v_mul_lo_u32 v0, v0, s8
	v_sub_u32_e32 v0, v1, v0
	v_mad_u64_u32 v[29:30], s[8:9], v0, s6, v[29:30]
	v_mad_u64_u32 v[20:21], s[6:7], v0, s7, v[20:21]
.LBB32_595:
	s_and_b64 vcc, exec, s[4:5]
	v_add_u32_e32 v0, 0x100, v23
	s_cbranch_vccnz .LBB32_601
; %bb.596:
	s_cmp_lg_u32 s33, 0
	s_mov_b32 s36, 0
	s_cbranch_scc0 .LBB32_602
; %bb.597:
	s_min_u32 s37, s76, 15
	s_add_i32 s37, s37, 1
	s_cmp_eq_u32 s76, 2
	s_cbranch_scc1 .LBB32_603
; %bb.598:
	s_and_b32 s36, s37, 28
	s_add_u32 s6, s34, 0xc4
	s_addc_u32 s7, s35, 0
	v_mov_b32_e32 v21, 0
	s_mov_b32 s38, 0
	s_mov_b64 s[30:31], s[34:35]
	v_mov_b32_e32 v27, 0
	v_mov_b32_e32 v1, v0
.LBB32_599:                             ; =>This Inner Loop Header: Depth=1
	s_load_dwordx8 s[16:23], s[30:31], 0x4
	s_load_dwordx4 s[24:27], s[30:31], 0x24
	s_load_dwordx8 s[8:15], s[6:7], 0x0
	s_add_u32 s30, s30, 48
	s_addc_u32 s31, s31, 0
	s_waitcnt lgkmcnt(0)
	v_mul_hi_u32 v3, s17, v1
	s_add_i32 s38, s38, 4
	s_add_u32 s6, s6, 32
	s_addc_u32 s7, s7, 0
	v_add_u32_e32 v3, v1, v3
	v_lshrrev_b32_e32 v3, s18, v3
	v_mul_lo_u32 v5, v3, s16
	v_mul_hi_u32 v6, s20, v3
	s_cmp_lg_u32 s36, s38
	v_sub_u32_e32 v1, v1, v5
	v_add_u32_e32 v5, v3, v6
	v_mul_lo_u32 v6, v1, s8
	v_mul_lo_u32 v7, v1, s9
	v_lshrrev_b32_e32 v1, s21, v5
	v_mul_lo_u32 v5, v1, s19
	v_mul_hi_u32 v8, s23, v1
	v_sub_u32_e32 v3, v3, v5
	v_add_u32_e32 v5, v1, v8
	v_lshrrev_b32_e32 v5, s24, v5
	v_mul_hi_u32 v9, s26, v5
	v_mul_lo_u32 v10, v5, s22
	v_mul_lo_u32 v8, v3, s10
	;; [unrolled: 1-line block ×3, first 2 shown]
	v_sub_u32_e32 v10, v1, v10
	v_add_u32_e32 v1, v5, v9
	v_lshrrev_b32_e32 v1, s27, v1
	v_mul_lo_u32 v9, v1, s25
	v_mul_lo_u32 v11, v10, s12
	;; [unrolled: 1-line block ×3, first 2 shown]
	v_add3_u32 v6, v6, v27, v8
	v_sub_u32_e32 v5, v5, v9
	v_mul_lo_u32 v9, v5, s14
	v_mul_lo_u32 v5, v5, s15
	v_add3_u32 v3, v7, v21, v3
	v_add3_u32 v27, v11, v6, v9
	;; [unrolled: 1-line block ×3, first 2 shown]
	s_cbranch_scc1 .LBB32_599
; %bb.600:
	s_and_b32 s10, s37, 3
	s_cmp_eq_u32 s10, 0
	s_cbranch_scc0 .LBB32_604
	s_branch .LBB32_606
.LBB32_601:
                                        ; implicit-def: $vgpr27
                                        ; implicit-def: $vgpr21
	s_branch .LBB32_607
.LBB32_602:
	v_mov_b32_e32 v27, 0
	v_mov_b32_e32 v21, 0
	s_branch .LBB32_606
.LBB32_603:
	v_mov_b32_e32 v27, 0
	v_mov_b32_e32 v21, 0
	;; [unrolled: 1-line block ×3, first 2 shown]
	s_and_b32 s10, s37, 3
	s_cmp_eq_u32 s10, 0
	s_cbranch_scc1 .LBB32_606
.LBB32_604:
	s_lshl_b32 s6, s36, 3
	s_add_u32 s6, s34, s6
	s_addc_u32 s7, s35, 0
	s_add_u32 s6, s6, 0xc4
	s_addc_u32 s7, s7, 0
	s_mul_i32 s8, s36, 12
	s_add_u32 s8, s34, s8
	s_addc_u32 s9, s35, 0
.LBB32_605:                             ; =>This Inner Loop Header: Depth=1
	s_load_dwordx2 s[12:13], s[8:9], 0x4
	s_load_dword s11, s[8:9], 0xc
	s_load_dwordx2 s[14:15], s[6:7], 0x0
	s_add_u32 s8, s8, 12
	s_addc_u32 s9, s9, 0
	s_waitcnt lgkmcnt(0)
	v_mul_hi_u32 v3, s13, v1
	s_add_u32 s6, s6, 8
	s_addc_u32 s7, s7, 0
	s_add_i32 s10, s10, -1
	v_add_u32_e32 v3, v1, v3
	v_lshrrev_b32_e32 v3, s11, v3
	v_mul_lo_u32 v5, v3, s12
	s_cmp_lg_u32 s10, 0
	v_sub_u32_e32 v1, v1, v5
	v_mad_u64_u32 v[27:28], s[12:13], v1, s14, v[27:28]
	v_mad_u64_u32 v[21:22], s[12:13], v1, s15, v[21:22]
	v_mov_b32_e32 v1, v3
	s_cbranch_scc1 .LBB32_605
.LBB32_606:
	s_cbranch_execnz .LBB32_609
.LBB32_607:
	s_load_dwordx4 s[8:11], s[34:35], 0x4
	s_load_dwordx2 s[6:7], s[34:35], 0xc4
	s_cmp_lt_u32 s33, 2
	s_waitcnt lgkmcnt(0)
	v_mul_hi_u32 v1, s9, v0
	v_add_u32_e32 v1, v0, v1
	v_lshrrev_b32_e32 v1, s10, v1
	v_mul_lo_u32 v3, v1, s8
	v_sub_u32_e32 v0, v0, v3
	v_mul_lo_u32 v27, v0, s6
	v_mul_lo_u32 v21, v0, s7
	s_cbranch_scc1 .LBB32_609
; %bb.608:
	s_load_dwordx4 s[8:11], s[34:35], 0x10
	s_load_dwordx2 s[6:7], s[34:35], 0xcc
	s_waitcnt lgkmcnt(0)
	v_mul_hi_u32 v0, s9, v1
	v_add_u32_e32 v0, v1, v0
	v_lshrrev_b32_e32 v0, s10, v0
	v_mul_lo_u32 v0, v0, s8
	v_sub_u32_e32 v0, v1, v0
	v_mad_u64_u32 v[27:28], s[8:9], v0, s6, v[27:28]
	v_mad_u64_u32 v[21:22], s[6:7], v0, s7, v[21:22]
.LBB32_609:
	s_and_b64 vcc, exec, s[4:5]
	s_cbranch_vccnz .LBB32_615
; %bb.610:
	s_cmp_lg_u32 s33, 0
	s_mov_b32 s30, 0
	s_cbranch_scc0 .LBB32_616
; %bb.611:
	s_min_u32 s31, s76, 15
	s_add_i32 s31, s31, 1
	s_cmp_eq_u32 s76, 2
	s_cbranch_scc1 .LBB32_617
; %bb.612:
	s_and_b32 s30, s31, 28
	s_add_u32 s24, s34, 0xc4
	s_addc_u32 s25, s35, 0
	v_mov_b32_e32 v22, 0
	s_mov_b32 s36, 0
	s_mov_b64 s[26:27], s[34:35]
	v_mov_b32_e32 v25, 0
	v_mov_b32_e32 v0, v4
.LBB32_613:                             ; =>This Inner Loop Header: Depth=1
	s_load_dwordx8 s[12:19], s[26:27], 0x4
	s_load_dwordx4 s[20:23], s[26:27], 0x24
	s_load_dwordx8 s[4:11], s[24:25], 0x0
	s_add_u32 s26, s26, 48
	s_addc_u32 s27, s27, 0
	s_waitcnt lgkmcnt(0)
	v_mul_hi_u32 v1, s13, v0
	s_add_i32 s36, s36, 4
	s_add_u32 s24, s24, 32
	s_addc_u32 s25, s25, 0
	v_add_u32_e32 v1, v0, v1
	v_lshrrev_b32_e32 v1, s14, v1
	v_mul_lo_u32 v3, v1, s12
	v_mul_hi_u32 v5, s16, v1
	s_cmp_lg_u32 s30, s36
	v_sub_u32_e32 v0, v0, v3
	v_add_u32_e32 v3, v1, v5
	v_mul_lo_u32 v5, v0, s4
	v_mul_lo_u32 v6, v0, s5
	v_lshrrev_b32_e32 v0, s17, v3
	v_mul_lo_u32 v3, v0, s15
	v_mul_hi_u32 v7, s19, v0
	v_sub_u32_e32 v1, v1, v3
	v_add_u32_e32 v3, v0, v7
	v_lshrrev_b32_e32 v3, s20, v3
	v_mul_hi_u32 v8, s22, v3
	v_mul_lo_u32 v9, v3, s18
	v_mul_lo_u32 v7, v1, s6
	;; [unrolled: 1-line block ×3, first 2 shown]
	v_sub_u32_e32 v9, v0, v9
	v_add_u32_e32 v0, v3, v8
	v_lshrrev_b32_e32 v0, s23, v0
	v_mul_lo_u32 v8, v0, s21
	v_mul_lo_u32 v10, v9, s8
	;; [unrolled: 1-line block ×3, first 2 shown]
	v_add3_u32 v5, v5, v25, v7
	v_sub_u32_e32 v3, v3, v8
	v_mul_lo_u32 v8, v3, s10
	v_mul_lo_u32 v3, v3, s11
	v_add3_u32 v1, v6, v22, v1
	v_add3_u32 v25, v10, v5, v8
	v_add3_u32 v22, v9, v1, v3
	s_cbranch_scc1 .LBB32_613
; %bb.614:
	s_and_b32 s8, s31, 3
	s_cmp_eq_u32 s8, 0
	s_cbranch_scc0 .LBB32_618
	s_branch .LBB32_620
.LBB32_615:
                                        ; implicit-def: $vgpr25
                                        ; implicit-def: $vgpr22
	s_branch .LBB32_621
.LBB32_616:
	v_mov_b32_e32 v25, 0
	v_mov_b32_e32 v22, 0
	s_branch .LBB32_620
.LBB32_617:
	v_mov_b32_e32 v25, 0
	v_mov_b32_e32 v22, 0
	;; [unrolled: 1-line block ×3, first 2 shown]
	s_and_b32 s8, s31, 3
	s_cmp_eq_u32 s8, 0
	s_cbranch_scc1 .LBB32_620
.LBB32_618:
	s_lshl_b32 s4, s30, 3
	s_add_u32 s4, s34, s4
	s_addc_u32 s5, s35, 0
	s_add_u32 s4, s4, 0xc4
	s_addc_u32 s5, s5, 0
	s_mul_i32 s6, s30, 12
	s_add_u32 s6, s34, s6
	s_addc_u32 s7, s35, 0
.LBB32_619:                             ; =>This Inner Loop Header: Depth=1
	s_load_dwordx2 s[10:11], s[6:7], 0x4
	s_load_dword s9, s[6:7], 0xc
	s_load_dwordx2 s[12:13], s[4:5], 0x0
	s_add_u32 s6, s6, 12
	s_addc_u32 s7, s7, 0
	s_waitcnt lgkmcnt(0)
	v_mul_hi_u32 v1, s11, v0
	s_add_u32 s4, s4, 8
	s_addc_u32 s5, s5, 0
	s_add_i32 s8, s8, -1
	v_add_u32_e32 v1, v0, v1
	v_lshrrev_b32_e32 v1, s9, v1
	v_mul_lo_u32 v3, v1, s10
	s_cmp_lg_u32 s8, 0
	v_sub_u32_e32 v0, v0, v3
	v_mad_u64_u32 v[25:26], s[10:11], v0, s12, v[25:26]
	v_mad_u64_u32 v[22:23], s[10:11], v0, s13, v[22:23]
	v_mov_b32_e32 v0, v1
	s_cbranch_scc1 .LBB32_619
.LBB32_620:
	s_cbranch_execnz .LBB32_623
.LBB32_621:
	s_load_dwordx4 s[4:7], s[34:35], 0x4
	s_load_dwordx2 s[8:9], s[34:35], 0xc4
	s_cmp_lt_u32 s33, 2
	s_waitcnt lgkmcnt(0)
	v_mul_hi_u32 v0, s5, v4
	v_add_u32_e32 v0, v4, v0
	v_lshrrev_b32_e32 v0, s6, v0
	v_mul_lo_u32 v1, v0, s4
	v_sub_u32_e32 v1, v4, v1
	v_mul_lo_u32 v25, v1, s8
	v_mul_lo_u32 v22, v1, s9
	s_cbranch_scc1 .LBB32_623
; %bb.622:
	s_load_dwordx4 s[4:7], s[34:35], 0x10
	s_load_dwordx2 s[8:9], s[34:35], 0xcc
	s_waitcnt lgkmcnt(0)
	v_mul_hi_u32 v1, s5, v0
	v_add_u32_e32 v1, v0, v1
	v_lshrrev_b32_e32 v1, s6, v1
	v_mul_lo_u32 v1, v1, s4
	v_sub_u32_e32 v0, v0, v1
	v_mad_u64_u32 v[25:26], s[4:5], v0, s8, v[25:26]
	v_mad_u64_u32 v[22:23], s[4:5], v0, s9, v[22:23]
.LBB32_623:
	s_load_dword s33, s[28:29], 0x160
	s_load_dwordx4 s[36:39], s[34:35], 0x148
	s_getpc_b64 s[28:29]
	s_add_u32 s28, s28, _ZN2at6native6invokeIZZZNS0_16asin_kernel_cudaERNS_18TensorIteratorBaseEENKUlvE_clEvENKUlvE1_clEvEUlN3c107complexINS6_4HalfEEEE_j15function_traitsISA_EEENT1_11result_typeERKT_PrKPcPKT0_PKNS6_10ScalarTypeEi@rel32@lo+4
	s_addc_u32 s29, s29, _ZN2at6native6invokeIZZZNS0_16asin_kernel_cudaERNS_18TensorIteratorBaseEENKUlvE_clEvENKUlvE1_clEvEUlN3c107complexINS6_4HalfEEEE_j15function_traitsISA_EEENT1_11result_typeERKT_PrKPcPKT0_PKNS6_10ScalarTypeEi@rel32@hi+12
	s_waitcnt lgkmcnt(0)
	s_lshr_b32 s34, s33, 16
	v_mov_b32_e32 v0, s38
	v_mov_b32_e32 v1, s39
	v_mov_b32_e32 v3, s34
	s_swappc_b64 s[30:31], s[28:29]
	v_mov_b32_e32 v24, v0
	v_mov_b32_e32 v0, s38
	v_mov_b32_e32 v1, s39
	v_mov_b32_e32 v2, v20
	v_mov_b32_e32 v3, s34
	s_swappc_b64 s[30:31], s[28:29]
	v_mov_b32_e32 v23, v0
	v_mov_b32_e32 v0, s38
	;; [unrolled: 6-line block ×3, first 2 shown]
	v_mov_b32_e32 v1, s39
	v_mov_b32_e32 v2, v22
	;; [unrolled: 1-line block ×3, first 2 shown]
	s_swappc_b64 s[30:31], s[28:29]
	v_mov_b32_e32 v2, s37
	s_bfe_u32 s14, s33, 0x80008
	v_add_co_u32_e32 v1, vcc, s36, v31
	s_cmp_lt_i32 s14, 11
	v_addc_co_u32_e32 v2, vcc, 0, v2, vcc
	s_cbranch_scc1 .LBB32_702
; %bb.624:
	s_and_b32 s15, 0xffff, s14
	s_mov_b64 s[6:7], -1
	s_mov_b64 s[8:9], 0
	s_cmp_gt_i32 s15, 25
	s_mov_b64 s[10:11], 0
	s_mov_b64 s[4:5], 0
	s_cbranch_scc0 .LBB32_657
; %bb.625:
	s_cmp_gt_i32 s15, 28
	s_cbranch_scc0 .LBB32_640
; %bb.626:
	s_cmp_gt_i32 s15, 43
	;; [unrolled: 3-line block ×3, first 2 shown]
	s_cbranch_scc0 .LBB32_630
; %bb.628:
	s_mov_b64 s[4:5], -1
	s_mov_b64 s[6:7], 0
	s_cmp_eq_u32 s15, 46
	s_cbranch_scc0 .LBB32_630
; %bb.629:
	v_cvt_f32_f16_sdwa v4, v24 dst_sel:DWORD dst_unused:UNUSED_PAD src0_sel:WORD_1
	v_cvt_f32_f16_e32 v3, v24
	s_movk_i32 s4, 0x7fff
	v_cmp_o_f16_sdwa vcc, v24, v24 src0_sel:WORD_1 src1_sel:WORD_1
	v_bfe_u32 v6, v4, 16, 1
	v_bfe_u32 v5, v3, 16, 1
	v_add3_u32 v4, v4, v6, s4
	v_add3_u32 v3, v3, v5, s4
	v_and_b32_e32 v4, 0xffff0000, v4
	v_mov_b32_e32 v5, 0x7fc00000
	v_cndmask_b32_e32 v4, v5, v4, vcc
	v_cmp_o_f16_e32 vcc, v24, v24
	v_mov_b32_e32 v5, 0x7fc0
	v_cndmask_b32_sdwa v3, v5, v3, vcc dst_sel:DWORD dst_unused:UNUSED_PAD src0_sel:DWORD src1_sel:WORD_1
	v_or_b32_e32 v3, v4, v3
	global_store_dword v[1:2], v3, off
	s_mov_b64 s[4:5], 0
	s_mov_b64 s[10:11], -1
.LBB32_630:
	s_and_b64 vcc, exec, s[6:7]
	s_cbranch_vccz .LBB32_635
; %bb.631:
	s_cmp_eq_u32 s15, 44
	s_mov_b64 s[4:5], -1
	s_cbranch_scc0 .LBB32_635
; %bb.632:
	v_cvt_f32_f16_e32 v3, v24
	s_movk_i32 s4, 0xff
	v_mov_b32_e32 v5, 0xff
	v_bfe_u32 v4, v3, 23, 8
	v_cmp_ne_u32_e32 vcc, s4, v4
	s_and_saveexec_b64 s[6:7], vcc
; %bb.633:
	s_mov_b32 s4, 0x3fffff
	v_lshrrev_b32_e32 v5, 23, v3
	v_and_b32_e32 v6, 0x400000, v3
	v_and_or_b32 v3, v3, s4, v4
	v_cmp_ne_u32_e32 vcc, 0, v6
	v_cmp_ne_u32_e64 s[4:5], 0, v3
	s_and_b64 s[4:5], vcc, s[4:5]
	v_cndmask_b32_e64 v3, 0, 1, s[4:5]
	v_add_u32_e32 v5, v5, v3
; %bb.634:
	s_or_b64 exec, exec, s[6:7]
	s_mov_b64 s[4:5], 0
	s_mov_b64 s[10:11], -1
	global_store_byte v[1:2], v5, off
.LBB32_635:
	s_mov_b64 s[6:7], 0
.LBB32_636:
	s_and_b64 vcc, exec, s[6:7]
	s_cbranch_vccz .LBB32_639
; %bb.637:
	s_cmp_eq_u32 s15, 29
	s_mov_b64 s[4:5], -1
	s_cbranch_scc0 .LBB32_639
; %bb.638:
	v_cvt_f32_f16_e32 v3, v24
	v_mov_b32_e32 v4, 0
	s_mov_b64 s[4:5], 0
	s_mov_b64 s[10:11], -1
	v_cvt_u32_f32_e32 v3, v3
	global_store_dwordx2 v[1:2], v[3:4], off
.LBB32_639:
	s_mov_b64 s[6:7], 0
.LBB32_640:
	s_and_b64 vcc, exec, s[6:7]
	s_cbranch_vccz .LBB32_656
; %bb.641:
	s_cmp_lt_i32 s15, 27
	s_mov_b64 s[6:7], -1
	s_cbranch_scc1 .LBB32_647
; %bb.642:
	s_cmp_gt_i32 s15, 27
	s_cbranch_scc0 .LBB32_644
; %bb.643:
	v_cvt_f32_f16_e32 v3, v24
	s_mov_b64 s[6:7], 0
	v_cvt_u32_f32_e32 v3, v3
	global_store_dword v[1:2], v3, off
.LBB32_644:
	s_andn2_b64 vcc, exec, s[6:7]
	s_cbranch_vccnz .LBB32_646
; %bb.645:
	v_cvt_u16_f16_e32 v3, v24
	global_store_short v[1:2], v3, off
.LBB32_646:
	s_mov_b64 s[6:7], 0
.LBB32_647:
	s_andn2_b64 vcc, exec, s[6:7]
	s_cbranch_vccnz .LBB32_655
; %bb.648:
	v_cvt_f32_f16_e32 v3, v24
	s_mov_b32 s6, 0x43800000
	v_mov_b32_e32 v5, 0x80
	v_and_b32_e32 v4, 0x7fffffff, v3
	v_cmp_gt_u32_e32 vcc, s6, v4
	s_and_saveexec_b64 s[6:7], vcc
	s_cbranch_execz .LBB32_654
; %bb.649:
	s_mov_b32 s10, 0x3bffffff
	v_cmp_lt_u32_e32 vcc, s10, v4
	s_mov_b64 s[10:11], 0
                                        ; implicit-def: $vgpr4
	s_and_saveexec_b64 s[12:13], vcc
	s_xor_b64 s[12:13], exec, s[12:13]
	s_cbranch_execz .LBB32_1099
; %bb.650:
	v_bfe_u32 v4, v3, 20, 1
	s_mov_b32 s16, 0x487ffff
	v_add3_u32 v4, v3, v4, s16
	s_mov_b64 s[10:11], exec
	v_lshrrev_b32_e32 v4, 20, v4
	s_andn2_saveexec_b64 s[12:13], s[12:13]
	s_cbranch_execnz .LBB32_1100
.LBB32_651:
	s_or_b64 exec, exec, s[12:13]
	v_mov_b32_e32 v5, 0
	s_and_saveexec_b64 s[12:13], s[10:11]
.LBB32_652:
	v_lshrrev_b32_e32 v3, 24, v3
	s_movk_i32 s10, 0x80
	v_and_or_b32 v5, v3, s10, v4
.LBB32_653:
	s_or_b64 exec, exec, s[12:13]
.LBB32_654:
	s_or_b64 exec, exec, s[6:7]
	global_store_byte v[1:2], v5, off
.LBB32_655:
	s_mov_b64 s[10:11], -1
.LBB32_656:
	s_mov_b64 s[6:7], 0
.LBB32_657:
	s_and_b64 vcc, exec, s[6:7]
	s_cbranch_vccz .LBB32_697
; %bb.658:
	s_cmp_gt_i32 s15, 22
	s_mov_b64 s[6:7], -1
	s_cbranch_scc0 .LBB32_690
; %bb.659:
	s_cmp_lt_i32 s15, 24
	s_cbranch_scc1 .LBB32_679
; %bb.660:
	s_cmp_gt_i32 s15, 24
	s_cbranch_scc0 .LBB32_668
; %bb.661:
	v_cvt_f32_f16_e32 v3, v24
	s_mov_b32 s6, 0x47800000
	v_mov_b32_e32 v5, 0x80
	v_and_b32_e32 v4, 0x7fffffff, v3
	v_cmp_gt_u32_e32 vcc, s6, v4
	s_and_saveexec_b64 s[6:7], vcc
	s_cbranch_execz .LBB32_667
; %bb.662:
	s_mov_b32 s8, 0x37ffffff
	v_cmp_lt_u32_e32 vcc, s8, v4
	s_mov_b64 s[8:9], 0
                                        ; implicit-def: $vgpr4
	s_and_saveexec_b64 s[10:11], vcc
	s_xor_b64 s[10:11], exec, s[10:11]
	s_cbranch_execz .LBB32_1102
; %bb.663:
	v_bfe_u32 v4, v3, 21, 1
	s_mov_b32 s12, 0x88fffff
	v_add3_u32 v4, v3, v4, s12
	s_mov_b64 s[8:9], exec
	v_lshrrev_b32_e32 v4, 21, v4
	s_andn2_saveexec_b64 s[10:11], s[10:11]
	s_cbranch_execnz .LBB32_1103
.LBB32_664:
	s_or_b64 exec, exec, s[10:11]
	v_mov_b32_e32 v5, 0
	s_and_saveexec_b64 s[10:11], s[8:9]
.LBB32_665:
	v_lshrrev_b32_e32 v3, 24, v3
	s_movk_i32 s8, 0x80
	v_and_or_b32 v5, v3, s8, v4
.LBB32_666:
	s_or_b64 exec, exec, s[10:11]
.LBB32_667:
	s_or_b64 exec, exec, s[6:7]
	s_mov_b64 s[6:7], 0
	global_store_byte v[1:2], v5, off
.LBB32_668:
	s_and_b64 vcc, exec, s[6:7]
	s_cbranch_vccz .LBB32_678
; %bb.669:
	v_cvt_f32_f16_e32 v3, v24
	s_mov_b32 s6, 0x43f00000
                                        ; implicit-def: $vgpr4
	v_and_b32_e32 v5, 0x7fffffff, v3
	v_cmp_gt_u32_e32 vcc, s6, v5
	s_and_saveexec_b64 s[6:7], vcc
	s_xor_b64 s[6:7], exec, s[6:7]
	s_cbranch_execz .LBB32_675
; %bb.670:
	s_mov_b32 s8, 0x3c7fffff
	v_cmp_lt_u32_e32 vcc, s8, v5
                                        ; implicit-def: $vgpr4
	s_and_saveexec_b64 s[8:9], vcc
	s_xor_b64 s[8:9], exec, s[8:9]
; %bb.671:
	v_bfe_u32 v4, v3, 20, 1
	s_mov_b32 s10, 0x407ffff
	v_add3_u32 v4, v3, v4, s10
	v_lshrrev_b32_e32 v5, 20, v4
	v_and_b32_e32 v4, 0xff00000, v4
	s_mov_b32 s10, 0x7f00000
	v_mov_b32_e32 v6, 0x7e
	v_cmp_ne_u32_e32 vcc, s10, v4
	v_cndmask_b32_e32 v4, v6, v5, vcc
; %bb.672:
	s_andn2_saveexec_b64 s[8:9], s[8:9]
; %bb.673:
	s_mov_b32 s10, 0x46800000
	v_add_f32_e64 v4, |v3|, s10
; %bb.674:
	s_or_b64 exec, exec, s[8:9]
                                        ; implicit-def: $vgpr5
.LBB32_675:
	s_andn2_saveexec_b64 s[6:7], s[6:7]
; %bb.676:
	s_mov_b32 s8, 0x7f800000
	v_mov_b32_e32 v4, 0x7e
	v_mov_b32_e32 v6, 0x7f
	v_cmp_lt_u32_e32 vcc, s8, v5
	v_cndmask_b32_e32 v4, v4, v6, vcc
; %bb.677:
	s_or_b64 exec, exec, s[6:7]
	v_lshrrev_b32_e32 v3, 24, v3
	s_movk_i32 s6, 0x80
	v_and_or_b32 v3, v3, s6, v4
	global_store_byte v[1:2], v3, off
.LBB32_678:
	s_mov_b64 s[6:7], 0
.LBB32_679:
	s_andn2_b64 vcc, exec, s[6:7]
	s_cbranch_vccnz .LBB32_689
; %bb.680:
	v_cvt_f32_f16_e32 v3, v24
	s_mov_b32 s6, 0x47800000
                                        ; implicit-def: $vgpr4
	v_and_b32_e32 v5, 0x7fffffff, v3
	v_cmp_gt_u32_e32 vcc, s6, v5
	s_and_saveexec_b64 s[6:7], vcc
	s_xor_b64 s[6:7], exec, s[6:7]
	s_cbranch_execz .LBB32_686
; %bb.681:
	s_mov_b32 s8, 0x387fffff
	v_cmp_lt_u32_e32 vcc, s8, v5
                                        ; implicit-def: $vgpr4
	s_and_saveexec_b64 s[8:9], vcc
	s_xor_b64 s[8:9], exec, s[8:9]
; %bb.682:
	v_bfe_u32 v4, v3, 21, 1
	s_mov_b32 s10, 0x80fffff
	v_add3_u32 v4, v3, v4, s10
	v_lshrrev_b32_e32 v4, 21, v4
; %bb.683:
	s_andn2_saveexec_b64 s[8:9], s[8:9]
; %bb.684:
	s_mov_b32 s10, 0x43000000
	v_add_f32_e64 v4, |v3|, s10
; %bb.685:
	s_or_b64 exec, exec, s[8:9]
                                        ; implicit-def: $vgpr5
.LBB32_686:
	s_andn2_saveexec_b64 s[6:7], s[6:7]
; %bb.687:
	s_mov_b32 s8, 0x7f800000
	v_mov_b32_e32 v4, 0x7c
	v_mov_b32_e32 v6, 0x7f
	v_cmp_lt_u32_e32 vcc, s8, v5
	v_cndmask_b32_e32 v4, v4, v6, vcc
; %bb.688:
	s_or_b64 exec, exec, s[6:7]
	v_lshrrev_b32_e32 v3, 24, v3
	s_movk_i32 s6, 0x80
	v_and_or_b32 v3, v3, s6, v4
	global_store_byte v[1:2], v3, off
.LBB32_689:
	s_mov_b64 s[6:7], 0
	s_mov_b64 s[10:11], -1
.LBB32_690:
	s_andn2_b64 vcc, exec, s[6:7]
	s_mov_b64 s[8:9], 0
	s_cbranch_vccnz .LBB32_697
; %bb.691:
	s_cmp_gt_i32 s15, 14
	s_mov_b64 s[6:7], -1
	s_cbranch_scc0 .LBB32_695
; %bb.692:
	s_cmp_eq_u32 s15, 15
	s_mov_b64 s[4:5], -1
	s_cbranch_scc0 .LBB32_694
; %bb.693:
	v_cvt_f32_f16_e32 v3, v24
	s_movk_i32 s4, 0x7fff
	v_cmp_o_f16_e32 vcc, v24, v24
	v_mov_b32_e32 v4, 0x7fc0
	v_bfe_u32 v5, v3, 16, 1
	v_add3_u32 v3, v3, v5, s4
	v_cndmask_b32_sdwa v3, v4, v3, vcc dst_sel:DWORD dst_unused:UNUSED_PAD src0_sel:DWORD src1_sel:WORD_1
	global_store_short v[1:2], v3, off
	s_mov_b64 s[4:5], 0
	s_mov_b64 s[10:11], -1
.LBB32_694:
	s_mov_b64 s[6:7], 0
.LBB32_695:
	s_and_b64 vcc, exec, s[6:7]
	s_cbranch_vccz .LBB32_697
; %bb.696:
	s_cmp_lg_u32 s15, 11
	s_mov_b64 s[8:9], -1
	s_cselect_b64 s[4:5], -1, 0
.LBB32_697:
	s_and_b64 vcc, exec, s[4:5]
	s_mov_b64 s[6:7], s[40:41]
	s_cbranch_vccnz .LBB32_1101
; %bb.698:
	s_andn2_b64 vcc, exec, s[8:9]
	s_cbranch_vccnz .LBB32_700
.LBB32_699:
	v_and_b32_e32 v3, 0x7fff7fff, v24
	v_cmp_ne_u32_e32 vcc, 0, v3
	v_cndmask_b32_e64 v3, 0, 1, vcc
	global_store_byte v[1:2], v3, off
	s_mov_b64 s[10:11], -1
.LBB32_700:
.LBB32_701:
	s_andn2_b64 vcc, exec, s[10:11]
	s_cbranch_vccz .LBB32_741
	s_branch .LBB32_1053
.LBB32_702:
	s_mov_b64 s[10:11], 0
	s_mov_b64 s[6:7], s[40:41]
	s_cbranch_execz .LBB32_701
; %bb.703:
	s_and_b32 s8, 0xffff, s14
	s_cmp_lt_i32 s8, 5
	s_mov_b64 s[4:5], -1
	s_cbranch_scc1 .LBB32_724
; %bb.704:
	s_cmp_lt_i32 s8, 8
	s_cbranch_scc1 .LBB32_714
; %bb.705:
	s_cmp_lt_i32 s8, 9
	s_cbranch_scc1 .LBB32_711
; %bb.706:
	s_cmp_gt_i32 s8, 9
	s_cbranch_scc0 .LBB32_708
; %bb.707:
	v_cvt_f32_f16_e32 v3, v24
	v_cvt_f32_f16_sdwa v5, v24 dst_sel:DWORD dst_unused:UNUSED_PAD src0_sel:WORD_1
	s_mov_b64 s[4:5], 0
	v_cvt_f64_f32_e32 v[3:4], v3
	v_cvt_f64_f32_e32 v[5:6], v5
	global_store_dwordx4 v[1:2], v[3:6], off
.LBB32_708:
	s_andn2_b64 vcc, exec, s[4:5]
	s_cbranch_vccnz .LBB32_710
; %bb.709:
	v_cvt_f32_f16_e32 v3, v24
	v_cvt_f32_f16_sdwa v4, v24 dst_sel:DWORD dst_unused:UNUSED_PAD src0_sel:WORD_1
	global_store_dwordx2 v[1:2], v[3:4], off
.LBB32_710:
	s_mov_b64 s[4:5], 0
.LBB32_711:
	s_andn2_b64 vcc, exec, s[4:5]
	s_cbranch_vccnz .LBB32_713
; %bb.712:
	global_store_dword v[1:2], v24, off
.LBB32_713:
	s_mov_b64 s[4:5], 0
.LBB32_714:
	s_andn2_b64 vcc, exec, s[4:5]
	s_cbranch_vccnz .LBB32_723
; %bb.715:
	s_cmp_lt_i32 s8, 6
	s_mov_b64 s[4:5], -1
	s_cbranch_scc1 .LBB32_721
; %bb.716:
	s_cmp_gt_i32 s8, 6
	s_cbranch_scc0 .LBB32_718
; %bb.717:
	v_cvt_f32_f16_e32 v3, v24
	s_mov_b64 s[4:5], 0
	v_cvt_f64_f32_e32 v[3:4], v3
	global_store_dwordx2 v[1:2], v[3:4], off
.LBB32_718:
	s_andn2_b64 vcc, exec, s[4:5]
	s_cbranch_vccnz .LBB32_720
; %bb.719:
	v_cvt_f32_f16_e32 v3, v24
	global_store_dword v[1:2], v3, off
.LBB32_720:
	s_mov_b64 s[4:5], 0
.LBB32_721:
	s_andn2_b64 vcc, exec, s[4:5]
	s_cbranch_vccnz .LBB32_723
; %bb.722:
	global_store_short v[1:2], v24, off
.LBB32_723:
	s_mov_b64 s[4:5], 0
.LBB32_724:
	s_andn2_b64 vcc, exec, s[4:5]
	s_cbranch_vccnz .LBB32_740
; %bb.725:
	s_cmp_lt_i32 s8, 2
	s_mov_b64 s[4:5], -1
	s_cbranch_scc1 .LBB32_735
; %bb.726:
	s_cmp_lt_i32 s8, 3
	s_cbranch_scc1 .LBB32_732
; %bb.727:
	s_cmp_gt_i32 s8, 3
	s_cbranch_scc0 .LBB32_729
; %bb.728:
	v_cvt_f32_f16_e32 v3, v24
	s_mov_b64 s[4:5], 0
	v_cvt_i32_f32_e32 v3, v3
	v_ashrrev_i32_e32 v4, 31, v3
	global_store_dwordx2 v[1:2], v[3:4], off
.LBB32_729:
	s_andn2_b64 vcc, exec, s[4:5]
	s_cbranch_vccnz .LBB32_731
; %bb.730:
	v_cvt_f32_f16_e32 v3, v24
	v_cvt_i32_f32_e32 v3, v3
	global_store_dword v[1:2], v3, off
.LBB32_731:
	s_mov_b64 s[4:5], 0
.LBB32_732:
	s_andn2_b64 vcc, exec, s[4:5]
	s_cbranch_vccnz .LBB32_734
; %bb.733:
	v_cvt_i16_f16_e32 v3, v24
	global_store_short v[1:2], v3, off
.LBB32_734:
	s_mov_b64 s[4:5], 0
.LBB32_735:
	s_andn2_b64 vcc, exec, s[4:5]
	s_cbranch_vccnz .LBB32_740
; %bb.736:
	s_cmp_gt_i32 s8, 0
	s_mov_b64 s[4:5], -1
	s_cbranch_scc0 .LBB32_738
; %bb.737:
	v_cvt_i16_f16_e32 v3, v24
	global_store_byte v[1:2], v3, off
	s_mov_b64 s[4:5], 0
.LBB32_738:
	s_andn2_b64 vcc, exec, s[4:5]
	s_cbranch_vccnz .LBB32_740
; %bb.739:
	v_cvt_f32_f16_e32 v3, v24
	v_cvt_i32_f32_e32 v3, v3
	global_store_byte v[1:2], v3, off
.LBB32_740:
.LBB32_741:
	s_lshr_b32 s4, s33, 8
	v_mov_b32_e32 v2, s37
	s_and_b32 s16, s4, 0xff
	v_add_co_u32_e32 v1, vcc, s36, v29
	s_cmp_lt_i32 s16, 11
	v_addc_co_u32_e32 v2, vcc, 0, v2, vcc
	s_cbranch_scc1 .LBB32_820
; %bb.742:
	s_and_b32 s17, 0xffff, s16
	s_mov_b64 s[12:13], -1
	s_mov_b64 s[8:9], 0
	s_cmp_gt_i32 s17, 25
	s_mov_b64 s[10:11], 0
	s_mov_b64 s[4:5], 0
	s_cbranch_scc0 .LBB32_775
; %bb.743:
	s_cmp_gt_i32 s17, 28
	s_cbranch_scc0 .LBB32_758
; %bb.744:
	s_cmp_gt_i32 s17, 43
	;; [unrolled: 3-line block ×3, first 2 shown]
	s_cbranch_scc0 .LBB32_748
; %bb.746:
	s_mov_b64 s[4:5], -1
	s_mov_b64 s[12:13], 0
	s_cmp_eq_u32 s17, 46
	s_cbranch_scc0 .LBB32_748
; %bb.747:
	v_cvt_f32_f16_sdwa v4, v23 dst_sel:DWORD dst_unused:UNUSED_PAD src0_sel:WORD_1
	v_cvt_f32_f16_e32 v3, v23
	s_movk_i32 s4, 0x7fff
	v_cmp_o_f16_sdwa vcc, v23, v23 src0_sel:WORD_1 src1_sel:WORD_1
	v_bfe_u32 v6, v4, 16, 1
	v_bfe_u32 v5, v3, 16, 1
	v_add3_u32 v4, v4, v6, s4
	v_add3_u32 v3, v3, v5, s4
	v_and_b32_e32 v4, 0xffff0000, v4
	v_mov_b32_e32 v5, 0x7fc00000
	v_cndmask_b32_e32 v4, v5, v4, vcc
	v_cmp_o_f16_e32 vcc, v23, v23
	v_mov_b32_e32 v5, 0x7fc0
	v_cndmask_b32_sdwa v3, v5, v3, vcc dst_sel:DWORD dst_unused:UNUSED_PAD src0_sel:DWORD src1_sel:WORD_1
	v_or_b32_e32 v3, v4, v3
	global_store_dword v[1:2], v3, off
	s_mov_b64 s[4:5], 0
	s_mov_b64 s[10:11], -1
.LBB32_748:
	s_and_b64 vcc, exec, s[12:13]
	s_cbranch_vccz .LBB32_753
; %bb.749:
	s_cmp_eq_u32 s17, 44
	s_mov_b64 s[4:5], -1
	s_cbranch_scc0 .LBB32_753
; %bb.750:
	v_cvt_f32_f16_e32 v3, v23
	s_movk_i32 s4, 0xff
	v_mov_b32_e32 v5, 0xff
	v_bfe_u32 v4, v3, 23, 8
	v_cmp_ne_u32_e32 vcc, s4, v4
	s_and_saveexec_b64 s[10:11], vcc
; %bb.751:
	s_mov_b32 s4, 0x3fffff
	v_lshrrev_b32_e32 v5, 23, v3
	v_and_b32_e32 v6, 0x400000, v3
	v_and_or_b32 v3, v3, s4, v4
	v_cmp_ne_u32_e32 vcc, 0, v6
	v_cmp_ne_u32_e64 s[4:5], 0, v3
	s_and_b64 s[4:5], vcc, s[4:5]
	v_cndmask_b32_e64 v3, 0, 1, s[4:5]
	v_add_u32_e32 v5, v5, v3
; %bb.752:
	s_or_b64 exec, exec, s[10:11]
	s_mov_b64 s[4:5], 0
	s_mov_b64 s[10:11], -1
	global_store_byte v[1:2], v5, off
.LBB32_753:
	s_mov_b64 s[12:13], 0
.LBB32_754:
	s_and_b64 vcc, exec, s[12:13]
	s_cbranch_vccz .LBB32_757
; %bb.755:
	s_cmp_eq_u32 s17, 29
	s_mov_b64 s[4:5], -1
	s_cbranch_scc0 .LBB32_757
; %bb.756:
	v_cvt_f32_f16_e32 v3, v23
	v_mov_b32_e32 v4, 0
	s_mov_b64 s[4:5], 0
	s_mov_b64 s[10:11], -1
	v_cvt_u32_f32_e32 v3, v3
	global_store_dwordx2 v[1:2], v[3:4], off
.LBB32_757:
	s_mov_b64 s[12:13], 0
.LBB32_758:
	s_and_b64 vcc, exec, s[12:13]
	s_cbranch_vccz .LBB32_774
; %bb.759:
	s_cmp_lt_i32 s17, 27
	s_mov_b64 s[10:11], -1
	s_cbranch_scc1 .LBB32_765
; %bb.760:
	s_cmp_gt_i32 s17, 27
	s_cbranch_scc0 .LBB32_762
; %bb.761:
	v_cvt_f32_f16_e32 v3, v23
	s_mov_b64 s[10:11], 0
	v_cvt_u32_f32_e32 v3, v3
	global_store_dword v[1:2], v3, off
.LBB32_762:
	s_andn2_b64 vcc, exec, s[10:11]
	s_cbranch_vccnz .LBB32_764
; %bb.763:
	v_cvt_u16_f16_e32 v3, v23
	global_store_short v[1:2], v3, off
.LBB32_764:
	s_mov_b64 s[10:11], 0
.LBB32_765:
	s_andn2_b64 vcc, exec, s[10:11]
	s_cbranch_vccnz .LBB32_773
; %bb.766:
	v_cvt_f32_f16_e32 v3, v23
	s_mov_b32 s10, 0x43800000
	v_mov_b32_e32 v5, 0x80
	v_and_b32_e32 v4, 0x7fffffff, v3
	v_cmp_gt_u32_e32 vcc, s10, v4
	s_and_saveexec_b64 s[10:11], vcc
	s_cbranch_execz .LBB32_772
; %bb.767:
	s_mov_b32 s12, 0x3bffffff
	v_cmp_lt_u32_e32 vcc, s12, v4
	s_mov_b64 s[12:13], 0
                                        ; implicit-def: $vgpr4
	s_and_saveexec_b64 s[14:15], vcc
	s_xor_b64 s[14:15], exec, s[14:15]
	s_cbranch_execz .LBB32_1104
; %bb.768:
	v_bfe_u32 v4, v3, 20, 1
	s_mov_b32 s18, 0x487ffff
	v_add3_u32 v4, v3, v4, s18
	s_mov_b64 s[12:13], exec
	v_lshrrev_b32_e32 v4, 20, v4
	s_andn2_saveexec_b64 s[14:15], s[14:15]
	s_cbranch_execnz .LBB32_1105
.LBB32_769:
	s_or_b64 exec, exec, s[14:15]
	v_mov_b32_e32 v5, 0
	s_and_saveexec_b64 s[14:15], s[12:13]
.LBB32_770:
	v_lshrrev_b32_e32 v3, 24, v3
	s_movk_i32 s12, 0x80
	v_and_or_b32 v5, v3, s12, v4
.LBB32_771:
	s_or_b64 exec, exec, s[14:15]
.LBB32_772:
	s_or_b64 exec, exec, s[10:11]
	global_store_byte v[1:2], v5, off
.LBB32_773:
	s_mov_b64 s[10:11], -1
.LBB32_774:
	s_mov_b64 s[12:13], 0
.LBB32_775:
	s_and_b64 vcc, exec, s[12:13]
	s_cbranch_vccz .LBB32_815
; %bb.776:
	s_cmp_gt_i32 s17, 22
	s_mov_b64 s[8:9], -1
	s_cbranch_scc0 .LBB32_808
; %bb.777:
	s_cmp_lt_i32 s17, 24
	s_cbranch_scc1 .LBB32_797
; %bb.778:
	s_cmp_gt_i32 s17, 24
	s_cbranch_scc0 .LBB32_786
; %bb.779:
	v_cvt_f32_f16_e32 v3, v23
	s_mov_b32 s8, 0x47800000
	v_mov_b32_e32 v5, 0x80
	v_and_b32_e32 v4, 0x7fffffff, v3
	v_cmp_gt_u32_e32 vcc, s8, v4
	s_and_saveexec_b64 s[8:9], vcc
	s_cbranch_execz .LBB32_785
; %bb.780:
	s_mov_b32 s10, 0x37ffffff
	v_cmp_lt_u32_e32 vcc, s10, v4
	s_mov_b64 s[10:11], 0
                                        ; implicit-def: $vgpr4
	s_and_saveexec_b64 s[12:13], vcc
	s_xor_b64 s[12:13], exec, s[12:13]
	s_cbranch_execz .LBB32_1107
; %bb.781:
	v_bfe_u32 v4, v3, 21, 1
	s_mov_b32 s14, 0x88fffff
	v_add3_u32 v4, v3, v4, s14
	s_mov_b64 s[10:11], exec
	v_lshrrev_b32_e32 v4, 21, v4
	s_andn2_saveexec_b64 s[12:13], s[12:13]
	s_cbranch_execnz .LBB32_1108
.LBB32_782:
	s_or_b64 exec, exec, s[12:13]
	v_mov_b32_e32 v5, 0
	s_and_saveexec_b64 s[12:13], s[10:11]
.LBB32_783:
	v_lshrrev_b32_e32 v3, 24, v3
	s_movk_i32 s10, 0x80
	v_and_or_b32 v5, v3, s10, v4
.LBB32_784:
	s_or_b64 exec, exec, s[12:13]
.LBB32_785:
	s_or_b64 exec, exec, s[8:9]
	s_mov_b64 s[8:9], 0
	global_store_byte v[1:2], v5, off
.LBB32_786:
	s_and_b64 vcc, exec, s[8:9]
	s_cbranch_vccz .LBB32_796
; %bb.787:
	v_cvt_f32_f16_e32 v3, v23
	s_mov_b32 s8, 0x43f00000
                                        ; implicit-def: $vgpr4
	v_and_b32_e32 v5, 0x7fffffff, v3
	v_cmp_gt_u32_e32 vcc, s8, v5
	s_and_saveexec_b64 s[8:9], vcc
	s_xor_b64 s[8:9], exec, s[8:9]
	s_cbranch_execz .LBB32_793
; %bb.788:
	s_mov_b32 s10, 0x3c7fffff
	v_cmp_lt_u32_e32 vcc, s10, v5
                                        ; implicit-def: $vgpr4
	s_and_saveexec_b64 s[10:11], vcc
	s_xor_b64 s[10:11], exec, s[10:11]
; %bb.789:
	v_bfe_u32 v4, v3, 20, 1
	s_mov_b32 s12, 0x407ffff
	v_add3_u32 v4, v3, v4, s12
	v_lshrrev_b32_e32 v5, 20, v4
	v_and_b32_e32 v4, 0xff00000, v4
	s_mov_b32 s12, 0x7f00000
	v_mov_b32_e32 v6, 0x7e
	v_cmp_ne_u32_e32 vcc, s12, v4
	v_cndmask_b32_e32 v4, v6, v5, vcc
; %bb.790:
	s_andn2_saveexec_b64 s[10:11], s[10:11]
; %bb.791:
	s_mov_b32 s12, 0x46800000
	v_add_f32_e64 v4, |v3|, s12
; %bb.792:
	s_or_b64 exec, exec, s[10:11]
                                        ; implicit-def: $vgpr5
.LBB32_793:
	s_andn2_saveexec_b64 s[8:9], s[8:9]
; %bb.794:
	s_mov_b32 s10, 0x7f800000
	v_mov_b32_e32 v4, 0x7e
	v_mov_b32_e32 v6, 0x7f
	v_cmp_lt_u32_e32 vcc, s10, v5
	v_cndmask_b32_e32 v4, v4, v6, vcc
; %bb.795:
	s_or_b64 exec, exec, s[8:9]
	v_lshrrev_b32_e32 v3, 24, v3
	s_movk_i32 s8, 0x80
	v_and_or_b32 v3, v3, s8, v4
	global_store_byte v[1:2], v3, off
.LBB32_796:
	s_mov_b64 s[8:9], 0
.LBB32_797:
	s_andn2_b64 vcc, exec, s[8:9]
	s_cbranch_vccnz .LBB32_807
; %bb.798:
	v_cvt_f32_f16_e32 v3, v23
	s_mov_b32 s8, 0x47800000
                                        ; implicit-def: $vgpr4
	v_and_b32_e32 v5, 0x7fffffff, v3
	v_cmp_gt_u32_e32 vcc, s8, v5
	s_and_saveexec_b64 s[8:9], vcc
	s_xor_b64 s[8:9], exec, s[8:9]
	s_cbranch_execz .LBB32_804
; %bb.799:
	s_mov_b32 s10, 0x387fffff
	v_cmp_lt_u32_e32 vcc, s10, v5
                                        ; implicit-def: $vgpr4
	s_and_saveexec_b64 s[10:11], vcc
	s_xor_b64 s[10:11], exec, s[10:11]
; %bb.800:
	v_bfe_u32 v4, v3, 21, 1
	s_mov_b32 s12, 0x80fffff
	v_add3_u32 v4, v3, v4, s12
	v_lshrrev_b32_e32 v4, 21, v4
; %bb.801:
	s_andn2_saveexec_b64 s[10:11], s[10:11]
; %bb.802:
	s_mov_b32 s12, 0x43000000
	v_add_f32_e64 v4, |v3|, s12
; %bb.803:
	s_or_b64 exec, exec, s[10:11]
                                        ; implicit-def: $vgpr5
.LBB32_804:
	s_andn2_saveexec_b64 s[8:9], s[8:9]
; %bb.805:
	s_mov_b32 s10, 0x7f800000
	v_mov_b32_e32 v4, 0x7c
	v_mov_b32_e32 v6, 0x7f
	v_cmp_lt_u32_e32 vcc, s10, v5
	v_cndmask_b32_e32 v4, v4, v6, vcc
; %bb.806:
	s_or_b64 exec, exec, s[8:9]
	v_lshrrev_b32_e32 v3, 24, v3
	s_movk_i32 s8, 0x80
	v_and_or_b32 v3, v3, s8, v4
	global_store_byte v[1:2], v3, off
.LBB32_807:
	s_mov_b64 s[8:9], 0
	s_mov_b64 s[10:11], -1
.LBB32_808:
	s_andn2_b64 vcc, exec, s[8:9]
	s_mov_b64 s[8:9], 0
	s_cbranch_vccnz .LBB32_815
; %bb.809:
	s_cmp_gt_i32 s17, 14
	s_mov_b64 s[12:13], -1
	s_cbranch_scc0 .LBB32_813
; %bb.810:
	s_cmp_eq_u32 s17, 15
	s_mov_b64 s[4:5], -1
	s_cbranch_scc0 .LBB32_812
; %bb.811:
	v_cvt_f32_f16_e32 v3, v23
	s_movk_i32 s4, 0x7fff
	v_cmp_o_f16_e32 vcc, v23, v23
	v_mov_b32_e32 v4, 0x7fc0
	v_bfe_u32 v5, v3, 16, 1
	v_add3_u32 v3, v3, v5, s4
	v_cndmask_b32_sdwa v3, v4, v3, vcc dst_sel:DWORD dst_unused:UNUSED_PAD src0_sel:DWORD src1_sel:WORD_1
	global_store_short v[1:2], v3, off
	s_mov_b64 s[4:5], 0
	s_mov_b64 s[10:11], -1
.LBB32_812:
	s_mov_b64 s[12:13], 0
.LBB32_813:
	s_and_b64 vcc, exec, s[12:13]
	s_cbranch_vccz .LBB32_815
; %bb.814:
	s_cmp_lg_u32 s17, 11
	s_mov_b64 s[8:9], -1
	s_cselect_b64 s[4:5], -1, 0
.LBB32_815:
	s_and_b64 vcc, exec, s[4:5]
	s_cbranch_vccnz .LBB32_1106
; %bb.816:
	s_andn2_b64 vcc, exec, s[8:9]
	s_cbranch_vccnz .LBB32_818
.LBB32_817:
	v_and_b32_e32 v3, 0x7fff7fff, v23
	v_cmp_ne_u32_e32 vcc, 0, v3
	v_cndmask_b32_e64 v3, 0, 1, vcc
	s_mov_b64 s[10:11], -1
	global_store_byte v[1:2], v3, off
.LBB32_818:
.LBB32_819:
	s_andn2_b64 vcc, exec, s[10:11]
	s_cbranch_vccz .LBB32_859
	s_branch .LBB32_1053
.LBB32_820:
	s_mov_b64 s[10:11], 0
	s_cbranch_execz .LBB32_819
; %bb.821:
	s_and_b32 s8, 0xffff, s16
	s_cmp_lt_i32 s8, 5
	s_mov_b64 s[4:5], -1
	s_cbranch_scc1 .LBB32_842
; %bb.822:
	s_cmp_lt_i32 s8, 8
	s_cbranch_scc1 .LBB32_832
; %bb.823:
	s_cmp_lt_i32 s8, 9
	s_cbranch_scc1 .LBB32_829
; %bb.824:
	s_cmp_gt_i32 s8, 9
	s_cbranch_scc0 .LBB32_826
; %bb.825:
	v_cvt_f32_f16_e32 v3, v23
	v_cvt_f32_f16_sdwa v5, v23 dst_sel:DWORD dst_unused:UNUSED_PAD src0_sel:WORD_1
	s_mov_b64 s[4:5], 0
	v_cvt_f64_f32_e32 v[3:4], v3
	v_cvt_f64_f32_e32 v[5:6], v5
	global_store_dwordx4 v[1:2], v[3:6], off
.LBB32_826:
	s_andn2_b64 vcc, exec, s[4:5]
	s_cbranch_vccnz .LBB32_828
; %bb.827:
	v_cvt_f32_f16_e32 v3, v23
	v_cvt_f32_f16_sdwa v4, v23 dst_sel:DWORD dst_unused:UNUSED_PAD src0_sel:WORD_1
	global_store_dwordx2 v[1:2], v[3:4], off
.LBB32_828:
	s_mov_b64 s[4:5], 0
.LBB32_829:
	s_andn2_b64 vcc, exec, s[4:5]
	s_cbranch_vccnz .LBB32_831
; %bb.830:
	global_store_dword v[1:2], v23, off
.LBB32_831:
	s_mov_b64 s[4:5], 0
.LBB32_832:
	s_andn2_b64 vcc, exec, s[4:5]
	s_cbranch_vccnz .LBB32_841
; %bb.833:
	s_cmp_lt_i32 s8, 6
	s_mov_b64 s[4:5], -1
	s_cbranch_scc1 .LBB32_839
; %bb.834:
	s_cmp_gt_i32 s8, 6
	s_cbranch_scc0 .LBB32_836
; %bb.835:
	v_cvt_f32_f16_e32 v3, v23
	s_mov_b64 s[4:5], 0
	v_cvt_f64_f32_e32 v[3:4], v3
	global_store_dwordx2 v[1:2], v[3:4], off
.LBB32_836:
	s_andn2_b64 vcc, exec, s[4:5]
	s_cbranch_vccnz .LBB32_838
; %bb.837:
	v_cvt_f32_f16_e32 v3, v23
	global_store_dword v[1:2], v3, off
.LBB32_838:
	s_mov_b64 s[4:5], 0
.LBB32_839:
	s_andn2_b64 vcc, exec, s[4:5]
	s_cbranch_vccnz .LBB32_841
; %bb.840:
	global_store_short v[1:2], v23, off
.LBB32_841:
	s_mov_b64 s[4:5], 0
.LBB32_842:
	s_andn2_b64 vcc, exec, s[4:5]
	s_cbranch_vccnz .LBB32_858
; %bb.843:
	s_cmp_lt_i32 s8, 2
	s_mov_b64 s[4:5], -1
	s_cbranch_scc1 .LBB32_853
; %bb.844:
	s_cmp_lt_i32 s8, 3
	s_cbranch_scc1 .LBB32_850
; %bb.845:
	s_cmp_gt_i32 s8, 3
	s_cbranch_scc0 .LBB32_847
; %bb.846:
	v_cvt_f32_f16_e32 v3, v23
	s_mov_b64 s[4:5], 0
	v_cvt_i32_f32_e32 v3, v3
	v_ashrrev_i32_e32 v4, 31, v3
	global_store_dwordx2 v[1:2], v[3:4], off
.LBB32_847:
	s_andn2_b64 vcc, exec, s[4:5]
	s_cbranch_vccnz .LBB32_849
; %bb.848:
	v_cvt_f32_f16_e32 v3, v23
	v_cvt_i32_f32_e32 v3, v3
	global_store_dword v[1:2], v3, off
.LBB32_849:
	s_mov_b64 s[4:5], 0
.LBB32_850:
	s_andn2_b64 vcc, exec, s[4:5]
	s_cbranch_vccnz .LBB32_852
; %bb.851:
	v_cvt_i16_f16_e32 v3, v23
	global_store_short v[1:2], v3, off
.LBB32_852:
	s_mov_b64 s[4:5], 0
.LBB32_853:
	s_andn2_b64 vcc, exec, s[4:5]
	s_cbranch_vccnz .LBB32_858
; %bb.854:
	s_cmp_gt_i32 s8, 0
	s_mov_b64 s[4:5], -1
	s_cbranch_scc0 .LBB32_856
; %bb.855:
	v_cvt_i16_f16_e32 v3, v23
	global_store_byte v[1:2], v3, off
	s_mov_b64 s[4:5], 0
.LBB32_856:
	s_andn2_b64 vcc, exec, s[4:5]
	s_cbranch_vccnz .LBB32_858
; %bb.857:
	v_cvt_f32_f16_e32 v3, v23
	v_cvt_i32_f32_e32 v3, v3
	global_store_byte v[1:2], v3, off
.LBB32_858:
.LBB32_859:
	v_mov_b32_e32 v2, s37
	v_add_co_u32_e32 v1, vcc, s36, v27
	s_cmp_lt_i32 s16, 11
	v_addc_co_u32_e32 v2, vcc, 0, v2, vcc
	s_cbranch_scc1 .LBB32_1014
; %bb.860:
	s_and_b32 s17, 0xffff, s16
	s_mov_b64 s[12:13], -1
	s_mov_b64 s[8:9], 0
	s_cmp_gt_i32 s17, 25
	s_mov_b64 s[10:11], 0
	s_mov_b64 s[4:5], 0
	s_cbranch_scc0 .LBB32_893
; %bb.861:
	s_cmp_gt_i32 s17, 28
	s_cbranch_scc0 .LBB32_876
; %bb.862:
	s_cmp_gt_i32 s17, 43
	;; [unrolled: 3-line block ×3, first 2 shown]
	s_cbranch_scc0 .LBB32_866
; %bb.864:
	s_mov_b64 s[4:5], -1
	s_mov_b64 s[12:13], 0
	s_cmp_eq_u32 s17, 46
	s_cbranch_scc0 .LBB32_866
; %bb.865:
	v_cvt_f32_f16_sdwa v4, v20 dst_sel:DWORD dst_unused:UNUSED_PAD src0_sel:WORD_1
	v_cvt_f32_f16_e32 v3, v20
	s_movk_i32 s4, 0x7fff
	v_cmp_o_f16_sdwa vcc, v20, v20 src0_sel:WORD_1 src1_sel:WORD_1
	v_bfe_u32 v6, v4, 16, 1
	v_bfe_u32 v5, v3, 16, 1
	v_add3_u32 v4, v4, v6, s4
	v_add3_u32 v3, v3, v5, s4
	v_and_b32_e32 v4, 0xffff0000, v4
	v_mov_b32_e32 v5, 0x7fc00000
	v_cndmask_b32_e32 v4, v5, v4, vcc
	v_cmp_o_f16_e32 vcc, v20, v20
	v_mov_b32_e32 v5, 0x7fc0
	v_cndmask_b32_sdwa v3, v5, v3, vcc dst_sel:DWORD dst_unused:UNUSED_PAD src0_sel:DWORD src1_sel:WORD_1
	v_or_b32_e32 v3, v4, v3
	global_store_dword v[1:2], v3, off
	s_mov_b64 s[4:5], 0
	s_mov_b64 s[10:11], -1
.LBB32_866:
	s_and_b64 vcc, exec, s[12:13]
	s_cbranch_vccz .LBB32_871
; %bb.867:
	s_cmp_eq_u32 s17, 44
	s_mov_b64 s[4:5], -1
	s_cbranch_scc0 .LBB32_871
; %bb.868:
	v_cvt_f32_f16_e32 v3, v20
	s_movk_i32 s4, 0xff
	v_mov_b32_e32 v5, 0xff
	v_bfe_u32 v4, v3, 23, 8
	v_cmp_ne_u32_e32 vcc, s4, v4
	s_and_saveexec_b64 s[10:11], vcc
; %bb.869:
	s_mov_b32 s4, 0x3fffff
	v_lshrrev_b32_e32 v5, 23, v3
	v_and_b32_e32 v6, 0x400000, v3
	v_and_or_b32 v3, v3, s4, v4
	v_cmp_ne_u32_e32 vcc, 0, v6
	v_cmp_ne_u32_e64 s[4:5], 0, v3
	s_and_b64 s[4:5], vcc, s[4:5]
	v_cndmask_b32_e64 v3, 0, 1, s[4:5]
	v_add_u32_e32 v5, v5, v3
; %bb.870:
	s_or_b64 exec, exec, s[10:11]
	s_mov_b64 s[4:5], 0
	s_mov_b64 s[10:11], -1
	global_store_byte v[1:2], v5, off
.LBB32_871:
	s_mov_b64 s[12:13], 0
.LBB32_872:
	s_and_b64 vcc, exec, s[12:13]
	s_cbranch_vccz .LBB32_875
; %bb.873:
	s_cmp_eq_u32 s17, 29
	s_mov_b64 s[4:5], -1
	s_cbranch_scc0 .LBB32_875
; %bb.874:
	v_cvt_f32_f16_e32 v3, v20
	v_mov_b32_e32 v4, 0
	s_mov_b64 s[4:5], 0
	s_mov_b64 s[10:11], -1
	v_cvt_u32_f32_e32 v3, v3
	global_store_dwordx2 v[1:2], v[3:4], off
.LBB32_875:
	s_mov_b64 s[12:13], 0
.LBB32_876:
	s_and_b64 vcc, exec, s[12:13]
	s_cbranch_vccz .LBB32_892
; %bb.877:
	s_cmp_lt_i32 s17, 27
	s_mov_b64 s[10:11], -1
	s_cbranch_scc1 .LBB32_883
; %bb.878:
	s_cmp_gt_i32 s17, 27
	s_cbranch_scc0 .LBB32_880
; %bb.879:
	v_cvt_f32_f16_e32 v3, v20
	s_mov_b64 s[10:11], 0
	v_cvt_u32_f32_e32 v3, v3
	global_store_dword v[1:2], v3, off
.LBB32_880:
	s_andn2_b64 vcc, exec, s[10:11]
	s_cbranch_vccnz .LBB32_882
; %bb.881:
	v_cvt_u16_f16_e32 v3, v20
	global_store_short v[1:2], v3, off
.LBB32_882:
	s_mov_b64 s[10:11], 0
.LBB32_883:
	s_andn2_b64 vcc, exec, s[10:11]
	s_cbranch_vccnz .LBB32_891
; %bb.884:
	v_cvt_f32_f16_e32 v3, v20
	s_mov_b32 s10, 0x43800000
	v_mov_b32_e32 v5, 0x80
	v_and_b32_e32 v4, 0x7fffffff, v3
	v_cmp_gt_u32_e32 vcc, s10, v4
	s_and_saveexec_b64 s[10:11], vcc
	s_cbranch_execz .LBB32_890
; %bb.885:
	s_mov_b32 s12, 0x3bffffff
	v_cmp_lt_u32_e32 vcc, s12, v4
	s_mov_b64 s[12:13], 0
                                        ; implicit-def: $vgpr4
	s_and_saveexec_b64 s[14:15], vcc
	s_xor_b64 s[14:15], exec, s[14:15]
	s_cbranch_execz .LBB32_1109
; %bb.886:
	v_bfe_u32 v4, v3, 20, 1
	s_mov_b32 s18, 0x487ffff
	v_add3_u32 v4, v3, v4, s18
	s_mov_b64 s[12:13], exec
	v_lshrrev_b32_e32 v4, 20, v4
	s_andn2_saveexec_b64 s[14:15], s[14:15]
	s_cbranch_execnz .LBB32_1110
.LBB32_887:
	s_or_b64 exec, exec, s[14:15]
	v_mov_b32_e32 v5, 0
	s_and_saveexec_b64 s[14:15], s[12:13]
.LBB32_888:
	v_lshrrev_b32_e32 v3, 24, v3
	s_movk_i32 s12, 0x80
	v_and_or_b32 v5, v3, s12, v4
.LBB32_889:
	s_or_b64 exec, exec, s[14:15]
.LBB32_890:
	s_or_b64 exec, exec, s[10:11]
	global_store_byte v[1:2], v5, off
.LBB32_891:
	s_mov_b64 s[10:11], -1
.LBB32_892:
	s_mov_b64 s[12:13], 0
.LBB32_893:
	s_and_b64 vcc, exec, s[12:13]
	s_cbranch_vccz .LBB32_933
; %bb.894:
	s_cmp_gt_i32 s17, 22
	s_mov_b64 s[8:9], -1
	s_cbranch_scc0 .LBB32_926
; %bb.895:
	s_cmp_lt_i32 s17, 24
	s_cbranch_scc1 .LBB32_915
; %bb.896:
	s_cmp_gt_i32 s17, 24
	s_cbranch_scc0 .LBB32_904
; %bb.897:
	v_cvt_f32_f16_e32 v3, v20
	s_mov_b32 s8, 0x47800000
	v_mov_b32_e32 v5, 0x80
	v_and_b32_e32 v4, 0x7fffffff, v3
	v_cmp_gt_u32_e32 vcc, s8, v4
	s_and_saveexec_b64 s[8:9], vcc
	s_cbranch_execz .LBB32_903
; %bb.898:
	s_mov_b32 s10, 0x37ffffff
	v_cmp_lt_u32_e32 vcc, s10, v4
	s_mov_b64 s[10:11], 0
                                        ; implicit-def: $vgpr4
	s_and_saveexec_b64 s[12:13], vcc
	s_xor_b64 s[12:13], exec, s[12:13]
	s_cbranch_execz .LBB32_1114
; %bb.899:
	v_bfe_u32 v4, v3, 21, 1
	s_mov_b32 s14, 0x88fffff
	v_add3_u32 v4, v3, v4, s14
	s_mov_b64 s[10:11], exec
	v_lshrrev_b32_e32 v4, 21, v4
	s_andn2_saveexec_b64 s[12:13], s[12:13]
	s_cbranch_execnz .LBB32_1115
.LBB32_900:
	s_or_b64 exec, exec, s[12:13]
	v_mov_b32_e32 v5, 0
	s_and_saveexec_b64 s[12:13], s[10:11]
.LBB32_901:
	v_lshrrev_b32_e32 v3, 24, v3
	s_movk_i32 s10, 0x80
	v_and_or_b32 v5, v3, s10, v4
.LBB32_902:
	s_or_b64 exec, exec, s[12:13]
.LBB32_903:
	s_or_b64 exec, exec, s[8:9]
	s_mov_b64 s[8:9], 0
	global_store_byte v[1:2], v5, off
.LBB32_904:
	s_and_b64 vcc, exec, s[8:9]
	s_cbranch_vccz .LBB32_914
; %bb.905:
	v_cvt_f32_f16_e32 v3, v20
	s_mov_b32 s8, 0x43f00000
                                        ; implicit-def: $vgpr4
	v_and_b32_e32 v5, 0x7fffffff, v3
	v_cmp_gt_u32_e32 vcc, s8, v5
	s_and_saveexec_b64 s[8:9], vcc
	s_xor_b64 s[8:9], exec, s[8:9]
	s_cbranch_execz .LBB32_911
; %bb.906:
	s_mov_b32 s10, 0x3c7fffff
	v_cmp_lt_u32_e32 vcc, s10, v5
                                        ; implicit-def: $vgpr4
	s_and_saveexec_b64 s[10:11], vcc
	s_xor_b64 s[10:11], exec, s[10:11]
; %bb.907:
	v_bfe_u32 v4, v3, 20, 1
	s_mov_b32 s12, 0x407ffff
	v_add3_u32 v4, v3, v4, s12
	v_lshrrev_b32_e32 v5, 20, v4
	v_and_b32_e32 v4, 0xff00000, v4
	s_mov_b32 s12, 0x7f00000
	v_mov_b32_e32 v6, 0x7e
	v_cmp_ne_u32_e32 vcc, s12, v4
	v_cndmask_b32_e32 v4, v6, v5, vcc
; %bb.908:
	s_andn2_saveexec_b64 s[10:11], s[10:11]
; %bb.909:
	s_mov_b32 s12, 0x46800000
	v_add_f32_e64 v4, |v3|, s12
; %bb.910:
	s_or_b64 exec, exec, s[10:11]
                                        ; implicit-def: $vgpr5
.LBB32_911:
	s_andn2_saveexec_b64 s[8:9], s[8:9]
; %bb.912:
	s_mov_b32 s10, 0x7f800000
	v_mov_b32_e32 v4, 0x7e
	v_mov_b32_e32 v6, 0x7f
	v_cmp_lt_u32_e32 vcc, s10, v5
	v_cndmask_b32_e32 v4, v4, v6, vcc
; %bb.913:
	s_or_b64 exec, exec, s[8:9]
	v_lshrrev_b32_e32 v3, 24, v3
	s_movk_i32 s8, 0x80
	v_and_or_b32 v3, v3, s8, v4
	global_store_byte v[1:2], v3, off
.LBB32_914:
	s_mov_b64 s[8:9], 0
.LBB32_915:
	s_andn2_b64 vcc, exec, s[8:9]
	s_cbranch_vccnz .LBB32_925
; %bb.916:
	v_cvt_f32_f16_e32 v3, v20
	s_mov_b32 s8, 0x47800000
                                        ; implicit-def: $vgpr4
	v_and_b32_e32 v5, 0x7fffffff, v3
	v_cmp_gt_u32_e32 vcc, s8, v5
	s_and_saveexec_b64 s[8:9], vcc
	s_xor_b64 s[8:9], exec, s[8:9]
	s_cbranch_execz .LBB32_922
; %bb.917:
	s_mov_b32 s10, 0x387fffff
	v_cmp_lt_u32_e32 vcc, s10, v5
                                        ; implicit-def: $vgpr4
	s_and_saveexec_b64 s[10:11], vcc
	s_xor_b64 s[10:11], exec, s[10:11]
; %bb.918:
	v_bfe_u32 v4, v3, 21, 1
	s_mov_b32 s12, 0x80fffff
	v_add3_u32 v4, v3, v4, s12
	v_lshrrev_b32_e32 v4, 21, v4
; %bb.919:
	s_andn2_saveexec_b64 s[10:11], s[10:11]
; %bb.920:
	s_mov_b32 s12, 0x43000000
	v_add_f32_e64 v4, |v3|, s12
; %bb.921:
	s_or_b64 exec, exec, s[10:11]
                                        ; implicit-def: $vgpr5
.LBB32_922:
	s_andn2_saveexec_b64 s[8:9], s[8:9]
; %bb.923:
	s_mov_b32 s10, 0x7f800000
	v_mov_b32_e32 v4, 0x7c
	v_mov_b32_e32 v6, 0x7f
	v_cmp_lt_u32_e32 vcc, s10, v5
	v_cndmask_b32_e32 v4, v4, v6, vcc
; %bb.924:
	s_or_b64 exec, exec, s[8:9]
	v_lshrrev_b32_e32 v3, 24, v3
	s_movk_i32 s8, 0x80
	v_and_or_b32 v3, v3, s8, v4
	global_store_byte v[1:2], v3, off
.LBB32_925:
	s_mov_b64 s[8:9], 0
	s_mov_b64 s[10:11], -1
.LBB32_926:
	s_andn2_b64 vcc, exec, s[8:9]
	s_mov_b64 s[8:9], 0
	s_cbranch_vccnz .LBB32_933
; %bb.927:
	s_cmp_gt_i32 s17, 14
	s_mov_b64 s[12:13], -1
	s_cbranch_scc0 .LBB32_931
; %bb.928:
	s_cmp_eq_u32 s17, 15
	s_mov_b64 s[4:5], -1
	s_cbranch_scc0 .LBB32_930
; %bb.929:
	v_cvt_f32_f16_e32 v3, v20
	s_movk_i32 s4, 0x7fff
	v_cmp_o_f16_e32 vcc, v20, v20
	v_mov_b32_e32 v4, 0x7fc0
	v_bfe_u32 v5, v3, 16, 1
	v_add3_u32 v3, v3, v5, s4
	v_cndmask_b32_sdwa v3, v4, v3, vcc dst_sel:DWORD dst_unused:UNUSED_PAD src0_sel:DWORD src1_sel:WORD_1
	global_store_short v[1:2], v3, off
	s_mov_b64 s[4:5], 0
	s_mov_b64 s[10:11], -1
.LBB32_930:
	s_mov_b64 s[12:13], 0
.LBB32_931:
	s_and_b64 vcc, exec, s[12:13]
	s_cbranch_vccz .LBB32_933
; %bb.932:
	s_cmp_lg_u32 s17, 11
	s_mov_b64 s[8:9], -1
	s_cselect_b64 s[4:5], -1, 0
.LBB32_933:
	s_and_b64 vcc, exec, s[4:5]
	s_cbranch_vccnz .LBB32_1111
; %bb.934:
	s_andn2_b64 vcc, exec, s[8:9]
	s_cbranch_vccnz .LBB32_936
.LBB32_935:
	v_and_b32_e32 v3, 0x7fff7fff, v20
	v_cmp_ne_u32_e32 vcc, 0, v3
	v_cndmask_b32_e64 v3, 0, 1, vcc
	s_mov_b64 s[10:11], -1
	global_store_byte v[1:2], v3, off
.LBB32_936:
.LBB32_937:
	s_andn2_b64 vcc, exec, s[10:11]
	s_cbranch_vccnz .LBB32_1053
.LBB32_938:
	v_mov_b32_e32 v2, s37
	v_add_co_u32_e32 v1, vcc, s36, v25
	s_cmp_lt_i32 s16, 11
	v_addc_co_u32_e32 v2, vcc, 0, v2, vcc
	s_cbranch_scc1 .LBB32_1098
; %bb.939:
	s_and_b32 s17, 0xffff, s16
	s_mov_b64 s[10:11], -1
	s_mov_b64 s[8:9], 0
	s_cmp_gt_i32 s17, 25
	s_mov_b64 s[4:5], 0
	s_cbranch_scc0 .LBB32_972
; %bb.940:
	s_cmp_gt_i32 s17, 28
	s_cbranch_scc0 .LBB32_956
; %bb.941:
	s_cmp_gt_i32 s17, 43
	;; [unrolled: 3-line block ×3, first 2 shown]
	s_cbranch_scc0 .LBB32_946
; %bb.943:
	s_cmp_eq_u32 s17, 46
	s_mov_b64 s[4:5], -1
	s_cbranch_scc0 .LBB32_945
; %bb.944:
	v_cvt_f32_f16_sdwa v4, v0 dst_sel:DWORD dst_unused:UNUSED_PAD src0_sel:WORD_1
	v_cvt_f32_f16_e32 v3, v0
	s_movk_i32 s4, 0x7fff
	v_cmp_o_f16_sdwa vcc, v0, v0 src0_sel:WORD_1 src1_sel:WORD_1
	v_bfe_u32 v6, v4, 16, 1
	v_bfe_u32 v5, v3, 16, 1
	v_add3_u32 v4, v4, v6, s4
	v_add3_u32 v3, v3, v5, s4
	v_and_b32_e32 v4, 0xffff0000, v4
	v_mov_b32_e32 v5, 0x7fc00000
	v_cndmask_b32_e32 v4, v5, v4, vcc
	v_cmp_o_f16_e32 vcc, v0, v0
	v_mov_b32_e32 v5, 0x7fc0
	v_cndmask_b32_sdwa v3, v5, v3, vcc dst_sel:DWORD dst_unused:UNUSED_PAD src0_sel:DWORD src1_sel:WORD_1
	v_or_b32_e32 v3, v4, v3
	global_store_dword v[1:2], v3, off
	s_mov_b64 s[4:5], 0
.LBB32_945:
	s_mov_b64 s[10:11], 0
.LBB32_946:
	s_and_b64 vcc, exec, s[10:11]
	s_cbranch_vccz .LBB32_951
; %bb.947:
	s_cmp_eq_u32 s17, 44
	s_mov_b64 s[4:5], -1
	s_cbranch_scc0 .LBB32_951
; %bb.948:
	v_cvt_f32_f16_e32 v3, v0
	s_movk_i32 s4, 0xff
	v_mov_b32_e32 v5, 0xff
	v_bfe_u32 v4, v3, 23, 8
	v_cmp_ne_u32_e32 vcc, s4, v4
	s_and_saveexec_b64 s[10:11], vcc
; %bb.949:
	s_mov_b32 s4, 0x3fffff
	v_lshrrev_b32_e32 v5, 23, v3
	v_and_b32_e32 v6, 0x400000, v3
	v_and_or_b32 v3, v3, s4, v4
	v_cmp_ne_u32_e32 vcc, 0, v6
	v_cmp_ne_u32_e64 s[4:5], 0, v3
	s_and_b64 s[4:5], vcc, s[4:5]
	v_cndmask_b32_e64 v3, 0, 1, s[4:5]
	v_add_u32_e32 v5, v5, v3
; %bb.950:
	s_or_b64 exec, exec, s[10:11]
	s_mov_b64 s[4:5], 0
	global_store_byte v[1:2], v5, off
.LBB32_951:
	s_mov_b64 s[10:11], 0
.LBB32_952:
	s_and_b64 vcc, exec, s[10:11]
	s_cbranch_vccz .LBB32_955
; %bb.953:
	s_cmp_eq_u32 s17, 29
	s_mov_b64 s[4:5], -1
	s_cbranch_scc0 .LBB32_955
; %bb.954:
	v_cvt_f32_f16_e32 v3, v0
	v_mov_b32_e32 v4, 0
	s_mov_b64 s[4:5], 0
	v_cvt_u32_f32_e32 v3, v3
	global_store_dwordx2 v[1:2], v[3:4], off
.LBB32_955:
	s_mov_b64 s[10:11], 0
.LBB32_956:
	s_and_b64 vcc, exec, s[10:11]
	s_cbranch_vccz .LBB32_971
; %bb.957:
	s_cmp_lt_i32 s17, 27
	s_mov_b64 s[10:11], -1
	s_cbranch_scc1 .LBB32_963
; %bb.958:
	s_cmp_gt_i32 s17, 27
	s_cbranch_scc0 .LBB32_960
; %bb.959:
	v_cvt_f32_f16_e32 v3, v0
	s_mov_b64 s[10:11], 0
	v_cvt_u32_f32_e32 v3, v3
	global_store_dword v[1:2], v3, off
.LBB32_960:
	s_andn2_b64 vcc, exec, s[10:11]
	s_cbranch_vccnz .LBB32_962
; %bb.961:
	v_cvt_u16_f16_e32 v3, v0
	global_store_short v[1:2], v3, off
.LBB32_962:
	s_mov_b64 s[10:11], 0
.LBB32_963:
	s_andn2_b64 vcc, exec, s[10:11]
	s_cbranch_vccnz .LBB32_971
; %bb.964:
	v_cvt_f32_f16_e32 v3, v0
	s_mov_b32 s10, 0x43800000
	v_mov_b32_e32 v5, 0x80
	v_and_b32_e32 v4, 0x7fffffff, v3
	v_cmp_gt_u32_e32 vcc, s10, v4
	s_and_saveexec_b64 s[10:11], vcc
	s_cbranch_execz .LBB32_970
; %bb.965:
	s_mov_b32 s12, 0x3bffffff
	v_cmp_lt_u32_e32 vcc, s12, v4
	s_mov_b64 s[12:13], 0
                                        ; implicit-def: $vgpr4
	s_and_saveexec_b64 s[14:15], vcc
	s_xor_b64 s[14:15], exec, s[14:15]
	s_cbranch_execz .LBB32_1116
; %bb.966:
	v_bfe_u32 v4, v3, 20, 1
	s_mov_b32 s18, 0x487ffff
	v_add3_u32 v4, v3, v4, s18
	s_mov_b64 s[12:13], exec
	v_lshrrev_b32_e32 v4, 20, v4
	s_andn2_saveexec_b64 s[14:15], s[14:15]
	s_cbranch_execnz .LBB32_1117
.LBB32_967:
	s_or_b64 exec, exec, s[14:15]
	v_mov_b32_e32 v5, 0
	s_and_saveexec_b64 s[14:15], s[12:13]
.LBB32_968:
	v_lshrrev_b32_e32 v3, 24, v3
	s_movk_i32 s12, 0x80
	v_and_or_b32 v5, v3, s12, v4
.LBB32_969:
	s_or_b64 exec, exec, s[14:15]
.LBB32_970:
	s_or_b64 exec, exec, s[10:11]
	global_store_byte v[1:2], v5, off
.LBB32_971:
	s_mov_b64 s[10:11], 0
.LBB32_972:
	s_and_b64 vcc, exec, s[10:11]
	s_cbranch_vccz .LBB32_1012
; %bb.973:
	s_cmp_gt_i32 s17, 22
	s_mov_b64 s[8:9], -1
	s_cbranch_scc0 .LBB32_1005
; %bb.974:
	s_cmp_lt_i32 s17, 24
	s_cbranch_scc1 .LBB32_994
; %bb.975:
	s_cmp_gt_i32 s17, 24
	s_cbranch_scc0 .LBB32_983
; %bb.976:
	v_cvt_f32_f16_e32 v3, v0
	s_mov_b32 s8, 0x47800000
	v_mov_b32_e32 v5, 0x80
	v_and_b32_e32 v4, 0x7fffffff, v3
	v_cmp_gt_u32_e32 vcc, s8, v4
	s_and_saveexec_b64 s[8:9], vcc
	s_cbranch_execz .LBB32_982
; %bb.977:
	s_mov_b32 s10, 0x37ffffff
	v_cmp_lt_u32_e32 vcc, s10, v4
	s_mov_b64 s[10:11], 0
                                        ; implicit-def: $vgpr4
	s_and_saveexec_b64 s[12:13], vcc
	s_xor_b64 s[12:13], exec, s[12:13]
	s_cbranch_execz .LBB32_1123
; %bb.978:
	v_bfe_u32 v4, v3, 21, 1
	s_mov_b32 s14, 0x88fffff
	v_add3_u32 v4, v3, v4, s14
	s_mov_b64 s[10:11], exec
	v_lshrrev_b32_e32 v4, 21, v4
	s_andn2_saveexec_b64 s[12:13], s[12:13]
	s_cbranch_execnz .LBB32_1124
.LBB32_979:
	s_or_b64 exec, exec, s[12:13]
	v_mov_b32_e32 v5, 0
	s_and_saveexec_b64 s[12:13], s[10:11]
.LBB32_980:
	v_lshrrev_b32_e32 v3, 24, v3
	s_movk_i32 s10, 0x80
	v_and_or_b32 v5, v3, s10, v4
.LBB32_981:
	s_or_b64 exec, exec, s[12:13]
.LBB32_982:
	s_or_b64 exec, exec, s[8:9]
	s_mov_b64 s[8:9], 0
	global_store_byte v[1:2], v5, off
.LBB32_983:
	s_and_b64 vcc, exec, s[8:9]
	s_cbranch_vccz .LBB32_993
; %bb.984:
	v_cvt_f32_f16_e32 v3, v0
	s_mov_b32 s8, 0x43f00000
                                        ; implicit-def: $vgpr4
	v_and_b32_e32 v5, 0x7fffffff, v3
	v_cmp_gt_u32_e32 vcc, s8, v5
	s_and_saveexec_b64 s[8:9], vcc
	s_xor_b64 s[8:9], exec, s[8:9]
	s_cbranch_execz .LBB32_990
; %bb.985:
	s_mov_b32 s10, 0x3c7fffff
	v_cmp_lt_u32_e32 vcc, s10, v5
                                        ; implicit-def: $vgpr4
	s_and_saveexec_b64 s[10:11], vcc
	s_xor_b64 s[10:11], exec, s[10:11]
; %bb.986:
	v_bfe_u32 v4, v3, 20, 1
	s_mov_b32 s12, 0x407ffff
	v_add3_u32 v4, v3, v4, s12
	v_lshrrev_b32_e32 v5, 20, v4
	v_and_b32_e32 v4, 0xff00000, v4
	s_mov_b32 s12, 0x7f00000
	v_mov_b32_e32 v6, 0x7e
	v_cmp_ne_u32_e32 vcc, s12, v4
	v_cndmask_b32_e32 v4, v6, v5, vcc
; %bb.987:
	s_andn2_saveexec_b64 s[10:11], s[10:11]
; %bb.988:
	s_mov_b32 s12, 0x46800000
	v_add_f32_e64 v4, |v3|, s12
; %bb.989:
	s_or_b64 exec, exec, s[10:11]
                                        ; implicit-def: $vgpr5
.LBB32_990:
	s_andn2_saveexec_b64 s[8:9], s[8:9]
; %bb.991:
	s_mov_b32 s10, 0x7f800000
	v_mov_b32_e32 v4, 0x7e
	v_mov_b32_e32 v6, 0x7f
	v_cmp_lt_u32_e32 vcc, s10, v5
	v_cndmask_b32_e32 v4, v4, v6, vcc
; %bb.992:
	s_or_b64 exec, exec, s[8:9]
	v_lshrrev_b32_e32 v3, 24, v3
	s_movk_i32 s8, 0x80
	v_and_or_b32 v3, v3, s8, v4
	global_store_byte v[1:2], v3, off
.LBB32_993:
	s_mov_b64 s[8:9], 0
.LBB32_994:
	s_andn2_b64 vcc, exec, s[8:9]
	s_cbranch_vccnz .LBB32_1004
; %bb.995:
	v_cvt_f32_f16_e32 v3, v0
	s_mov_b32 s8, 0x47800000
                                        ; implicit-def: $vgpr4
	v_and_b32_e32 v5, 0x7fffffff, v3
	v_cmp_gt_u32_e32 vcc, s8, v5
	s_and_saveexec_b64 s[8:9], vcc
	s_xor_b64 s[8:9], exec, s[8:9]
	s_cbranch_execz .LBB32_1001
; %bb.996:
	s_mov_b32 s10, 0x387fffff
	v_cmp_lt_u32_e32 vcc, s10, v5
                                        ; implicit-def: $vgpr4
	s_and_saveexec_b64 s[10:11], vcc
	s_xor_b64 s[10:11], exec, s[10:11]
; %bb.997:
	v_bfe_u32 v4, v3, 21, 1
	s_mov_b32 s12, 0x80fffff
	v_add3_u32 v4, v3, v4, s12
	v_lshrrev_b32_e32 v4, 21, v4
; %bb.998:
	s_andn2_saveexec_b64 s[10:11], s[10:11]
; %bb.999:
	s_mov_b32 s12, 0x43000000
	v_add_f32_e64 v4, |v3|, s12
; %bb.1000:
	s_or_b64 exec, exec, s[10:11]
                                        ; implicit-def: $vgpr5
.LBB32_1001:
	s_andn2_saveexec_b64 s[8:9], s[8:9]
; %bb.1002:
	s_mov_b32 s10, 0x7f800000
	v_mov_b32_e32 v4, 0x7c
	v_mov_b32_e32 v6, 0x7f
	v_cmp_lt_u32_e32 vcc, s10, v5
	v_cndmask_b32_e32 v4, v4, v6, vcc
; %bb.1003:
	s_or_b64 exec, exec, s[8:9]
	v_lshrrev_b32_e32 v3, 24, v3
	s_movk_i32 s8, 0x80
	v_and_or_b32 v3, v3, s8, v4
	global_store_byte v[1:2], v3, off
.LBB32_1004:
	s_mov_b64 s[8:9], 0
.LBB32_1005:
	s_andn2_b64 vcc, exec, s[8:9]
	s_mov_b64 s[8:9], 0
	s_cbranch_vccnz .LBB32_1012
; %bb.1006:
	s_cmp_gt_i32 s17, 14
	s_mov_b64 s[10:11], -1
	s_cbranch_scc0 .LBB32_1010
; %bb.1007:
	s_cmp_eq_u32 s17, 15
	s_mov_b64 s[4:5], -1
	s_cbranch_scc0 .LBB32_1009
; %bb.1008:
	v_cvt_f32_f16_e32 v3, v0
	s_movk_i32 s4, 0x7fff
	v_cmp_o_f16_e32 vcc, v0, v0
	v_mov_b32_e32 v4, 0x7fc0
	v_bfe_u32 v5, v3, 16, 1
	v_add3_u32 v3, v3, v5, s4
	v_cndmask_b32_sdwa v3, v4, v3, vcc dst_sel:DWORD dst_unused:UNUSED_PAD src0_sel:DWORD src1_sel:WORD_1
	global_store_short v[1:2], v3, off
	s_mov_b64 s[4:5], 0
.LBB32_1009:
	s_mov_b64 s[10:11], 0
.LBB32_1010:
	s_and_b64 vcc, exec, s[10:11]
	s_cbranch_vccz .LBB32_1012
; %bb.1011:
	s_cmp_lg_u32 s17, 11
	s_mov_b64 s[8:9], -1
	s_cselect_b64 s[4:5], -1, 0
.LBB32_1012:
	s_and_b64 vcc, exec, s[4:5]
	s_cbranch_vccnz .LBB32_1118
.LBB32_1013:
	s_mov_b64 s[4:5], 0
	s_branch .LBB32_1054
.LBB32_1014:
	s_mov_b64 s[10:11], 0
	s_cbranch_execz .LBB32_937
; %bb.1015:
	s_and_b32 s8, 0xffff, s16
	s_cmp_lt_i32 s8, 5
	s_mov_b64 s[4:5], -1
	s_cbranch_scc1 .LBB32_1036
; %bb.1016:
	s_cmp_lt_i32 s8, 8
	s_cbranch_scc1 .LBB32_1026
; %bb.1017:
	s_cmp_lt_i32 s8, 9
	s_cbranch_scc1 .LBB32_1023
; %bb.1018:
	v_cvt_f32_f16_sdwa v4, v20 dst_sel:DWORD dst_unused:UNUSED_PAD src0_sel:WORD_1
	s_cmp_gt_i32 s8, 9
	s_cbranch_scc0 .LBB32_1020
; %bb.1019:
	v_cvt_f32_f16_e32 v3, v20
	v_cvt_f64_f32_e32 v[7:8], v4
	s_mov_b64 s[4:5], 0
	v_cvt_f64_f32_e32 v[5:6], v3
	global_store_dwordx4 v[1:2], v[5:8], off
.LBB32_1020:
	s_andn2_b64 vcc, exec, s[4:5]
	s_cbranch_vccnz .LBB32_1022
; %bb.1021:
	v_cvt_f32_f16_e32 v3, v20
	global_store_dwordx2 v[1:2], v[3:4], off
.LBB32_1022:
	s_mov_b64 s[4:5], 0
.LBB32_1023:
	s_andn2_b64 vcc, exec, s[4:5]
	s_cbranch_vccnz .LBB32_1025
; %bb.1024:
	global_store_dword v[1:2], v20, off
.LBB32_1025:
	s_mov_b64 s[4:5], 0
.LBB32_1026:
	s_andn2_b64 vcc, exec, s[4:5]
	s_cbranch_vccnz .LBB32_1035
; %bb.1027:
	s_cmp_lt_i32 s8, 6
	s_mov_b64 s[4:5], -1
	s_cbranch_scc1 .LBB32_1033
; %bb.1028:
	s_cmp_gt_i32 s8, 6
	s_cbranch_scc0 .LBB32_1030
; %bb.1029:
	v_cvt_f32_f16_e32 v3, v20
	s_mov_b64 s[4:5], 0
	v_cvt_f64_f32_e32 v[3:4], v3
	global_store_dwordx2 v[1:2], v[3:4], off
.LBB32_1030:
	s_andn2_b64 vcc, exec, s[4:5]
	s_cbranch_vccnz .LBB32_1032
; %bb.1031:
	v_cvt_f32_f16_e32 v3, v20
	global_store_dword v[1:2], v3, off
.LBB32_1032:
	s_mov_b64 s[4:5], 0
.LBB32_1033:
	s_andn2_b64 vcc, exec, s[4:5]
	s_cbranch_vccnz .LBB32_1035
; %bb.1034:
	global_store_short v[1:2], v20, off
.LBB32_1035:
	s_mov_b64 s[4:5], 0
.LBB32_1036:
	s_andn2_b64 vcc, exec, s[4:5]
	s_cbranch_vccnz .LBB32_1052
; %bb.1037:
	s_cmp_lt_i32 s8, 2
	s_mov_b64 s[4:5], -1
	s_cbranch_scc1 .LBB32_1047
; %bb.1038:
	s_cmp_lt_i32 s8, 3
	s_cbranch_scc1 .LBB32_1044
; %bb.1039:
	s_cmp_gt_i32 s8, 3
	s_cbranch_scc0 .LBB32_1041
; %bb.1040:
	v_cvt_f32_f16_e32 v3, v20
	s_mov_b64 s[4:5], 0
	v_cvt_i32_f32_e32 v3, v3
	v_ashrrev_i32_e32 v4, 31, v3
	global_store_dwordx2 v[1:2], v[3:4], off
.LBB32_1041:
	s_andn2_b64 vcc, exec, s[4:5]
	s_cbranch_vccnz .LBB32_1043
; %bb.1042:
	v_cvt_f32_f16_e32 v3, v20
	v_cvt_i32_f32_e32 v3, v3
	global_store_dword v[1:2], v3, off
.LBB32_1043:
	s_mov_b64 s[4:5], 0
.LBB32_1044:
	s_andn2_b64 vcc, exec, s[4:5]
	s_cbranch_vccnz .LBB32_1046
; %bb.1045:
	v_cvt_i16_f16_e32 v3, v20
	global_store_short v[1:2], v3, off
.LBB32_1046:
	s_mov_b64 s[4:5], 0
.LBB32_1047:
	s_andn2_b64 vcc, exec, s[4:5]
	s_cbranch_vccnz .LBB32_1052
; %bb.1048:
	s_cmp_gt_i32 s8, 0
	s_mov_b64 s[4:5], -1
	s_cbranch_scc0 .LBB32_1050
; %bb.1049:
	v_cvt_i16_f16_e32 v3, v20
	global_store_byte v[1:2], v3, off
	s_mov_b64 s[4:5], 0
.LBB32_1050:
	s_andn2_b64 vcc, exec, s[4:5]
	s_cbranch_vccnz .LBB32_1052
; %bb.1051:
	v_cvt_f32_f16_e32 v3, v20
	v_cvt_i32_f32_e32 v3, v3
	global_store_byte v[1:2], v3, off
.LBB32_1052:
	s_branch .LBB32_938
.LBB32_1053:
	s_mov_b64 s[4:5], 0
	s_mov_b64 s[8:9], 0
                                        ; implicit-def: $sgpr16
                                        ; implicit-def: $vgpr1_vgpr2
.LBB32_1054:
	s_and_b64 s[48:49], s[8:9], exec
	s_andn2_b64 s[8:9], s[40:41], exec
	s_and_b64 s[6:7], s[6:7], exec
	s_and_b64 s[4:5], s[4:5], exec
	s_or_b64 s[40:41], s[8:9], s[6:7]
.LBB32_1055:
	s_or_b64 exec, exec, s[42:43]
	s_and_saveexec_b64 s[6:7], s[40:41]
	s_cbranch_execz .LBB32_1058
; %bb.1056:
	; divergent unreachable
	s_or_b64 exec, exec, s[6:7]
	s_and_saveexec_b64 s[6:7], s[48:49]
	s_xor_b64 s[6:7], exec, s[6:7]
	s_cbranch_execnz .LBB32_1059
.LBB32_1057:
	s_or_b64 exec, exec, s[6:7]
	s_and_saveexec_b64 s[6:7], s[4:5]
	s_cbranch_execnz .LBB32_1060
	s_branch .LBB32_1097
.LBB32_1058:
	s_or_b64 exec, exec, s[6:7]
	s_and_saveexec_b64 s[6:7], s[48:49]
	s_xor_b64 s[6:7], exec, s[6:7]
	s_cbranch_execz .LBB32_1057
.LBB32_1059:
	v_and_b32_e32 v3, 0x7fff7fff, v0
	v_cmp_ne_u32_e32 vcc, 0, v3
	v_cndmask_b32_e64 v3, 0, 1, vcc
	global_store_byte v[1:2], v3, off
	s_or_b64 exec, exec, s[6:7]
	s_and_saveexec_b64 s[6:7], s[4:5]
	s_cbranch_execz .LBB32_1097
.LBB32_1060:
	s_sext_i32_i16 s6, s16
	s_cmp_lt_i32 s6, 5
	s_mov_b64 s[4:5], -1
	s_cbranch_scc1 .LBB32_1081
; %bb.1061:
	s_cmp_lt_i32 s6, 8
	s_cbranch_scc1 .LBB32_1071
; %bb.1062:
	s_cmp_lt_i32 s6, 9
	s_cbranch_scc1 .LBB32_1068
; %bb.1063:
	s_cmp_gt_i32 s6, 9
	s_cbranch_scc0 .LBB32_1065
; %bb.1064:
	v_cvt_f32_f16_e32 v3, v0
	v_cvt_f32_f16_sdwa v5, v0 dst_sel:DWORD dst_unused:UNUSED_PAD src0_sel:WORD_1
	s_mov_b64 s[4:5], 0
	v_cvt_f64_f32_e32 v[3:4], v3
	v_cvt_f64_f32_e32 v[5:6], v5
	global_store_dwordx4 v[1:2], v[3:6], off
.LBB32_1065:
	s_andn2_b64 vcc, exec, s[4:5]
	s_cbranch_vccnz .LBB32_1067
; %bb.1066:
	v_cvt_f32_f16_e32 v3, v0
	v_cvt_f32_f16_sdwa v4, v0 dst_sel:DWORD dst_unused:UNUSED_PAD src0_sel:WORD_1
	global_store_dwordx2 v[1:2], v[3:4], off
.LBB32_1067:
	s_mov_b64 s[4:5], 0
.LBB32_1068:
	s_andn2_b64 vcc, exec, s[4:5]
	s_cbranch_vccnz .LBB32_1070
; %bb.1069:
	global_store_dword v[1:2], v0, off
.LBB32_1070:
	s_mov_b64 s[4:5], 0
.LBB32_1071:
	s_andn2_b64 vcc, exec, s[4:5]
	s_cbranch_vccnz .LBB32_1080
; %bb.1072:
	s_sext_i32_i16 s6, s16
	s_cmp_lt_i32 s6, 6
	s_mov_b64 s[4:5], -1
	s_cbranch_scc1 .LBB32_1078
; %bb.1073:
	s_cmp_gt_i32 s6, 6
	s_cbranch_scc0 .LBB32_1075
; %bb.1074:
	v_cvt_f32_f16_e32 v3, v0
	s_mov_b64 s[4:5], 0
	v_cvt_f64_f32_e32 v[3:4], v3
	global_store_dwordx2 v[1:2], v[3:4], off
.LBB32_1075:
	s_andn2_b64 vcc, exec, s[4:5]
	s_cbranch_vccnz .LBB32_1077
; %bb.1076:
	v_cvt_f32_f16_e32 v3, v0
	global_store_dword v[1:2], v3, off
.LBB32_1077:
	s_mov_b64 s[4:5], 0
.LBB32_1078:
	s_andn2_b64 vcc, exec, s[4:5]
	s_cbranch_vccnz .LBB32_1080
; %bb.1079:
	global_store_short v[1:2], v0, off
.LBB32_1080:
	s_mov_b64 s[4:5], 0
.LBB32_1081:
	s_andn2_b64 vcc, exec, s[4:5]
	s_cbranch_vccnz .LBB32_1097
; %bb.1082:
	s_sext_i32_i16 s6, s16
	s_cmp_lt_i32 s6, 2
	s_mov_b64 s[4:5], -1
	s_cbranch_scc1 .LBB32_1092
; %bb.1083:
	s_cmp_lt_i32 s6, 3
	s_cbranch_scc1 .LBB32_1089
; %bb.1084:
	s_cmp_gt_i32 s6, 3
	s_cbranch_scc0 .LBB32_1086
; %bb.1085:
	v_cvt_f32_f16_e32 v3, v0
	s_mov_b64 s[4:5], 0
	v_cvt_i32_f32_e32 v3, v3
	v_ashrrev_i32_e32 v4, 31, v3
	global_store_dwordx2 v[1:2], v[3:4], off
.LBB32_1086:
	s_andn2_b64 vcc, exec, s[4:5]
	s_cbranch_vccnz .LBB32_1088
; %bb.1087:
	v_cvt_f32_f16_e32 v3, v0
	v_cvt_i32_f32_e32 v3, v3
	global_store_dword v[1:2], v3, off
.LBB32_1088:
	s_mov_b64 s[4:5], 0
.LBB32_1089:
	s_andn2_b64 vcc, exec, s[4:5]
	s_cbranch_vccnz .LBB32_1091
; %bb.1090:
	v_cvt_i16_f16_e32 v3, v0
	global_store_short v[1:2], v3, off
.LBB32_1091:
	s_mov_b64 s[4:5], 0
.LBB32_1092:
	s_andn2_b64 vcc, exec, s[4:5]
	s_cbranch_vccnz .LBB32_1097
; %bb.1093:
	s_sext_i32_i16 s4, s16
	s_cmp_gt_i32 s4, 0
	s_mov_b64 s[4:5], -1
	s_cbranch_scc0 .LBB32_1095
; %bb.1094:
	v_cvt_i16_f16_e32 v3, v0
	global_store_byte v[1:2], v3, off
	s_mov_b64 s[4:5], 0
.LBB32_1095:
	s_andn2_b64 vcc, exec, s[4:5]
	s_cbranch_vccnz .LBB32_1097
; %bb.1096:
	v_cvt_f32_f16_e32 v0, v0
	v_cvt_i32_f32_e32 v0, v0
	global_store_byte v[1:2], v0, off
	s_endpgm
.LBB32_1097:
	s_endpgm
.LBB32_1098:
	s_mov_b64 s[8:9], 0
	s_mov_b64 s[4:5], -1
	s_branch .LBB32_1054
.LBB32_1099:
	s_andn2_saveexec_b64 s[12:13], s[12:13]
	s_cbranch_execz .LBB32_651
.LBB32_1100:
	s_mov_b32 s16, 0x46000000
	v_add_f32_e64 v4, |v3|, s16
	v_and_b32_e32 v4, 0xff, v4
	v_cmp_ne_u32_e32 vcc, 0, v4
	s_andn2_b64 s[10:11], s[10:11], exec
	s_and_b64 s[16:17], vcc, exec
	s_or_b64 s[10:11], s[10:11], s[16:17]
	s_or_b64 exec, exec, s[12:13]
	v_mov_b32_e32 v5, 0
	s_and_saveexec_b64 s[12:13], s[10:11]
	s_cbranch_execnz .LBB32_652
	s_branch .LBB32_653
.LBB32_1101:
	s_or_b64 s[6:7], s[40:41], exec
	s_trap 2
	s_cbranch_execz .LBB32_699
	s_branch .LBB32_700
.LBB32_1102:
	s_andn2_saveexec_b64 s[10:11], s[10:11]
	s_cbranch_execz .LBB32_664
.LBB32_1103:
	s_mov_b32 s12, 0x42800000
	v_add_f32_e64 v4, |v3|, s12
	v_and_b32_e32 v4, 0xff, v4
	v_cmp_ne_u32_e32 vcc, 0, v4
	s_andn2_b64 s[8:9], s[8:9], exec
	s_and_b64 s[12:13], vcc, exec
	s_or_b64 s[8:9], s[8:9], s[12:13]
	s_or_b64 exec, exec, s[10:11]
	v_mov_b32_e32 v5, 0
	s_and_saveexec_b64 s[10:11], s[8:9]
	s_cbranch_execnz .LBB32_665
	s_branch .LBB32_666
.LBB32_1104:
	s_andn2_saveexec_b64 s[14:15], s[14:15]
	s_cbranch_execz .LBB32_769
.LBB32_1105:
	s_mov_b32 s18, 0x46000000
	v_add_f32_e64 v4, |v3|, s18
	v_and_b32_e32 v4, 0xff, v4
	v_cmp_ne_u32_e32 vcc, 0, v4
	s_andn2_b64 s[12:13], s[12:13], exec
	s_and_b64 s[18:19], vcc, exec
	s_or_b64 s[12:13], s[12:13], s[18:19]
	s_or_b64 exec, exec, s[14:15]
	v_mov_b32_e32 v5, 0
	s_and_saveexec_b64 s[14:15], s[12:13]
	s_cbranch_execnz .LBB32_770
	s_branch .LBB32_771
.LBB32_1106:
	s_trap 2
	s_or_b64 s[6:7], s[6:7], exec
	s_cbranch_execz .LBB32_817
	s_branch .LBB32_818
.LBB32_1107:
	s_andn2_saveexec_b64 s[12:13], s[12:13]
	s_cbranch_execz .LBB32_782
.LBB32_1108:
	s_mov_b32 s14, 0x42800000
	v_add_f32_e64 v4, |v3|, s14
	v_and_b32_e32 v4, 0xff, v4
	v_cmp_ne_u32_e32 vcc, 0, v4
	s_andn2_b64 s[10:11], s[10:11], exec
	s_and_b64 s[14:15], vcc, exec
	s_or_b64 s[10:11], s[10:11], s[14:15]
	s_or_b64 exec, exec, s[12:13]
	v_mov_b32_e32 v5, 0
	s_and_saveexec_b64 s[12:13], s[10:11]
	s_cbranch_execnz .LBB32_783
	s_branch .LBB32_784
.LBB32_1109:
	s_andn2_saveexec_b64 s[14:15], s[14:15]
	s_cbranch_execz .LBB32_887
.LBB32_1110:
	s_mov_b32 s18, 0x46000000
	v_add_f32_e64 v4, |v3|, s18
	v_and_b32_e32 v4, 0xff, v4
	v_cmp_ne_u32_e32 vcc, 0, v4
	s_andn2_b64 s[12:13], s[12:13], exec
	s_and_b64 s[18:19], vcc, exec
	s_or_b64 s[12:13], s[12:13], s[18:19]
	s_or_b64 exec, exec, s[14:15]
	v_mov_b32_e32 v5, 0
	s_and_saveexec_b64 s[14:15], s[12:13]
	s_cbranch_execnz .LBB32_888
	s_branch .LBB32_889
.LBB32_1111:
	s_trap 2
	s_or_b64 s[6:7], s[6:7], exec
	s_cbranch_execz .LBB32_935
	s_branch .LBB32_936
.LBB32_1112:
	s_andn2_saveexec_b64 s[10:11], s[10:11]
	s_cbranch_execz .LBB32_338
.LBB32_1113:
	s_mov_b32 s14, 0x46000000
	v_add_f32_e64 v4, |v3|, s14
	v_and_b32_e32 v4, 0xff, v4
	v_cmp_ne_u32_e32 vcc, 0, v4
	s_andn2_b64 s[8:9], s[8:9], exec
	s_and_b64 s[14:15], vcc, exec
	s_or_b64 s[8:9], s[8:9], s[14:15]
	s_or_b64 exec, exec, s[10:11]
	v_mov_b32_e32 v5, 0
	s_and_saveexec_b64 s[10:11], s[8:9]
	s_cbranch_execnz .LBB32_339
	s_branch .LBB32_340
.LBB32_1114:
	s_andn2_saveexec_b64 s[12:13], s[12:13]
	s_cbranch_execz .LBB32_900
.LBB32_1115:
	s_mov_b32 s14, 0x42800000
	v_add_f32_e64 v4, |v3|, s14
	v_and_b32_e32 v4, 0xff, v4
	v_cmp_ne_u32_e32 vcc, 0, v4
	s_andn2_b64 s[10:11], s[10:11], exec
	s_and_b64 s[14:15], vcc, exec
	s_or_b64 s[10:11], s[10:11], s[14:15]
	s_or_b64 exec, exec, s[12:13]
	v_mov_b32_e32 v5, 0
	s_and_saveexec_b64 s[12:13], s[10:11]
	s_cbranch_execnz .LBB32_901
	s_branch .LBB32_902
.LBB32_1116:
	s_andn2_saveexec_b64 s[14:15], s[14:15]
	s_cbranch_execz .LBB32_967
.LBB32_1117:
	s_mov_b32 s18, 0x46000000
	v_add_f32_e64 v4, |v3|, s18
	v_and_b32_e32 v4, 0xff, v4
	v_cmp_ne_u32_e32 vcc, 0, v4
	s_andn2_b64 s[12:13], s[12:13], exec
	s_and_b64 s[18:19], vcc, exec
	s_or_b64 s[12:13], s[12:13], s[18:19]
	s_or_b64 exec, exec, s[14:15]
	v_mov_b32_e32 v5, 0
	s_and_saveexec_b64 s[14:15], s[12:13]
	s_cbranch_execnz .LBB32_968
	s_branch .LBB32_969
.LBB32_1118:
	s_mov_b64 s[8:9], 0
	s_or_b64 s[6:7], s[6:7], exec
	s_trap 2
	s_branch .LBB32_1013
.LBB32_1119:
	s_andn2_saveexec_b64 s[10:11], s[10:11]
	s_cbranch_execz .LBB32_351
.LBB32_1120:
	s_mov_b32 s14, 0x42800000
	v_add_f32_e64 v4, |v3|, s14
	v_and_b32_e32 v4, 0xff, v4
	v_cmp_ne_u32_e32 vcc, 0, v4
	s_andn2_b64 s[8:9], s[8:9], exec
	s_and_b64 s[14:15], vcc, exec
	s_or_b64 s[8:9], s[8:9], s[14:15]
	s_or_b64 exec, exec, s[10:11]
	v_mov_b32_e32 v5, 0
	s_and_saveexec_b64 s[10:11], s[8:9]
	s_cbranch_execnz .LBB32_352
	s_branch .LBB32_353
.LBB32_1121:
	s_andn2_saveexec_b64 s[10:11], s[10:11]
	s_cbranch_execz .LBB32_476
.LBB32_1122:
	s_mov_b32 s12, 0x46000000
	v_add_f32_e64 v4, |v3|, s12
	v_and_b32_e32 v4, 0xff, v4
	v_cmp_ne_u32_e32 vcc, 0, v4
	s_andn2_b64 s[8:9], s[8:9], exec
	s_and_b64 s[12:13], vcc, exec
	s_or_b64 s[8:9], s[8:9], s[12:13]
	s_or_b64 exec, exec, s[10:11]
	v_mov_b32_e32 v5, 0
	s_and_saveexec_b64 s[10:11], s[8:9]
	s_cbranch_execnz .LBB32_477
	s_branch .LBB32_478
.LBB32_1123:
	s_andn2_saveexec_b64 s[12:13], s[12:13]
	s_cbranch_execz .LBB32_979
.LBB32_1124:
	s_mov_b32 s14, 0x42800000
	v_add_f32_e64 v4, |v3|, s14
	v_and_b32_e32 v4, 0xff, v4
	v_cmp_ne_u32_e32 vcc, 0, v4
	s_andn2_b64 s[10:11], s[10:11], exec
	s_and_b64 s[14:15], vcc, exec
	s_or_b64 s[10:11], s[10:11], s[14:15]
	s_or_b64 exec, exec, s[12:13]
	v_mov_b32_e32 v5, 0
	s_and_saveexec_b64 s[12:13], s[10:11]
	s_cbranch_execnz .LBB32_980
	s_branch .LBB32_981
.LBB32_1125:
	s_andn2_saveexec_b64 s[12:13], s[12:13]
	s_cbranch_execz .LBB32_488
.LBB32_1126:
	s_mov_b32 s16, 0x42800000
	v_add_f32_e64 v4, |v3|, s16
	v_and_b32_e32 v4, 0xff, v4
	v_cmp_ne_u32_e32 vcc, 0, v4
	s_andn2_b64 s[10:11], s[10:11], exec
	s_and_b64 s[16:17], vcc, exec
	s_or_b64 s[10:11], s[10:11], s[16:17]
	s_or_b64 exec, exec, s[12:13]
	v_mov_b32_e32 v5, 0
	s_and_saveexec_b64 s[12:13], s[10:11]
	s_cbranch_execnz .LBB32_489
	s_branch .LBB32_490
	.section	.rodata,"a",@progbits
	.p2align	6, 0x0
	.amdhsa_kernel _ZN2at6native32elementwise_kernel_manual_unrollILi128ELi4EZNS0_15gpu_kernel_implIZZZNS0_16asin_kernel_cudaERNS_18TensorIteratorBaseEENKUlvE_clEvENKUlvE1_clEvEUlN3c107complexINS7_4HalfEEEE_EEvS4_RKT_EUlibE0_EEviT1_
		.amdhsa_group_segment_fixed_size 0
		.amdhsa_private_segment_fixed_size 12
		.amdhsa_kernarg_size 360
		.amdhsa_user_sgpr_count 8
		.amdhsa_user_sgpr_private_segment_buffer 1
		.amdhsa_user_sgpr_dispatch_ptr 0
		.amdhsa_user_sgpr_queue_ptr 0
		.amdhsa_user_sgpr_kernarg_segment_ptr 1
		.amdhsa_user_sgpr_dispatch_id 0
		.amdhsa_user_sgpr_flat_scratch_init 1
		.amdhsa_user_sgpr_private_segment_size 0
		.amdhsa_uses_dynamic_stack 0
		.amdhsa_system_sgpr_private_segment_wavefront_offset 1
		.amdhsa_system_sgpr_workgroup_id_x 1
		.amdhsa_system_sgpr_workgroup_id_y 0
		.amdhsa_system_sgpr_workgroup_id_z 0
		.amdhsa_system_sgpr_workgroup_info 0
		.amdhsa_system_vgpr_workitem_id 0
		.amdhsa_next_free_vgpr 33
		.amdhsa_next_free_sgpr 79
		.amdhsa_reserve_vcc 1
		.amdhsa_reserve_flat_scratch 1
		.amdhsa_float_round_mode_32 0
		.amdhsa_float_round_mode_16_64 0
		.amdhsa_float_denorm_mode_32 3
		.amdhsa_float_denorm_mode_16_64 3
		.amdhsa_dx10_clamp 1
		.amdhsa_ieee_mode 1
		.amdhsa_fp16_overflow 0
		.amdhsa_exception_fp_ieee_invalid_op 0
		.amdhsa_exception_fp_denorm_src 0
		.amdhsa_exception_fp_ieee_div_zero 0
		.amdhsa_exception_fp_ieee_overflow 0
		.amdhsa_exception_fp_ieee_underflow 0
		.amdhsa_exception_fp_ieee_inexact 0
		.amdhsa_exception_int_div_zero 0
	.end_amdhsa_kernel
	.section	.text._ZN2at6native32elementwise_kernel_manual_unrollILi128ELi4EZNS0_15gpu_kernel_implIZZZNS0_16asin_kernel_cudaERNS_18TensorIteratorBaseEENKUlvE_clEvENKUlvE1_clEvEUlN3c107complexINS7_4HalfEEEE_EEvS4_RKT_EUlibE0_EEviT1_,"axG",@progbits,_ZN2at6native32elementwise_kernel_manual_unrollILi128ELi4EZNS0_15gpu_kernel_implIZZZNS0_16asin_kernel_cudaERNS_18TensorIteratorBaseEENKUlvE_clEvENKUlvE1_clEvEUlN3c107complexINS7_4HalfEEEE_EEvS4_RKT_EUlibE0_EEviT1_,comdat
.Lfunc_end32:
	.size	_ZN2at6native32elementwise_kernel_manual_unrollILi128ELi4EZNS0_15gpu_kernel_implIZZZNS0_16asin_kernel_cudaERNS_18TensorIteratorBaseEENKUlvE_clEvENKUlvE1_clEvEUlN3c107complexINS7_4HalfEEEE_EEvS4_RKT_EUlibE0_EEviT1_, .Lfunc_end32-_ZN2at6native32elementwise_kernel_manual_unrollILi128ELi4EZNS0_15gpu_kernel_implIZZZNS0_16asin_kernel_cudaERNS_18TensorIteratorBaseEENKUlvE_clEvENKUlvE1_clEvEUlN3c107complexINS7_4HalfEEEE_EEvS4_RKT_EUlibE0_EEviT1_
                                        ; -- End function
	.set _ZN2at6native32elementwise_kernel_manual_unrollILi128ELi4EZNS0_15gpu_kernel_implIZZZNS0_16asin_kernel_cudaERNS_18TensorIteratorBaseEENKUlvE_clEvENKUlvE1_clEvEUlN3c107complexINS7_4HalfEEEE_EEvS4_RKT_EUlibE0_EEviT1_.num_vgpr, max(33, .L_ZN2at6native6invokeIZZZNS0_16asin_kernel_cudaERNS_18TensorIteratorBaseEENKUlvE_clEvENKUlvE1_clEvEUlN3c107complexINS6_4HalfEEEE_j15function_traitsISA_EEENT1_11result_typeERKT_PrKPcPKT0_PKNS6_10ScalarTypeEi.num_vgpr)
	.set _ZN2at6native32elementwise_kernel_manual_unrollILi128ELi4EZNS0_15gpu_kernel_implIZZZNS0_16asin_kernel_cudaERNS_18TensorIteratorBaseEENKUlvE_clEvENKUlvE1_clEvEUlN3c107complexINS7_4HalfEEEE_EEvS4_RKT_EUlibE0_EEviT1_.num_agpr, max(0, .L_ZN2at6native6invokeIZZZNS0_16asin_kernel_cudaERNS_18TensorIteratorBaseEENKUlvE_clEvENKUlvE1_clEvEUlN3c107complexINS6_4HalfEEEE_j15function_traitsISA_EEENT1_11result_typeERKT_PrKPcPKT0_PKNS6_10ScalarTypeEi.num_agpr)
	.set _ZN2at6native32elementwise_kernel_manual_unrollILi128ELi4EZNS0_15gpu_kernel_implIZZZNS0_16asin_kernel_cudaERNS_18TensorIteratorBaseEENKUlvE_clEvENKUlvE1_clEvEUlN3c107complexINS7_4HalfEEEE_EEvS4_RKT_EUlibE0_EEviT1_.numbered_sgpr, max(79, .L_ZN2at6native6invokeIZZZNS0_16asin_kernel_cudaERNS_18TensorIteratorBaseEENKUlvE_clEvENKUlvE1_clEvEUlN3c107complexINS6_4HalfEEEE_j15function_traitsISA_EEENT1_11result_typeERKT_PrKPcPKT0_PKNS6_10ScalarTypeEi.numbered_sgpr)
	.set _ZN2at6native32elementwise_kernel_manual_unrollILi128ELi4EZNS0_15gpu_kernel_implIZZZNS0_16asin_kernel_cudaERNS_18TensorIteratorBaseEENKUlvE_clEvENKUlvE1_clEvEUlN3c107complexINS7_4HalfEEEE_EEvS4_RKT_EUlibE0_EEviT1_.num_named_barrier, max(0, .L_ZN2at6native6invokeIZZZNS0_16asin_kernel_cudaERNS_18TensorIteratorBaseEENKUlvE_clEvENKUlvE1_clEvEUlN3c107complexINS6_4HalfEEEE_j15function_traitsISA_EEENT1_11result_typeERKT_PrKPcPKT0_PKNS6_10ScalarTypeEi.num_named_barrier)
	.set _ZN2at6native32elementwise_kernel_manual_unrollILi128ELi4EZNS0_15gpu_kernel_implIZZZNS0_16asin_kernel_cudaERNS_18TensorIteratorBaseEENKUlvE_clEvENKUlvE1_clEvEUlN3c107complexINS7_4HalfEEEE_EEvS4_RKT_EUlibE0_EEviT1_.private_seg_size, 0+max(.L_ZN2at6native6invokeIZZZNS0_16asin_kernel_cudaERNS_18TensorIteratorBaseEENKUlvE_clEvENKUlvE1_clEvEUlN3c107complexINS6_4HalfEEEE_j15function_traitsISA_EEENT1_11result_typeERKT_PrKPcPKT0_PKNS6_10ScalarTypeEi.private_seg_size)
	.set _ZN2at6native32elementwise_kernel_manual_unrollILi128ELi4EZNS0_15gpu_kernel_implIZZZNS0_16asin_kernel_cudaERNS_18TensorIteratorBaseEENKUlvE_clEvENKUlvE1_clEvEUlN3c107complexINS7_4HalfEEEE_EEvS4_RKT_EUlibE0_EEviT1_.uses_vcc, or(1, .L_ZN2at6native6invokeIZZZNS0_16asin_kernel_cudaERNS_18TensorIteratorBaseEENKUlvE_clEvENKUlvE1_clEvEUlN3c107complexINS6_4HalfEEEE_j15function_traitsISA_EEENT1_11result_typeERKT_PrKPcPKT0_PKNS6_10ScalarTypeEi.uses_vcc)
	.set _ZN2at6native32elementwise_kernel_manual_unrollILi128ELi4EZNS0_15gpu_kernel_implIZZZNS0_16asin_kernel_cudaERNS_18TensorIteratorBaseEENKUlvE_clEvENKUlvE1_clEvEUlN3c107complexINS7_4HalfEEEE_EEvS4_RKT_EUlibE0_EEviT1_.uses_flat_scratch, or(1, .L_ZN2at6native6invokeIZZZNS0_16asin_kernel_cudaERNS_18TensorIteratorBaseEENKUlvE_clEvENKUlvE1_clEvEUlN3c107complexINS6_4HalfEEEE_j15function_traitsISA_EEENT1_11result_typeERKT_PrKPcPKT0_PKNS6_10ScalarTypeEi.uses_flat_scratch)
	.set _ZN2at6native32elementwise_kernel_manual_unrollILi128ELi4EZNS0_15gpu_kernel_implIZZZNS0_16asin_kernel_cudaERNS_18TensorIteratorBaseEENKUlvE_clEvENKUlvE1_clEvEUlN3c107complexINS7_4HalfEEEE_EEvS4_RKT_EUlibE0_EEviT1_.has_dyn_sized_stack, or(0, .L_ZN2at6native6invokeIZZZNS0_16asin_kernel_cudaERNS_18TensorIteratorBaseEENKUlvE_clEvENKUlvE1_clEvEUlN3c107complexINS6_4HalfEEEE_j15function_traitsISA_EEENT1_11result_typeERKT_PrKPcPKT0_PKNS6_10ScalarTypeEi.has_dyn_sized_stack)
	.set _ZN2at6native32elementwise_kernel_manual_unrollILi128ELi4EZNS0_15gpu_kernel_implIZZZNS0_16asin_kernel_cudaERNS_18TensorIteratorBaseEENKUlvE_clEvENKUlvE1_clEvEUlN3c107complexINS7_4HalfEEEE_EEvS4_RKT_EUlibE0_EEviT1_.has_recursion, or(0, .L_ZN2at6native6invokeIZZZNS0_16asin_kernel_cudaERNS_18TensorIteratorBaseEENKUlvE_clEvENKUlvE1_clEvEUlN3c107complexINS6_4HalfEEEE_j15function_traitsISA_EEENT1_11result_typeERKT_PrKPcPKT0_PKNS6_10ScalarTypeEi.has_recursion)
	.set _ZN2at6native32elementwise_kernel_manual_unrollILi128ELi4EZNS0_15gpu_kernel_implIZZZNS0_16asin_kernel_cudaERNS_18TensorIteratorBaseEENKUlvE_clEvENKUlvE1_clEvEUlN3c107complexINS7_4HalfEEEE_EEvS4_RKT_EUlibE0_EEviT1_.has_indirect_call, or(0, .L_ZN2at6native6invokeIZZZNS0_16asin_kernel_cudaERNS_18TensorIteratorBaseEENKUlvE_clEvENKUlvE1_clEvEUlN3c107complexINS6_4HalfEEEE_j15function_traitsISA_EEENT1_11result_typeERKT_PrKPcPKT0_PKNS6_10ScalarTypeEi.has_indirect_call)
	.section	.AMDGPU.csdata,"",@progbits
; Kernel info:
; codeLenInByte = 22060
; TotalNumSgprs: 85
; NumVgprs: 33
; ScratchSize: 12
; MemoryBound: 0
; FloatMode: 240
; IeeeMode: 1
; LDSByteSize: 0 bytes/workgroup (compile time only)
; SGPRBlocks: 10
; VGPRBlocks: 8
; NumSGPRsForWavesPerEU: 85
; NumVGPRsForWavesPerEU: 33
; Occupancy: 7
; WaveLimiterHint : 1
; COMPUTE_PGM_RSRC2:SCRATCH_EN: 1
; COMPUTE_PGM_RSRC2:USER_SGPR: 8
; COMPUTE_PGM_RSRC2:TRAP_HANDLER: 0
; COMPUTE_PGM_RSRC2:TGID_X_EN: 1
; COMPUTE_PGM_RSRC2:TGID_Y_EN: 0
; COMPUTE_PGM_RSRC2:TGID_Z_EN: 0
; COMPUTE_PGM_RSRC2:TIDIG_COMP_CNT: 0
	.section	.text._ZN2at6native29vectorized_elementwise_kernelILi16EZZZNS0_16asin_kernel_cudaERNS_18TensorIteratorBaseEENKUlvE0_clEvENKUlvE_clEvEUldE_St5arrayIPcLm2EEEEviT0_T1_,"axG",@progbits,_ZN2at6native29vectorized_elementwise_kernelILi16EZZZNS0_16asin_kernel_cudaERNS_18TensorIteratorBaseEENKUlvE0_clEvENKUlvE_clEvEUldE_St5arrayIPcLm2EEEEviT0_T1_,comdat
	.globl	_ZN2at6native29vectorized_elementwise_kernelILi16EZZZNS0_16asin_kernel_cudaERNS_18TensorIteratorBaseEENKUlvE0_clEvENKUlvE_clEvEUldE_St5arrayIPcLm2EEEEviT0_T1_ ; -- Begin function _ZN2at6native29vectorized_elementwise_kernelILi16EZZZNS0_16asin_kernel_cudaERNS_18TensorIteratorBaseEENKUlvE0_clEvENKUlvE_clEvEUldE_St5arrayIPcLm2EEEEviT0_T1_
	.p2align	8
	.type	_ZN2at6native29vectorized_elementwise_kernelILi16EZZZNS0_16asin_kernel_cudaERNS_18TensorIteratorBaseEENKUlvE0_clEvENKUlvE_clEvEUldE_St5arrayIPcLm2EEEEviT0_T1_,@function
_ZN2at6native29vectorized_elementwise_kernelILi16EZZZNS0_16asin_kernel_cudaERNS_18TensorIteratorBaseEENKUlvE0_clEvENKUlvE_clEvEUldE_St5arrayIPcLm2EEEEviT0_T1_: ; @_ZN2at6native29vectorized_elementwise_kernelILi16EZZZNS0_16asin_kernel_cudaERNS_18TensorIteratorBaseEENKUlvE0_clEvENKUlvE_clEvEUldE_St5arrayIPcLm2EEEEviT0_T1_
; %bb.0:
	s_load_dword s0, s[4:5], 0x0
	s_load_dwordx4 s[8:11], s[4:5], 0x8
	s_lshl_b32 s2, s6, 10
	s_waitcnt lgkmcnt(0)
	s_sub_i32 s33, s0, s2
	s_cmpk_gt_i32 s33, 0x3ff
	s_mov_b64 s[0:1], -1
	s_cbranch_scc0 .LBB33_10
; %bb.1:
	s_ashr_i32 s3, s2, 31
	s_lshl_b64 s[0:1], s[2:3], 3
	s_add_u32 s14, s10, s0
	s_addc_u32 s15, s11, s1
	v_lshlrev_b32_e32 v21, 5, v0
	global_load_dwordx4 v[1:4], v21, s[14:15]
	s_mov_b32 s4, 0x9fea6a70
	v_mov_b32_e32 v11, 0x78a05eaf
	v_mov_b32_e32 v12, 0xbf90a5a3
	s_mov_b32 s5, 0x3fa05985
	s_mov_b32 s6, 0x37024d6a
	;; [unrolled: 1-line block ×19, first 2 shown]
	s_waitcnt vmcnt(0)
	v_fma_f64 v[13:14], |v[1:2]|, -0.5, 0.5
	v_mul_f64 v[5:6], v[1:2], v[1:2]
	v_cmp_ge_f64_e64 vcc, |v[1:2]|, 0.5
	v_cndmask_b32_e32 v10, v6, v14, vcc
	v_cndmask_b32_e32 v9, v5, v13, vcc
	v_fma_f64 v[5:6], v[9:10], s[4:5], v[11:12]
	v_fma_f64 v[5:6], v[9:10], v[5:6], s[6:7]
	;; [unrolled: 1-line block ×3, first 2 shown]
	global_load_dwordx4 v[5:8], v21, s[14:15] offset:16
	s_mov_b32 s14, 0xa300c8d2
	s_mov_b32 s15, 0x3f88ed60
	v_fma_f64 v[15:16], v[9:10], v[15:16], s[14:15]
	v_fma_f64 v[15:16], v[9:10], v[15:16], s[16:17]
	;; [unrolled: 1-line block ×8, first 2 shown]
	v_mul_f64 v[15:16], v[9:10], v[15:16]
	v_fma_f64 v[9:10], |v[1:2]|, v[15:16], |v[1:2]|
	s_and_saveexec_b64 s[30:31], vcc
	s_cbranch_execz .LBB33_3
; %bb.2:
	v_rsq_f64_e32 v[9:10], v[13:14]
	v_cmp_eq_f64_e32 vcc, 0, v[13:14]
	s_mov_b32 s34, 0x54442d18
	s_mov_b32 s35, 0x3fe921fb
	v_mul_f64 v[17:18], v[13:14], v[9:10]
	v_mul_f64 v[9:10], v[9:10], 0.5
	v_fma_f64 v[19:20], -v[9:10], v[17:18], 0.5
	v_fma_f64 v[17:18], v[17:18], v[19:20], v[17:18]
	v_fma_f64 v[9:10], v[9:10], v[19:20], v[9:10]
	v_fma_f64 v[19:20], -v[17:18], v[17:18], v[13:14]
	v_fma_f64 v[9:10], v[19:20], v[9:10], v[17:18]
	v_cndmask_b32_e32 v10, v10, v14, vcc
	v_cndmask_b32_e32 v9, v9, v13, vcc
	v_add_f64 v[17:18], v[9:10], v[9:10]
	v_mul_f64 v[19:20], v[9:10], v[9:10]
	v_rcp_f64_e32 v[22:23], v[17:18]
	v_add_f64 v[24:25], v[13:14], -v[19:20]
	v_fma_f64 v[28:29], v[9:10], v[9:10], -v[19:20]
	v_add_f64 v[13:14], v[13:14], -v[24:25]
	v_fma_f64 v[26:27], -v[17:18], v[22:23], 1.0
	v_add_f64 v[13:14], v[13:14], -v[19:20]
	v_fma_f64 v[19:20], v[26:27], v[22:23], v[22:23]
	v_add_f64 v[13:14], v[13:14], -v[28:29]
	v_fma_f64 v[22:23], -v[17:18], v[19:20], 1.0
	v_add_f64 v[13:14], v[24:25], v[13:14]
	v_fma_f64 v[19:20], v[22:23], v[19:20], v[19:20]
	v_mul_f64 v[22:23], v[13:14], v[19:20]
	v_fma_f64 v[13:14], -v[17:18], v[22:23], v[13:14]
	v_fma_f64 v[13:14], v[13:14], v[19:20], v[22:23]
	v_cndmask_b32_e64 v14, v14, 0, vcc
	v_cndmask_b32_e64 v13, v13, 0, vcc
	v_add_f64 v[17:18], v[9:10], v[13:14]
	v_cmp_neq_f64_e64 vcc, |v[1:2]|, 1.0
	v_mov_b32_e32 v1, 0x54442d18
	v_add_f64 v[9:10], v[17:18], -v[9:10]
	v_mul_f64 v[19:20], v[15:16], v[17:18]
	v_add_f64 v[9:10], v[13:14], -v[9:10]
	v_fma_f64 v[13:14], v[17:18], v[15:16], -v[19:20]
	v_fma_f64 v[13:14], v[9:10], v[15:16], v[13:14]
	v_add_f64 v[15:16], v[19:20], v[13:14]
	v_add_f64 v[22:23], v[17:18], v[15:16]
	v_add_f64 v[19:20], v[15:16], -v[19:20]
	v_add_f64 v[17:18], v[22:23], -v[17:18]
	;; [unrolled: 1-line block ×4, first 2 shown]
	v_add_f64 v[9:10], v[9:10], v[13:14]
	v_add_f64 v[9:10], v[9:10], v[15:16]
	;; [unrolled: 1-line block ×3, first 2 shown]
	v_add_f64 v[15:16], -v[13:14], s[34:35]
	v_add_f64 v[19:20], v[13:14], -v[22:23]
	v_add_f64 v[17:18], -v[15:16], s[34:35]
	s_mov_b32 s34, 0x33145c07
	s_mov_b32 s35, 0x3c81a626
	v_add_f64 v[9:10], v[19:20], -v[9:10]
	v_add_f64 v[13:14], v[17:18], -v[13:14]
	v_add_f64 v[13:14], v[13:14], s[34:35]
	v_add_f64 v[9:10], v[9:10], v[13:14]
	v_mov_b32_e32 v13, 0x3ff921fb
	v_add_f64 v[9:10], v[15:16], v[9:10]
	v_add_f64 v[9:10], v[9:10], v[9:10]
	v_cndmask_b32_e32 v10, v13, v10, vcc
	v_cndmask_b32_e32 v9, v1, v9, vcc
.LBB33_3:
	s_or_b64 exec, exec, s[30:31]
	v_fma_f64 v[15:16], |v[3:4]|, -0.5, 0.5
	v_mul_f64 v[13:14], v[3:4], v[3:4]
	v_cmp_ge_f64_e64 vcc, |v[3:4]|, 0.5
	v_cndmask_b32_e32 v14, v14, v16, vcc
	v_cndmask_b32_e32 v13, v13, v15, vcc
	v_fma_f64 v[11:12], v[13:14], s[4:5], v[11:12]
	v_fma_f64 v[11:12], v[13:14], v[11:12], s[6:7]
	;; [unrolled: 1-line block ×11, first 2 shown]
	v_mul_f64 v[13:14], v[13:14], v[11:12]
	v_fma_f64 v[11:12], |v[3:4]|, v[13:14], |v[3:4]|
	s_and_saveexec_b64 s[4:5], vcc
	s_cbranch_execz .LBB33_5
; %bb.4:
	v_rsq_f64_e32 v[11:12], v[15:16]
	v_cmp_eq_f64_e32 vcc, 0, v[15:16]
	s_mov_b32 s6, 0x54442d18
	s_mov_b32 s7, 0x3fe921fb
	v_mov_b32_e32 v1, 0x3ff921fb
	v_mul_f64 v[17:18], v[15:16], v[11:12]
	v_mul_f64 v[11:12], v[11:12], 0.5
	v_fma_f64 v[19:20], -v[11:12], v[17:18], 0.5
	v_fma_f64 v[17:18], v[17:18], v[19:20], v[17:18]
	v_fma_f64 v[11:12], v[11:12], v[19:20], v[11:12]
	v_fma_f64 v[19:20], -v[17:18], v[17:18], v[15:16]
	v_fma_f64 v[11:12], v[19:20], v[11:12], v[17:18]
	v_cndmask_b32_e32 v12, v12, v16, vcc
	v_cndmask_b32_e32 v11, v11, v15, vcc
	v_add_f64 v[17:18], v[11:12], v[11:12]
	v_mul_f64 v[19:20], v[11:12], v[11:12]
	v_rcp_f64_e32 v[22:23], v[17:18]
	v_add_f64 v[24:25], v[15:16], -v[19:20]
	v_fma_f64 v[28:29], v[11:12], v[11:12], -v[19:20]
	v_add_f64 v[15:16], v[15:16], -v[24:25]
	v_fma_f64 v[26:27], -v[17:18], v[22:23], 1.0
	v_add_f64 v[15:16], v[15:16], -v[19:20]
	v_fma_f64 v[19:20], v[26:27], v[22:23], v[22:23]
	v_add_f64 v[15:16], v[15:16], -v[28:29]
	v_fma_f64 v[22:23], -v[17:18], v[19:20], 1.0
	v_add_f64 v[15:16], v[24:25], v[15:16]
	v_fma_f64 v[19:20], v[22:23], v[19:20], v[19:20]
	v_mul_f64 v[22:23], v[15:16], v[19:20]
	v_fma_f64 v[15:16], -v[17:18], v[22:23], v[15:16]
	v_fma_f64 v[15:16], v[15:16], v[19:20], v[22:23]
	v_cndmask_b32_e64 v16, v16, 0, vcc
	v_cndmask_b32_e64 v15, v15, 0, vcc
	v_add_f64 v[17:18], v[11:12], v[15:16]
	v_cmp_neq_f64_e64 vcc, |v[3:4]|, 1.0
	v_mov_b32_e32 v3, 0x54442d18
	v_add_f64 v[11:12], v[17:18], -v[11:12]
	v_mul_f64 v[19:20], v[13:14], v[17:18]
	v_add_f64 v[11:12], v[15:16], -v[11:12]
	v_fma_f64 v[15:16], v[17:18], v[13:14], -v[19:20]
	v_fma_f64 v[13:14], v[11:12], v[13:14], v[15:16]
	v_add_f64 v[15:16], v[19:20], v[13:14]
	v_add_f64 v[22:23], v[17:18], v[15:16]
	v_add_f64 v[19:20], v[15:16], -v[19:20]
	v_add_f64 v[17:18], v[22:23], -v[17:18]
	;; [unrolled: 1-line block ×4, first 2 shown]
	v_add_f64 v[11:12], v[11:12], v[13:14]
	v_add_f64 v[11:12], v[11:12], v[15:16]
	;; [unrolled: 1-line block ×3, first 2 shown]
	v_add_f64 v[15:16], -v[13:14], s[6:7]
	v_add_f64 v[19:20], v[13:14], -v[22:23]
	v_add_f64 v[17:18], -v[15:16], s[6:7]
	s_mov_b32 s6, 0x33145c07
	s_mov_b32 s7, 0x3c81a626
	v_add_f64 v[11:12], v[19:20], -v[11:12]
	v_add_f64 v[13:14], v[17:18], -v[13:14]
	v_add_f64 v[13:14], v[13:14], s[6:7]
	v_add_f64 v[11:12], v[11:12], v[13:14]
	;; [unrolled: 1-line block ×4, first 2 shown]
	v_cndmask_b32_e32 v12, v1, v12, vcc
	v_cndmask_b32_e32 v11, v3, v11, vcc
.LBB33_5:
	s_or_b64 exec, exec, s[4:5]
	s_waitcnt vmcnt(0)
	v_fma_f64 v[17:18], |v[5:6]|, -0.5, 0.5
	v_mul_f64 v[13:14], v[5:6], v[5:6]
	v_cmp_ge_f64_e64 vcc, |v[5:6]|, 0.5
	s_mov_b32 s4, 0x9fea6a70
	v_mov_b32_e32 v15, 0x78a05eaf
	v_mov_b32_e32 v16, 0xbf90a5a3
	s_mov_b32 s5, 0x3fa05985
	s_mov_b32 s6, 0x37024d6a
	;; [unrolled: 1-line block ×3, first 2 shown]
	v_cndmask_b32_e32 v14, v14, v18, vcc
	v_cndmask_b32_e32 v13, v13, v17, vcc
	v_fma_f64 v[19:20], v[13:14], s[4:5], v[15:16]
	v_fma_f64 v[19:20], v[13:14], v[19:20], s[6:7]
	;; [unrolled: 1-line block ×11, first 2 shown]
	v_mul_f64 v[19:20], v[13:14], v[19:20]
	v_fma_f64 v[13:14], |v[5:6]|, v[19:20], |v[5:6]|
	s_and_saveexec_b64 s[30:31], vcc
	s_cbranch_execz .LBB33_7
; %bb.6:
	v_rsq_f64_e32 v[13:14], v[17:18]
	v_cmp_eq_f64_e32 vcc, 0, v[17:18]
	s_mov_b32 s34, 0x54442d18
	s_mov_b32 s35, 0x3fe921fb
	v_mov_b32_e32 v1, 0x3ff921fb
	v_mul_f64 v[22:23], v[17:18], v[13:14]
	v_mul_f64 v[13:14], v[13:14], 0.5
	v_fma_f64 v[24:25], -v[13:14], v[22:23], 0.5
	v_fma_f64 v[22:23], v[22:23], v[24:25], v[22:23]
	v_fma_f64 v[13:14], v[13:14], v[24:25], v[13:14]
	v_fma_f64 v[24:25], -v[22:23], v[22:23], v[17:18]
	v_fma_f64 v[13:14], v[24:25], v[13:14], v[22:23]
	v_cndmask_b32_e32 v14, v14, v18, vcc
	v_cndmask_b32_e32 v13, v13, v17, vcc
	v_mul_f64 v[22:23], v[13:14], v[13:14]
	v_add_f64 v[26:27], v[17:18], -v[22:23]
	v_fma_f64 v[24:25], v[13:14], v[13:14], -v[22:23]
	v_add_f64 v[17:18], v[17:18], -v[26:27]
	v_add_f64 v[17:18], v[17:18], -v[22:23]
	v_add_f64 v[22:23], v[13:14], v[13:14]
	v_add_f64 v[17:18], v[17:18], -v[24:25]
	v_rcp_f64_e32 v[24:25], v[22:23]
	v_add_f64 v[17:18], v[26:27], v[17:18]
	v_fma_f64 v[26:27], -v[22:23], v[24:25], 1.0
	v_fma_f64 v[24:25], v[26:27], v[24:25], v[24:25]
	v_fma_f64 v[26:27], -v[22:23], v[24:25], 1.0
	v_fma_f64 v[24:25], v[26:27], v[24:25], v[24:25]
	v_mul_f64 v[26:27], v[17:18], v[24:25]
	v_fma_f64 v[17:18], -v[22:23], v[26:27], v[17:18]
	v_fma_f64 v[17:18], v[17:18], v[24:25], v[26:27]
	v_cndmask_b32_e64 v18, v18, 0, vcc
	v_cndmask_b32_e64 v17, v17, 0, vcc
	v_add_f64 v[22:23], v[13:14], v[17:18]
	v_cmp_neq_f64_e64 vcc, |v[5:6]|, 1.0
	v_add_f64 v[13:14], v[22:23], -v[13:14]
	v_add_f64 v[13:14], v[17:18], -v[13:14]
	v_mul_f64 v[17:18], v[19:20], v[22:23]
	v_fma_f64 v[24:25], v[22:23], v[19:20], -v[17:18]
	v_fma_f64 v[19:20], v[13:14], v[19:20], v[24:25]
	v_add_f64 v[24:25], v[17:18], v[19:20]
	v_add_f64 v[17:18], v[24:25], -v[17:18]
	v_add_f64 v[17:18], v[19:20], -v[17:18]
	v_add_f64 v[19:20], v[22:23], v[24:25]
	v_add_f64 v[13:14], v[13:14], v[17:18]
	v_add_f64 v[22:23], v[19:20], -v[22:23]
	v_add_f64 v[22:23], v[24:25], -v[22:23]
	v_add_f64 v[13:14], v[13:14], v[22:23]
	v_add_f64 v[17:18], v[19:20], v[13:14]
	v_add_f64 v[22:23], -v[17:18], s[34:35]
	v_add_f64 v[19:20], v[17:18], -v[19:20]
	v_add_f64 v[24:25], -v[22:23], s[34:35]
	s_mov_b32 s34, 0x33145c07
	s_mov_b32 s35, 0x3c81a626
	v_add_f64 v[13:14], v[19:20], -v[13:14]
	v_add_f64 v[17:18], v[24:25], -v[17:18]
	v_add_f64 v[17:18], v[17:18], s[34:35]
	v_add_f64 v[13:14], v[13:14], v[17:18]
	;; [unrolled: 1-line block ×4, first 2 shown]
	v_cndmask_b32_e32 v14, v1, v14, vcc
	v_mov_b32_e32 v1, 0x54442d18
	v_cndmask_b32_e32 v13, v1, v13, vcc
.LBB33_7:
	s_or_b64 exec, exec, s[30:31]
	v_fma_f64 v[19:20], |v[7:8]|, -0.5, 0.5
	v_mul_f64 v[17:18], v[7:8], v[7:8]
	v_cmp_ge_f64_e64 vcc, |v[7:8]|, 0.5
	v_cndmask_b32_e32 v18, v18, v20, vcc
	v_cndmask_b32_e32 v17, v17, v19, vcc
	v_fma_f64 v[15:16], v[17:18], s[4:5], v[15:16]
	v_fma_f64 v[15:16], v[17:18], v[15:16], s[6:7]
	;; [unrolled: 1-line block ×11, first 2 shown]
	v_mul_f64 v[17:18], v[17:18], v[15:16]
	v_fma_f64 v[15:16], |v[7:8]|, v[17:18], |v[7:8]|
	s_and_saveexec_b64 s[4:5], vcc
	s_cbranch_execz .LBB33_9
; %bb.8:
	v_rsq_f64_e32 v[15:16], v[19:20]
	v_cmp_eq_f64_e32 vcc, 0, v[19:20]
	s_mov_b32 s6, 0x54442d18
	s_mov_b32 s7, 0x3fe921fb
	v_mov_b32_e32 v1, 0x3ff921fb
	v_mul_f64 v[22:23], v[19:20], v[15:16]
	v_mul_f64 v[15:16], v[15:16], 0.5
	v_fma_f64 v[24:25], -v[15:16], v[22:23], 0.5
	v_fma_f64 v[22:23], v[22:23], v[24:25], v[22:23]
	v_fma_f64 v[15:16], v[15:16], v[24:25], v[15:16]
	v_fma_f64 v[24:25], -v[22:23], v[22:23], v[19:20]
	v_fma_f64 v[15:16], v[24:25], v[15:16], v[22:23]
	v_cndmask_b32_e32 v16, v16, v20, vcc
	v_cndmask_b32_e32 v15, v15, v19, vcc
	v_mul_f64 v[22:23], v[15:16], v[15:16]
	v_add_f64 v[26:27], v[19:20], -v[22:23]
	v_fma_f64 v[24:25], v[15:16], v[15:16], -v[22:23]
	v_add_f64 v[19:20], v[19:20], -v[26:27]
	v_add_f64 v[19:20], v[19:20], -v[22:23]
	v_add_f64 v[22:23], v[15:16], v[15:16]
	v_add_f64 v[19:20], v[19:20], -v[24:25]
	v_rcp_f64_e32 v[24:25], v[22:23]
	v_add_f64 v[19:20], v[26:27], v[19:20]
	v_fma_f64 v[26:27], -v[22:23], v[24:25], 1.0
	v_fma_f64 v[24:25], v[26:27], v[24:25], v[24:25]
	v_fma_f64 v[26:27], -v[22:23], v[24:25], 1.0
	v_fma_f64 v[24:25], v[26:27], v[24:25], v[24:25]
	v_mul_f64 v[26:27], v[19:20], v[24:25]
	v_fma_f64 v[19:20], -v[22:23], v[26:27], v[19:20]
	v_fma_f64 v[19:20], v[19:20], v[24:25], v[26:27]
	v_cndmask_b32_e64 v20, v20, 0, vcc
	v_cndmask_b32_e64 v19, v19, 0, vcc
	v_add_f64 v[22:23], v[15:16], v[19:20]
	v_cmp_neq_f64_e64 vcc, |v[7:8]|, 1.0
	v_add_f64 v[15:16], v[22:23], -v[15:16]
	v_add_f64 v[15:16], v[19:20], -v[15:16]
	v_mul_f64 v[19:20], v[17:18], v[22:23]
	v_fma_f64 v[24:25], v[22:23], v[17:18], -v[19:20]
	v_fma_f64 v[17:18], v[15:16], v[17:18], v[24:25]
	v_add_f64 v[24:25], v[19:20], v[17:18]
	v_add_f64 v[19:20], v[24:25], -v[19:20]
	v_add_f64 v[17:18], v[17:18], -v[19:20]
	v_add_f64 v[19:20], v[22:23], v[24:25]
	v_add_f64 v[15:16], v[15:16], v[17:18]
	v_add_f64 v[22:23], v[19:20], -v[22:23]
	v_add_f64 v[22:23], v[24:25], -v[22:23]
	v_add_f64 v[15:16], v[15:16], v[22:23]
	v_add_f64 v[17:18], v[19:20], v[15:16]
	v_add_f64 v[22:23], -v[17:18], s[6:7]
	v_add_f64 v[19:20], v[17:18], -v[19:20]
	v_add_f64 v[24:25], -v[22:23], s[6:7]
	s_mov_b32 s6, 0x33145c07
	s_mov_b32 s7, 0x3c81a626
	v_add_f64 v[15:16], v[19:20], -v[15:16]
	v_add_f64 v[17:18], v[24:25], -v[17:18]
	v_add_f64 v[17:18], v[17:18], s[6:7]
	v_add_f64 v[15:16], v[15:16], v[17:18]
	;; [unrolled: 1-line block ×4, first 2 shown]
	v_cndmask_b32_e32 v16, v1, v16, vcc
	v_mov_b32_e32 v1, 0x54442d18
	v_cndmask_b32_e32 v15, v1, v15, vcc
.LBB33_9:
	s_or_b64 exec, exec, s[4:5]
	s_brev_b32 s3, -2
	s_add_u32 s0, s8, s0
	v_bfi_b32 v12, s3, v12, v4
	v_bfi_b32 v10, s3, v10, v2
	s_addc_u32 s1, s9, s1
	v_bfi_b32 v14, s3, v14, v6
	v_bfi_b32 v16, s3, v16, v8
	global_store_dwordx4 v21, v[9:12], s[0:1]
	global_store_dwordx4 v21, v[13:16], s[0:1] offset:16
	s_mov_b64 s[0:1], 0
.LBB33_10:
	s_and_b64 vcc, exec, s[0:1]
	s_cbranch_vccz .LBB33_37
; %bb.11:
	v_mov_b32_e32 v14, 0
	v_mov_b32_e32 v16, 0
	v_cmp_gt_i32_e32 vcc, s33, v0
	v_mov_b32_e32 v15, 0
	v_or_b32_e32 v1, s2, v0
	v_mov_b32_e32 v17, 0
	v_mov_b32_e32 v4, v0
	s_and_saveexec_b64 s[4:5], vcc
	s_cbranch_execz .LBB33_13
; %bb.12:
	v_mov_b32_e32 v2, 0
	v_lshlrev_b64 v[2:3], 3, v[1:2]
	v_mov_b32_e32 v4, s11
	v_add_co_u32_e64 v2, s[0:1], s10, v2
	v_addc_co_u32_e64 v3, s[0:1], v4, v3, s[0:1]
	global_load_dwordx2 v[16:17], v[2:3], off
	v_or_b32_e32 v4, 0x100, v0
.LBB33_13:
	s_or_b64 exec, exec, s[4:5]
	v_cmp_gt_i32_e64 s[0:1], s33, v4
	s_and_saveexec_b64 s[4:5], s[0:1]
	s_cbranch_execz .LBB33_15
; %bb.14:
	v_add_u32_e32 v2, s2, v4
	v_mov_b32_e32 v3, 0
	v_lshlrev_b64 v[2:3], 3, v[2:3]
	v_mov_b32_e32 v5, s11
	v_add_co_u32_e64 v2, s[0:1], s10, v2
	v_addc_co_u32_e64 v3, s[0:1], v5, v3, s[0:1]
	global_load_dwordx2 v[14:15], v[2:3], off
	v_add_u32_e32 v4, 0x100, v4
.LBB33_15:
	s_or_b64 exec, exec, s[4:5]
	v_mov_b32_e32 v2, 0
	v_mov_b32_e32 v6, 0
	;; [unrolled: 1-line block ×4, first 2 shown]
	v_cmp_gt_i32_e64 s[0:1], s33, v4
	s_and_saveexec_b64 s[4:5], s[0:1]
	s_cbranch_execz .LBB33_17
; %bb.16:
	v_add_u32_e32 v5, s2, v4
	v_mov_b32_e32 v6, 0
	v_lshlrev_b64 v[5:6], 3, v[5:6]
	v_mov_b32_e32 v7, s11
	v_add_co_u32_e64 v5, s[0:1], s10, v5
	v_addc_co_u32_e64 v6, s[0:1], v7, v6, s[0:1]
	global_load_dwordx2 v[6:7], v[5:6], off
	v_add_u32_e32 v4, 0x100, v4
.LBB33_17:
	s_or_b64 exec, exec, s[4:5]
	v_cmp_gt_i32_e64 s[0:1], s33, v4
	s_and_saveexec_b64 s[4:5], s[0:1]
	s_cbranch_execz .LBB33_19
; %bb.18:
	v_add_u32_e32 v2, s2, v4
	v_mov_b32_e32 v3, 0
	v_lshlrev_b64 v[2:3], 3, v[2:3]
	v_mov_b32_e32 v4, s11
	v_add_co_u32_e64 v2, s[0:1], s10, v2
	v_addc_co_u32_e64 v3, s[0:1], v4, v3, s[0:1]
	global_load_dwordx2 v[2:3], v[2:3], off
.LBB33_19:
	s_or_b64 exec, exec, s[4:5]
	v_mov_b32_e32 v4, 0
	v_mov_b32_e32 v5, v4
	;; [unrolled: 1-line block ×8, first 2 shown]
	s_and_saveexec_b64 s[4:5], vcc
	s_cbranch_execz .LBB33_23
; %bb.20:
	s_waitcnt vmcnt(0)
	v_fma_f64 v[8:9], |v[16:17]|, -0.5, 0.5
	v_mul_f64 v[4:5], v[16:17], v[16:17]
	v_cmp_ge_f64_e64 s[0:1], |v[16:17]|, 0.5
	s_mov_b32 s6, 0x9fea6a70
	v_mov_b32_e32 v10, 0x78a05eaf
	v_mov_b32_e32 v11, 0xbf90a5a3
	s_mov_b32 s7, 0x3fa05985
	v_cndmask_b32_e64 v5, v5, v9, s[0:1]
	v_cndmask_b32_e64 v4, v4, v8, s[0:1]
	v_fma_f64 v[10:11], v[4:5], s[6:7], v[10:11]
	s_mov_b32 s6, 0x37024d6a
	s_mov_b32 s7, 0x3f940521
	v_fma_f64 v[10:11], v[4:5], v[10:11], s[6:7]
	s_mov_b32 s6, 0x98a70509
	s_mov_b32 s7, 0x3f7ab3a0
	;; [unrolled: 3-line block ×10, first 2 shown]
	v_fma_f64 v[10:11], v[4:5], v[10:11], s[6:7]
	v_mul_f64 v[10:11], v[4:5], v[10:11]
	v_fma_f64 v[4:5], |v[16:17]|, v[10:11], |v[16:17]|
	s_and_saveexec_b64 s[6:7], s[0:1]
	s_cbranch_execz .LBB33_22
; %bb.21:
	v_rsq_f64_e32 v[4:5], v[8:9]
	v_cmp_eq_f64_e64 s[0:1], 0, v[8:9]
	v_mul_f64 v[12:13], v[8:9], v[4:5]
	v_mul_f64 v[4:5], v[4:5], 0.5
	v_fma_f64 v[18:19], -v[4:5], v[12:13], 0.5
	v_fma_f64 v[12:13], v[12:13], v[18:19], v[12:13]
	v_fma_f64 v[4:5], v[4:5], v[18:19], v[4:5]
	v_fma_f64 v[18:19], -v[12:13], v[12:13], v[8:9]
	v_fma_f64 v[4:5], v[18:19], v[4:5], v[12:13]
	v_cndmask_b32_e64 v5, v5, v9, s[0:1]
	v_cndmask_b32_e64 v4, v4, v8, s[0:1]
	v_mul_f64 v[12:13], v[4:5], v[4:5]
	v_add_f64 v[20:21], v[8:9], -v[12:13]
	v_fma_f64 v[18:19], v[4:5], v[4:5], -v[12:13]
	v_add_f64 v[8:9], v[8:9], -v[20:21]
	v_add_f64 v[8:9], v[8:9], -v[12:13]
	v_add_f64 v[12:13], v[4:5], v[4:5]
	v_add_f64 v[8:9], v[8:9], -v[18:19]
	v_rcp_f64_e32 v[18:19], v[12:13]
	v_add_f64 v[8:9], v[20:21], v[8:9]
	v_fma_f64 v[20:21], -v[12:13], v[18:19], 1.0
	v_fma_f64 v[18:19], v[20:21], v[18:19], v[18:19]
	v_fma_f64 v[20:21], -v[12:13], v[18:19], 1.0
	v_fma_f64 v[18:19], v[20:21], v[18:19], v[18:19]
	v_mul_f64 v[20:21], v[8:9], v[18:19]
	v_fma_f64 v[8:9], -v[12:13], v[20:21], v[8:9]
	v_fma_f64 v[8:9], v[8:9], v[18:19], v[20:21]
	v_cndmask_b32_e64 v9, v9, 0, s[0:1]
	v_cndmask_b32_e64 v8, v8, 0, s[0:1]
	v_add_f64 v[12:13], v[4:5], v[8:9]
	s_mov_b32 s0, 0x54442d18
	s_mov_b32 s1, 0x3fe921fb
	v_add_f64 v[4:5], v[12:13], -v[4:5]
	v_add_f64 v[4:5], v[8:9], -v[4:5]
	v_mul_f64 v[8:9], v[10:11], v[12:13]
	v_fma_f64 v[18:19], v[12:13], v[10:11], -v[8:9]
	v_fma_f64 v[10:11], v[4:5], v[10:11], v[18:19]
	v_add_f64 v[18:19], v[8:9], v[10:11]
	v_add_f64 v[8:9], v[18:19], -v[8:9]
	v_add_f64 v[8:9], v[10:11], -v[8:9]
	v_add_f64 v[10:11], v[12:13], v[18:19]
	v_add_f64 v[4:5], v[4:5], v[8:9]
	v_add_f64 v[12:13], v[10:11], -v[12:13]
	v_add_f64 v[12:13], v[18:19], -v[12:13]
	v_add_f64 v[4:5], v[4:5], v[12:13]
	v_add_f64 v[8:9], v[10:11], v[4:5]
	v_add_f64 v[12:13], -v[8:9], s[0:1]
	v_add_f64 v[10:11], v[8:9], -v[10:11]
	v_add_f64 v[18:19], -v[12:13], s[0:1]
	s_mov_b32 s0, 0x33145c07
	s_mov_b32 s1, 0x3c81a626
	v_add_f64 v[4:5], v[10:11], -v[4:5]
	v_add_f64 v[8:9], v[18:19], -v[8:9]
	v_add_f64 v[8:9], v[8:9], s[0:1]
	v_cmp_neq_f64_e64 s[0:1], |v[16:17]|, 1.0
	v_add_f64 v[4:5], v[4:5], v[8:9]
	v_mov_b32_e32 v8, 0x3ff921fb
	v_add_f64 v[4:5], v[12:13], v[4:5]
	v_add_f64 v[4:5], v[4:5], v[4:5]
	v_cndmask_b32_e64 v5, v8, v5, s[0:1]
	v_mov_b32_e32 v8, 0x54442d18
	v_cndmask_b32_e64 v4, v8, v4, s[0:1]
.LBB33_22:
	s_or_b64 exec, exec, s[6:7]
	s_brev_b32 s0, -2
	v_mov_b32_e32 v12, 0
	v_bfi_b32 v5, s0, v5, v17
	v_mov_b32_e32 v13, v12
	v_mov_b32_e32 v10, v12
	v_mov_b32_e32 v11, v12
	v_mov_b32_e32 v8, v12
	v_mov_b32_e32 v9, v12
.LBB33_23:
	s_or_b64 exec, exec, s[4:5]
	v_or_b32_e32 v20, 0x100, v0
	v_cmp_gt_i32_e64 s[0:1], s33, v20
	s_and_saveexec_b64 s[4:5], s[0:1]
	s_cbranch_execz .LBB33_27
; %bb.24:
	s_waitcnt vmcnt(0)
	v_fma_f64 v[16:17], |v[14:15]|, -0.5, 0.5
	v_mul_f64 v[12:13], v[14:15], v[14:15]
	v_cmp_ge_f64_e64 s[0:1], |v[14:15]|, 0.5
	s_mov_b32 s6, 0x9fea6a70
	v_mov_b32_e32 v18, 0x78a05eaf
	v_mov_b32_e32 v19, 0xbf90a5a3
	s_mov_b32 s7, 0x3fa05985
	v_cndmask_b32_e64 v13, v13, v17, s[0:1]
	v_cndmask_b32_e64 v12, v12, v16, s[0:1]
	v_fma_f64 v[18:19], v[12:13], s[6:7], v[18:19]
	s_mov_b32 s6, 0x37024d6a
	s_mov_b32 s7, 0x3f940521
	v_fma_f64 v[18:19], v[12:13], v[18:19], s[6:7]
	s_mov_b32 s6, 0x98a70509
	s_mov_b32 s7, 0x3f7ab3a0
	;; [unrolled: 3-line block ×10, first 2 shown]
	v_fma_f64 v[18:19], v[12:13], v[18:19], s[6:7]
	v_mul_f64 v[18:19], v[12:13], v[18:19]
	v_fma_f64 v[12:13], |v[14:15]|, v[18:19], |v[14:15]|
	s_and_saveexec_b64 s[6:7], s[0:1]
	s_cbranch_execz .LBB33_26
; %bb.25:
	v_rsq_f64_e32 v[12:13], v[16:17]
	v_cmp_eq_f64_e64 s[0:1], 0, v[16:17]
	v_mul_f64 v[21:22], v[16:17], v[12:13]
	v_mul_f64 v[12:13], v[12:13], 0.5
	v_fma_f64 v[23:24], -v[12:13], v[21:22], 0.5
	v_fma_f64 v[21:22], v[21:22], v[23:24], v[21:22]
	v_fma_f64 v[12:13], v[12:13], v[23:24], v[12:13]
	v_fma_f64 v[23:24], -v[21:22], v[21:22], v[16:17]
	v_fma_f64 v[12:13], v[23:24], v[12:13], v[21:22]
	v_cndmask_b32_e64 v13, v13, v17, s[0:1]
	v_cndmask_b32_e64 v12, v12, v16, s[0:1]
	v_mul_f64 v[21:22], v[12:13], v[12:13]
	v_add_f64 v[25:26], v[16:17], -v[21:22]
	v_fma_f64 v[23:24], v[12:13], v[12:13], -v[21:22]
	v_add_f64 v[16:17], v[16:17], -v[25:26]
	v_add_f64 v[16:17], v[16:17], -v[21:22]
	v_add_f64 v[21:22], v[12:13], v[12:13]
	v_add_f64 v[16:17], v[16:17], -v[23:24]
	v_rcp_f64_e32 v[23:24], v[21:22]
	v_add_f64 v[16:17], v[25:26], v[16:17]
	v_fma_f64 v[25:26], -v[21:22], v[23:24], 1.0
	v_fma_f64 v[23:24], v[25:26], v[23:24], v[23:24]
	v_fma_f64 v[25:26], -v[21:22], v[23:24], 1.0
	v_fma_f64 v[23:24], v[25:26], v[23:24], v[23:24]
	v_mul_f64 v[25:26], v[16:17], v[23:24]
	v_fma_f64 v[16:17], -v[21:22], v[25:26], v[16:17]
	v_fma_f64 v[16:17], v[16:17], v[23:24], v[25:26]
	v_cndmask_b32_e64 v17, v17, 0, s[0:1]
	v_cndmask_b32_e64 v16, v16, 0, s[0:1]
	v_add_f64 v[21:22], v[12:13], v[16:17]
	s_mov_b32 s0, 0x54442d18
	s_mov_b32 s1, 0x3fe921fb
	v_add_f64 v[12:13], v[21:22], -v[12:13]
	v_add_f64 v[12:13], v[16:17], -v[12:13]
	v_mul_f64 v[16:17], v[18:19], v[21:22]
	v_fma_f64 v[23:24], v[21:22], v[18:19], -v[16:17]
	v_fma_f64 v[18:19], v[12:13], v[18:19], v[23:24]
	v_add_f64 v[23:24], v[16:17], v[18:19]
	v_add_f64 v[16:17], v[23:24], -v[16:17]
	v_add_f64 v[16:17], v[18:19], -v[16:17]
	v_add_f64 v[18:19], v[21:22], v[23:24]
	v_add_f64 v[12:13], v[12:13], v[16:17]
	v_add_f64 v[21:22], v[18:19], -v[21:22]
	v_add_f64 v[21:22], v[23:24], -v[21:22]
	v_add_f64 v[12:13], v[12:13], v[21:22]
	v_add_f64 v[16:17], v[18:19], v[12:13]
	v_add_f64 v[21:22], -v[16:17], s[0:1]
	v_add_f64 v[18:19], v[16:17], -v[18:19]
	v_add_f64 v[23:24], -v[21:22], s[0:1]
	s_mov_b32 s0, 0x33145c07
	s_mov_b32 s1, 0x3c81a626
	v_add_f64 v[12:13], v[18:19], -v[12:13]
	v_add_f64 v[16:17], v[23:24], -v[16:17]
	v_add_f64 v[16:17], v[16:17], s[0:1]
	v_cmp_neq_f64_e64 s[0:1], |v[14:15]|, 1.0
	v_mov_b32_e32 v14, 0x3ff921fb
	v_add_f64 v[12:13], v[12:13], v[16:17]
	v_add_f64 v[12:13], v[21:22], v[12:13]
	;; [unrolled: 1-line block ×3, first 2 shown]
	v_cndmask_b32_e64 v13, v14, v13, s[0:1]
	v_mov_b32_e32 v14, 0x54442d18
	v_cndmask_b32_e64 v12, v14, v12, s[0:1]
.LBB33_26:
	s_or_b64 exec, exec, s[6:7]
	s_brev_b32 s0, -2
	v_bfi_b32 v13, s0, v13, v15
.LBB33_27:
	s_or_b64 exec, exec, s[4:5]
	s_waitcnt vmcnt(0)
	v_or_b32_e32 v14, 0x200, v0
	v_cmp_gt_i32_e64 s[0:1], s33, v14
	s_and_saveexec_b64 s[4:5], s[0:1]
	s_cbranch_execz .LBB33_31
; %bb.28:
	v_fma_f64 v[14:15], |v[6:7]|, -0.5, 0.5
	v_mul_f64 v[10:11], v[6:7], v[6:7]
	v_cmp_ge_f64_e64 s[0:1], |v[6:7]|, 0.5
	s_mov_b32 s6, 0x9fea6a70
	v_mov_b32_e32 v16, 0x78a05eaf
	v_mov_b32_e32 v17, 0xbf90a5a3
	s_mov_b32 s7, 0x3fa05985
	v_cndmask_b32_e64 v11, v11, v15, s[0:1]
	v_cndmask_b32_e64 v10, v10, v14, s[0:1]
	v_fma_f64 v[16:17], v[10:11], s[6:7], v[16:17]
	s_mov_b32 s6, 0x37024d6a
	s_mov_b32 s7, 0x3f940521
	v_fma_f64 v[16:17], v[10:11], v[16:17], s[6:7]
	s_mov_b32 s6, 0x98a70509
	s_mov_b32 s7, 0x3f7ab3a0
	;; [unrolled: 3-line block ×10, first 2 shown]
	v_fma_f64 v[16:17], v[10:11], v[16:17], s[6:7]
	v_mul_f64 v[16:17], v[10:11], v[16:17]
	v_fma_f64 v[10:11], |v[6:7]|, v[16:17], |v[6:7]|
	s_and_saveexec_b64 s[6:7], s[0:1]
	s_cbranch_execz .LBB33_30
; %bb.29:
	v_rsq_f64_e32 v[10:11], v[14:15]
	v_cmp_eq_f64_e64 s[0:1], 0, v[14:15]
	v_mul_f64 v[18:19], v[14:15], v[10:11]
	v_mul_f64 v[10:11], v[10:11], 0.5
	v_fma_f64 v[21:22], -v[10:11], v[18:19], 0.5
	v_fma_f64 v[18:19], v[18:19], v[21:22], v[18:19]
	v_fma_f64 v[10:11], v[10:11], v[21:22], v[10:11]
	v_fma_f64 v[21:22], -v[18:19], v[18:19], v[14:15]
	v_fma_f64 v[10:11], v[21:22], v[10:11], v[18:19]
	v_cndmask_b32_e64 v11, v11, v15, s[0:1]
	v_cndmask_b32_e64 v10, v10, v14, s[0:1]
	v_mul_f64 v[18:19], v[10:11], v[10:11]
	v_add_f64 v[23:24], v[14:15], -v[18:19]
	v_fma_f64 v[21:22], v[10:11], v[10:11], -v[18:19]
	v_add_f64 v[14:15], v[14:15], -v[23:24]
	v_add_f64 v[14:15], v[14:15], -v[18:19]
	v_add_f64 v[18:19], v[10:11], v[10:11]
	v_add_f64 v[14:15], v[14:15], -v[21:22]
	v_rcp_f64_e32 v[21:22], v[18:19]
	v_add_f64 v[14:15], v[23:24], v[14:15]
	v_fma_f64 v[23:24], -v[18:19], v[21:22], 1.0
	v_fma_f64 v[21:22], v[23:24], v[21:22], v[21:22]
	v_fma_f64 v[23:24], -v[18:19], v[21:22], 1.0
	v_fma_f64 v[21:22], v[23:24], v[21:22], v[21:22]
	v_mul_f64 v[23:24], v[14:15], v[21:22]
	v_fma_f64 v[14:15], -v[18:19], v[23:24], v[14:15]
	v_fma_f64 v[14:15], v[14:15], v[21:22], v[23:24]
	v_cndmask_b32_e64 v15, v15, 0, s[0:1]
	v_cndmask_b32_e64 v14, v14, 0, s[0:1]
	v_add_f64 v[18:19], v[10:11], v[14:15]
	s_mov_b32 s0, 0x54442d18
	s_mov_b32 s1, 0x3fe921fb
	v_add_f64 v[10:11], v[18:19], -v[10:11]
	v_add_f64 v[10:11], v[14:15], -v[10:11]
	v_mul_f64 v[14:15], v[16:17], v[18:19]
	v_fma_f64 v[21:22], v[18:19], v[16:17], -v[14:15]
	v_fma_f64 v[16:17], v[10:11], v[16:17], v[21:22]
	v_add_f64 v[21:22], v[14:15], v[16:17]
	v_add_f64 v[14:15], v[21:22], -v[14:15]
	v_add_f64 v[14:15], v[16:17], -v[14:15]
	v_add_f64 v[16:17], v[18:19], v[21:22]
	v_add_f64 v[10:11], v[10:11], v[14:15]
	v_add_f64 v[18:19], v[16:17], -v[18:19]
	v_add_f64 v[18:19], v[21:22], -v[18:19]
	v_add_f64 v[10:11], v[10:11], v[18:19]
	v_add_f64 v[14:15], v[16:17], v[10:11]
	v_add_f64 v[18:19], -v[14:15], s[0:1]
	v_add_f64 v[16:17], v[14:15], -v[16:17]
	v_add_f64 v[21:22], -v[18:19], s[0:1]
	s_mov_b32 s0, 0x33145c07
	s_mov_b32 s1, 0x3c81a626
	v_add_f64 v[10:11], v[16:17], -v[10:11]
	v_add_f64 v[14:15], v[21:22], -v[14:15]
	v_add_f64 v[14:15], v[14:15], s[0:1]
	v_cmp_neq_f64_e64 s[0:1], |v[6:7]|, 1.0
	v_mov_b32_e32 v6, 0x3ff921fb
	v_add_f64 v[10:11], v[10:11], v[14:15]
	v_add_f64 v[10:11], v[18:19], v[10:11]
	;; [unrolled: 1-line block ×3, first 2 shown]
	v_cndmask_b32_e64 v11, v6, v11, s[0:1]
	v_mov_b32_e32 v6, 0x54442d18
	v_cndmask_b32_e64 v10, v6, v10, s[0:1]
.LBB33_30:
	s_or_b64 exec, exec, s[6:7]
	s_brev_b32 s0, -2
	v_bfi_b32 v11, s0, v11, v7
.LBB33_31:
	s_or_b64 exec, exec, s[4:5]
	v_or_b32_e32 v6, 0x300, v0
	v_cmp_gt_i32_e64 s[0:1], s33, v6
	s_and_saveexec_b64 s[4:5], s[0:1]
	s_cbranch_execnz .LBB33_38
; %bb.32:
	s_or_b64 exec, exec, s[4:5]
	s_and_saveexec_b64 s[0:1], vcc
	s_xor_b64 s[0:1], exec, s[0:1]
	s_cbranch_execnz .LBB33_41
.LBB33_33:
	s_or_b64 exec, exec, s[0:1]
	v_cmp_gt_i32_e32 vcc, s33, v0
	s_and_saveexec_b64 s[0:1], vcc
	s_cbranch_execnz .LBB33_42
.LBB33_34:
	s_or_b64 exec, exec, s[0:1]
	v_cmp_gt_i32_e32 vcc, s33, v0
	s_and_saveexec_b64 s[0:1], vcc
	s_cbranch_execnz .LBB33_43
.LBB33_35:
	s_or_b64 exec, exec, s[0:1]
	v_cmp_gt_i32_e32 vcc, s33, v0
	s_and_saveexec_b64 s[0:1], vcc
	s_cbranch_execz .LBB33_37
.LBB33_36:
	v_add_u32_e32 v0, s2, v0
	v_mov_b32_e32 v1, 0
	v_lshlrev_b64 v[0:1], 3, v[0:1]
	v_mov_b32_e32 v2, s9
	v_add_co_u32_e32 v0, vcc, s8, v0
	v_addc_co_u32_e32 v1, vcc, v2, v1, vcc
	global_store_dwordx2 v[0:1], v[8:9], off
.LBB33_37:
	s_endpgm
.LBB33_38:
	v_fma_f64 v[6:7], |v[2:3]|, -0.5, 0.5
	v_mul_f64 v[8:9], v[2:3], v[2:3]
	v_cmp_ge_f64_e64 s[0:1], |v[2:3]|, 0.5
	s_mov_b32 s6, 0x9fea6a70
	v_mov_b32_e32 v14, 0x78a05eaf
	v_mov_b32_e32 v15, 0xbf90a5a3
	s_mov_b32 s7, 0x3fa05985
	v_cndmask_b32_e64 v9, v9, v7, s[0:1]
	v_cndmask_b32_e64 v8, v8, v6, s[0:1]
	v_fma_f64 v[14:15], v[8:9], s[6:7], v[14:15]
	s_mov_b32 s6, 0x37024d6a
	s_mov_b32 s7, 0x3f940521
	v_fma_f64 v[14:15], v[8:9], v[14:15], s[6:7]
	s_mov_b32 s6, 0x98a70509
	s_mov_b32 s7, 0x3f7ab3a0
	;; [unrolled: 3-line block ×10, first 2 shown]
	v_fma_f64 v[14:15], v[8:9], v[14:15], s[6:7]
	v_mul_f64 v[14:15], v[8:9], v[14:15]
	v_fma_f64 v[8:9], |v[2:3]|, v[14:15], |v[2:3]|
	s_and_saveexec_b64 s[6:7], s[0:1]
	s_cbranch_execz .LBB33_40
; %bb.39:
	v_rsq_f64_e32 v[8:9], v[6:7]
	v_cmp_eq_f64_e64 s[0:1], 0, v[6:7]
	v_mul_f64 v[16:17], v[6:7], v[8:9]
	v_mul_f64 v[8:9], v[8:9], 0.5
	v_fma_f64 v[18:19], -v[8:9], v[16:17], 0.5
	v_fma_f64 v[16:17], v[16:17], v[18:19], v[16:17]
	v_fma_f64 v[8:9], v[8:9], v[18:19], v[8:9]
	v_fma_f64 v[18:19], -v[16:17], v[16:17], v[6:7]
	v_fma_f64 v[8:9], v[18:19], v[8:9], v[16:17]
	v_cndmask_b32_e64 v9, v9, v7, s[0:1]
	v_cndmask_b32_e64 v8, v8, v6, s[0:1]
	v_add_f64 v[16:17], v[8:9], v[8:9]
	v_mul_f64 v[18:19], v[8:9], v[8:9]
	v_rcp_f64_e32 v[21:22], v[16:17]
	v_add_f64 v[23:24], v[6:7], -v[18:19]
	v_fma_f64 v[27:28], v[8:9], v[8:9], -v[18:19]
	v_add_f64 v[6:7], v[6:7], -v[23:24]
	v_fma_f64 v[25:26], -v[16:17], v[21:22], 1.0
	v_add_f64 v[6:7], v[6:7], -v[18:19]
	v_fma_f64 v[18:19], v[25:26], v[21:22], v[21:22]
	v_add_f64 v[6:7], v[6:7], -v[27:28]
	v_fma_f64 v[21:22], -v[16:17], v[18:19], 1.0
	v_add_f64 v[6:7], v[23:24], v[6:7]
	v_fma_f64 v[18:19], v[21:22], v[18:19], v[18:19]
	v_mul_f64 v[21:22], v[6:7], v[18:19]
	v_fma_f64 v[6:7], -v[16:17], v[21:22], v[6:7]
	v_fma_f64 v[6:7], v[6:7], v[18:19], v[21:22]
	v_cndmask_b32_e64 v7, v7, 0, s[0:1]
	v_cndmask_b32_e64 v6, v6, 0, s[0:1]
	v_add_f64 v[16:17], v[8:9], v[6:7]
	s_mov_b32 s0, 0x54442d18
	s_mov_b32 s1, 0x3fe921fb
	v_add_f64 v[8:9], v[16:17], -v[8:9]
	v_mul_f64 v[18:19], v[14:15], v[16:17]
	v_add_f64 v[6:7], v[6:7], -v[8:9]
	v_fma_f64 v[8:9], v[16:17], v[14:15], -v[18:19]
	v_fma_f64 v[8:9], v[6:7], v[14:15], v[8:9]
	v_add_f64 v[14:15], v[18:19], v[8:9]
	v_add_f64 v[21:22], v[16:17], v[14:15]
	v_add_f64 v[18:19], v[14:15], -v[18:19]
	v_add_f64 v[16:17], v[21:22], -v[16:17]
	;; [unrolled: 1-line block ×4, first 2 shown]
	v_add_f64 v[6:7], v[6:7], v[8:9]
	v_add_f64 v[6:7], v[6:7], v[14:15]
	;; [unrolled: 1-line block ×3, first 2 shown]
	v_add_f64 v[14:15], -v[8:9], s[0:1]
	v_add_f64 v[18:19], v[8:9], -v[21:22]
	v_add_f64 v[16:17], -v[14:15], s[0:1]
	s_mov_b32 s0, 0x33145c07
	s_mov_b32 s1, 0x3c81a626
	v_add_f64 v[6:7], v[18:19], -v[6:7]
	v_add_f64 v[8:9], v[16:17], -v[8:9]
	v_add_f64 v[8:9], v[8:9], s[0:1]
	v_cmp_neq_f64_e64 s[0:1], |v[2:3]|, 1.0
	v_mov_b32_e32 v2, 0x54442d18
	v_add_f64 v[6:7], v[6:7], v[8:9]
	v_mov_b32_e32 v8, 0x3ff921fb
	v_add_f64 v[6:7], v[14:15], v[6:7]
	v_add_f64 v[6:7], v[6:7], v[6:7]
	v_cndmask_b32_e64 v9, v8, v7, s[0:1]
	v_cndmask_b32_e64 v8, v2, v6, s[0:1]
.LBB33_40:
	s_or_b64 exec, exec, s[6:7]
	s_brev_b32 s0, -2
	v_bfi_b32 v9, s0, v9, v3
	s_or_b64 exec, exec, s[4:5]
	s_and_saveexec_b64 s[0:1], vcc
	s_xor_b64 s[0:1], exec, s[0:1]
	s_cbranch_execz .LBB33_33
.LBB33_41:
	v_mov_b32_e32 v2, 0
	v_lshlrev_b64 v[0:1], 3, v[1:2]
	v_mov_b32_e32 v2, s9
	v_add_co_u32_e32 v0, vcc, s8, v0
	v_addc_co_u32_e32 v1, vcc, v2, v1, vcc
	global_store_dwordx2 v[0:1], v[4:5], off
	v_mov_b32_e32 v0, v20
	s_or_b64 exec, exec, s[0:1]
	v_cmp_gt_i32_e32 vcc, s33, v0
	s_and_saveexec_b64 s[0:1], vcc
	s_cbranch_execz .LBB33_34
.LBB33_42:
	v_add_u32_e32 v1, s2, v0
	v_mov_b32_e32 v2, 0
	v_lshlrev_b64 v[1:2], 3, v[1:2]
	v_mov_b32_e32 v3, s9
	v_add_co_u32_e32 v1, vcc, s8, v1
	v_addc_co_u32_e32 v2, vcc, v3, v2, vcc
	v_add_u32_e32 v0, 0x100, v0
	global_store_dwordx2 v[1:2], v[12:13], off
	s_or_b64 exec, exec, s[0:1]
	v_cmp_gt_i32_e32 vcc, s33, v0
	s_and_saveexec_b64 s[0:1], vcc
	s_cbranch_execz .LBB33_35
.LBB33_43:
	v_add_u32_e32 v1, s2, v0
	v_mov_b32_e32 v2, 0
	v_lshlrev_b64 v[1:2], 3, v[1:2]
	v_mov_b32_e32 v3, s9
	v_add_co_u32_e32 v1, vcc, s8, v1
	v_addc_co_u32_e32 v2, vcc, v3, v2, vcc
	v_add_u32_e32 v0, 0x100, v0
	global_store_dwordx2 v[1:2], v[10:11], off
	s_or_b64 exec, exec, s[0:1]
	v_cmp_gt_i32_e32 vcc, s33, v0
	s_and_saveexec_b64 s[0:1], vcc
	s_cbranch_execnz .LBB33_36
	s_branch .LBB33_37
	.section	.rodata,"a",@progbits
	.p2align	6, 0x0
	.amdhsa_kernel _ZN2at6native29vectorized_elementwise_kernelILi16EZZZNS0_16asin_kernel_cudaERNS_18TensorIteratorBaseEENKUlvE0_clEvENKUlvE_clEvEUldE_St5arrayIPcLm2EEEEviT0_T1_
		.amdhsa_group_segment_fixed_size 0
		.amdhsa_private_segment_fixed_size 0
		.amdhsa_kernarg_size 24
		.amdhsa_user_sgpr_count 6
		.amdhsa_user_sgpr_private_segment_buffer 1
		.amdhsa_user_sgpr_dispatch_ptr 0
		.amdhsa_user_sgpr_queue_ptr 0
		.amdhsa_user_sgpr_kernarg_segment_ptr 1
		.amdhsa_user_sgpr_dispatch_id 0
		.amdhsa_user_sgpr_flat_scratch_init 0
		.amdhsa_user_sgpr_private_segment_size 0
		.amdhsa_uses_dynamic_stack 0
		.amdhsa_system_sgpr_private_segment_wavefront_offset 0
		.amdhsa_system_sgpr_workgroup_id_x 1
		.amdhsa_system_sgpr_workgroup_id_y 0
		.amdhsa_system_sgpr_workgroup_id_z 0
		.amdhsa_system_sgpr_workgroup_info 0
		.amdhsa_system_vgpr_workitem_id 0
		.amdhsa_next_free_vgpr 30
		.amdhsa_next_free_sgpr 36
		.amdhsa_reserve_vcc 1
		.amdhsa_reserve_flat_scratch 0
		.amdhsa_float_round_mode_32 0
		.amdhsa_float_round_mode_16_64 0
		.amdhsa_float_denorm_mode_32 3
		.amdhsa_float_denorm_mode_16_64 3
		.amdhsa_dx10_clamp 1
		.amdhsa_ieee_mode 1
		.amdhsa_fp16_overflow 0
		.amdhsa_exception_fp_ieee_invalid_op 0
		.amdhsa_exception_fp_denorm_src 0
		.amdhsa_exception_fp_ieee_div_zero 0
		.amdhsa_exception_fp_ieee_overflow 0
		.amdhsa_exception_fp_ieee_underflow 0
		.amdhsa_exception_fp_ieee_inexact 0
		.amdhsa_exception_int_div_zero 0
	.end_amdhsa_kernel
	.section	.text._ZN2at6native29vectorized_elementwise_kernelILi16EZZZNS0_16asin_kernel_cudaERNS_18TensorIteratorBaseEENKUlvE0_clEvENKUlvE_clEvEUldE_St5arrayIPcLm2EEEEviT0_T1_,"axG",@progbits,_ZN2at6native29vectorized_elementwise_kernelILi16EZZZNS0_16asin_kernel_cudaERNS_18TensorIteratorBaseEENKUlvE0_clEvENKUlvE_clEvEUldE_St5arrayIPcLm2EEEEviT0_T1_,comdat
.Lfunc_end33:
	.size	_ZN2at6native29vectorized_elementwise_kernelILi16EZZZNS0_16asin_kernel_cudaERNS_18TensorIteratorBaseEENKUlvE0_clEvENKUlvE_clEvEUldE_St5arrayIPcLm2EEEEviT0_T1_, .Lfunc_end33-_ZN2at6native29vectorized_elementwise_kernelILi16EZZZNS0_16asin_kernel_cudaERNS_18TensorIteratorBaseEENKUlvE0_clEvENKUlvE_clEvEUldE_St5arrayIPcLm2EEEEviT0_T1_
                                        ; -- End function
	.set _ZN2at6native29vectorized_elementwise_kernelILi16EZZZNS0_16asin_kernel_cudaERNS_18TensorIteratorBaseEENKUlvE0_clEvENKUlvE_clEvEUldE_St5arrayIPcLm2EEEEviT0_T1_.num_vgpr, 30
	.set _ZN2at6native29vectorized_elementwise_kernelILi16EZZZNS0_16asin_kernel_cudaERNS_18TensorIteratorBaseEENKUlvE0_clEvENKUlvE_clEvEUldE_St5arrayIPcLm2EEEEviT0_T1_.num_agpr, 0
	.set _ZN2at6native29vectorized_elementwise_kernelILi16EZZZNS0_16asin_kernel_cudaERNS_18TensorIteratorBaseEENKUlvE0_clEvENKUlvE_clEvEUldE_St5arrayIPcLm2EEEEviT0_T1_.numbered_sgpr, 36
	.set _ZN2at6native29vectorized_elementwise_kernelILi16EZZZNS0_16asin_kernel_cudaERNS_18TensorIteratorBaseEENKUlvE0_clEvENKUlvE_clEvEUldE_St5arrayIPcLm2EEEEviT0_T1_.num_named_barrier, 0
	.set _ZN2at6native29vectorized_elementwise_kernelILi16EZZZNS0_16asin_kernel_cudaERNS_18TensorIteratorBaseEENKUlvE0_clEvENKUlvE_clEvEUldE_St5arrayIPcLm2EEEEviT0_T1_.private_seg_size, 0
	.set _ZN2at6native29vectorized_elementwise_kernelILi16EZZZNS0_16asin_kernel_cudaERNS_18TensorIteratorBaseEENKUlvE0_clEvENKUlvE_clEvEUldE_St5arrayIPcLm2EEEEviT0_T1_.uses_vcc, 1
	.set _ZN2at6native29vectorized_elementwise_kernelILi16EZZZNS0_16asin_kernel_cudaERNS_18TensorIteratorBaseEENKUlvE0_clEvENKUlvE_clEvEUldE_St5arrayIPcLm2EEEEviT0_T1_.uses_flat_scratch, 0
	.set _ZN2at6native29vectorized_elementwise_kernelILi16EZZZNS0_16asin_kernel_cudaERNS_18TensorIteratorBaseEENKUlvE0_clEvENKUlvE_clEvEUldE_St5arrayIPcLm2EEEEviT0_T1_.has_dyn_sized_stack, 0
	.set _ZN2at6native29vectorized_elementwise_kernelILi16EZZZNS0_16asin_kernel_cudaERNS_18TensorIteratorBaseEENKUlvE0_clEvENKUlvE_clEvEUldE_St5arrayIPcLm2EEEEviT0_T1_.has_recursion, 0
	.set _ZN2at6native29vectorized_elementwise_kernelILi16EZZZNS0_16asin_kernel_cudaERNS_18TensorIteratorBaseEENKUlvE0_clEvENKUlvE_clEvEUldE_St5arrayIPcLm2EEEEviT0_T1_.has_indirect_call, 0
	.section	.AMDGPU.csdata,"",@progbits
; Kernel info:
; codeLenInByte = 7020
; TotalNumSgprs: 40
; NumVgprs: 30
; ScratchSize: 0
; MemoryBound: 0
; FloatMode: 240
; IeeeMode: 1
; LDSByteSize: 0 bytes/workgroup (compile time only)
; SGPRBlocks: 4
; VGPRBlocks: 7
; NumSGPRsForWavesPerEU: 40
; NumVGPRsForWavesPerEU: 30
; Occupancy: 8
; WaveLimiterHint : 0
; COMPUTE_PGM_RSRC2:SCRATCH_EN: 0
; COMPUTE_PGM_RSRC2:USER_SGPR: 6
; COMPUTE_PGM_RSRC2:TRAP_HANDLER: 0
; COMPUTE_PGM_RSRC2:TGID_X_EN: 1
; COMPUTE_PGM_RSRC2:TGID_Y_EN: 0
; COMPUTE_PGM_RSRC2:TGID_Z_EN: 0
; COMPUTE_PGM_RSRC2:TIDIG_COMP_CNT: 0
	.section	.text._ZN2at6native29vectorized_elementwise_kernelILi8EZZZNS0_16asin_kernel_cudaERNS_18TensorIteratorBaseEENKUlvE0_clEvENKUlvE_clEvEUldE_St5arrayIPcLm2EEEEviT0_T1_,"axG",@progbits,_ZN2at6native29vectorized_elementwise_kernelILi8EZZZNS0_16asin_kernel_cudaERNS_18TensorIteratorBaseEENKUlvE0_clEvENKUlvE_clEvEUldE_St5arrayIPcLm2EEEEviT0_T1_,comdat
	.globl	_ZN2at6native29vectorized_elementwise_kernelILi8EZZZNS0_16asin_kernel_cudaERNS_18TensorIteratorBaseEENKUlvE0_clEvENKUlvE_clEvEUldE_St5arrayIPcLm2EEEEviT0_T1_ ; -- Begin function _ZN2at6native29vectorized_elementwise_kernelILi8EZZZNS0_16asin_kernel_cudaERNS_18TensorIteratorBaseEENKUlvE0_clEvENKUlvE_clEvEUldE_St5arrayIPcLm2EEEEviT0_T1_
	.p2align	8
	.type	_ZN2at6native29vectorized_elementwise_kernelILi8EZZZNS0_16asin_kernel_cudaERNS_18TensorIteratorBaseEENKUlvE0_clEvENKUlvE_clEvEUldE_St5arrayIPcLm2EEEEviT0_T1_,@function
_ZN2at6native29vectorized_elementwise_kernelILi8EZZZNS0_16asin_kernel_cudaERNS_18TensorIteratorBaseEENKUlvE0_clEvENKUlvE_clEvEUldE_St5arrayIPcLm2EEEEviT0_T1_: ; @_ZN2at6native29vectorized_elementwise_kernelILi8EZZZNS0_16asin_kernel_cudaERNS_18TensorIteratorBaseEENKUlvE0_clEvENKUlvE_clEvEUldE_St5arrayIPcLm2EEEEviT0_T1_
; %bb.0:
	s_load_dword s0, s[4:5], 0x0
	s_load_dwordx4 s[8:11], s[4:5], 0x8
	s_lshl_b32 s2, s6, 10
	s_waitcnt lgkmcnt(0)
	s_sub_i32 s33, s0, s2
	s_cmpk_gt_i32 s33, 0x3ff
	s_mov_b64 s[0:1], -1
	s_cbranch_scc0 .LBB34_10
; %bb.1:
	s_ashr_i32 s3, s2, 31
	s_lshl_b64 s[0:1], s[2:3], 3
	s_add_u32 s14, s10, s0
	s_addc_u32 s15, s11, s1
	v_lshlrev_b32_e32 v21, 5, v0
	global_load_dwordx4 v[1:4], v21, s[14:15]
	s_mov_b32 s4, 0x9fea6a70
	v_mov_b32_e32 v11, 0x78a05eaf
	v_mov_b32_e32 v12, 0xbf90a5a3
	s_mov_b32 s5, 0x3fa05985
	s_mov_b32 s6, 0x37024d6a
	;; [unrolled: 1-line block ×19, first 2 shown]
	s_waitcnt vmcnt(0)
	v_fma_f64 v[13:14], |v[1:2]|, -0.5, 0.5
	v_mul_f64 v[5:6], v[1:2], v[1:2]
	v_cmp_ge_f64_e64 vcc, |v[1:2]|, 0.5
	v_cndmask_b32_e32 v10, v6, v14, vcc
	v_cndmask_b32_e32 v9, v5, v13, vcc
	v_fma_f64 v[5:6], v[9:10], s[4:5], v[11:12]
	v_fma_f64 v[5:6], v[9:10], v[5:6], s[6:7]
	;; [unrolled: 1-line block ×3, first 2 shown]
	global_load_dwordx4 v[5:8], v21, s[14:15] offset:16
	s_mov_b32 s14, 0xa300c8d2
	s_mov_b32 s15, 0x3f88ed60
	v_fma_f64 v[15:16], v[9:10], v[15:16], s[14:15]
	v_fma_f64 v[15:16], v[9:10], v[15:16], s[16:17]
	v_fma_f64 v[15:16], v[9:10], v[15:16], s[18:19]
	v_fma_f64 v[15:16], v[9:10], v[15:16], s[20:21]
	v_fma_f64 v[15:16], v[9:10], v[15:16], s[22:23]
	v_fma_f64 v[15:16], v[9:10], v[15:16], s[24:25]
	v_fma_f64 v[15:16], v[9:10], v[15:16], s[26:27]
	v_fma_f64 v[15:16], v[9:10], v[15:16], s[28:29]
	v_mul_f64 v[15:16], v[9:10], v[15:16]
	v_fma_f64 v[9:10], |v[1:2]|, v[15:16], |v[1:2]|
	s_and_saveexec_b64 s[30:31], vcc
	s_cbranch_execz .LBB34_3
; %bb.2:
	v_rsq_f64_e32 v[9:10], v[13:14]
	v_cmp_eq_f64_e32 vcc, 0, v[13:14]
	s_mov_b32 s34, 0x54442d18
	s_mov_b32 s35, 0x3fe921fb
	v_mul_f64 v[17:18], v[13:14], v[9:10]
	v_mul_f64 v[9:10], v[9:10], 0.5
	v_fma_f64 v[19:20], -v[9:10], v[17:18], 0.5
	v_fma_f64 v[17:18], v[17:18], v[19:20], v[17:18]
	v_fma_f64 v[9:10], v[9:10], v[19:20], v[9:10]
	v_fma_f64 v[19:20], -v[17:18], v[17:18], v[13:14]
	v_fma_f64 v[9:10], v[19:20], v[9:10], v[17:18]
	v_cndmask_b32_e32 v10, v10, v14, vcc
	v_cndmask_b32_e32 v9, v9, v13, vcc
	v_add_f64 v[17:18], v[9:10], v[9:10]
	v_mul_f64 v[19:20], v[9:10], v[9:10]
	v_rcp_f64_e32 v[22:23], v[17:18]
	v_add_f64 v[24:25], v[13:14], -v[19:20]
	v_fma_f64 v[28:29], v[9:10], v[9:10], -v[19:20]
	v_add_f64 v[13:14], v[13:14], -v[24:25]
	v_fma_f64 v[26:27], -v[17:18], v[22:23], 1.0
	v_add_f64 v[13:14], v[13:14], -v[19:20]
	v_fma_f64 v[19:20], v[26:27], v[22:23], v[22:23]
	v_add_f64 v[13:14], v[13:14], -v[28:29]
	v_fma_f64 v[22:23], -v[17:18], v[19:20], 1.0
	v_add_f64 v[13:14], v[24:25], v[13:14]
	v_fma_f64 v[19:20], v[22:23], v[19:20], v[19:20]
	v_mul_f64 v[22:23], v[13:14], v[19:20]
	v_fma_f64 v[13:14], -v[17:18], v[22:23], v[13:14]
	v_fma_f64 v[13:14], v[13:14], v[19:20], v[22:23]
	v_cndmask_b32_e64 v14, v14, 0, vcc
	v_cndmask_b32_e64 v13, v13, 0, vcc
	v_add_f64 v[17:18], v[9:10], v[13:14]
	v_cmp_neq_f64_e64 vcc, |v[1:2]|, 1.0
	v_mov_b32_e32 v1, 0x54442d18
	v_add_f64 v[9:10], v[17:18], -v[9:10]
	v_mul_f64 v[19:20], v[15:16], v[17:18]
	v_add_f64 v[9:10], v[13:14], -v[9:10]
	v_fma_f64 v[13:14], v[17:18], v[15:16], -v[19:20]
	v_fma_f64 v[13:14], v[9:10], v[15:16], v[13:14]
	v_add_f64 v[15:16], v[19:20], v[13:14]
	v_add_f64 v[22:23], v[17:18], v[15:16]
	v_add_f64 v[19:20], v[15:16], -v[19:20]
	v_add_f64 v[17:18], v[22:23], -v[17:18]
	;; [unrolled: 1-line block ×4, first 2 shown]
	v_add_f64 v[9:10], v[9:10], v[13:14]
	v_add_f64 v[9:10], v[9:10], v[15:16]
	;; [unrolled: 1-line block ×3, first 2 shown]
	v_add_f64 v[15:16], -v[13:14], s[34:35]
	v_add_f64 v[19:20], v[13:14], -v[22:23]
	v_add_f64 v[17:18], -v[15:16], s[34:35]
	s_mov_b32 s34, 0x33145c07
	s_mov_b32 s35, 0x3c81a626
	v_add_f64 v[9:10], v[19:20], -v[9:10]
	v_add_f64 v[13:14], v[17:18], -v[13:14]
	v_add_f64 v[13:14], v[13:14], s[34:35]
	v_add_f64 v[9:10], v[9:10], v[13:14]
	v_mov_b32_e32 v13, 0x3ff921fb
	v_add_f64 v[9:10], v[15:16], v[9:10]
	v_add_f64 v[9:10], v[9:10], v[9:10]
	v_cndmask_b32_e32 v10, v13, v10, vcc
	v_cndmask_b32_e32 v9, v1, v9, vcc
.LBB34_3:
	s_or_b64 exec, exec, s[30:31]
	v_fma_f64 v[15:16], |v[3:4]|, -0.5, 0.5
	v_mul_f64 v[13:14], v[3:4], v[3:4]
	v_cmp_ge_f64_e64 vcc, |v[3:4]|, 0.5
	v_cndmask_b32_e32 v14, v14, v16, vcc
	v_cndmask_b32_e32 v13, v13, v15, vcc
	v_fma_f64 v[11:12], v[13:14], s[4:5], v[11:12]
	v_fma_f64 v[11:12], v[13:14], v[11:12], s[6:7]
	;; [unrolled: 1-line block ×11, first 2 shown]
	v_mul_f64 v[13:14], v[13:14], v[11:12]
	v_fma_f64 v[11:12], |v[3:4]|, v[13:14], |v[3:4]|
	s_and_saveexec_b64 s[4:5], vcc
	s_cbranch_execz .LBB34_5
; %bb.4:
	v_rsq_f64_e32 v[11:12], v[15:16]
	v_cmp_eq_f64_e32 vcc, 0, v[15:16]
	s_mov_b32 s6, 0x54442d18
	s_mov_b32 s7, 0x3fe921fb
	v_mov_b32_e32 v1, 0x3ff921fb
	v_mul_f64 v[17:18], v[15:16], v[11:12]
	v_mul_f64 v[11:12], v[11:12], 0.5
	v_fma_f64 v[19:20], -v[11:12], v[17:18], 0.5
	v_fma_f64 v[17:18], v[17:18], v[19:20], v[17:18]
	v_fma_f64 v[11:12], v[11:12], v[19:20], v[11:12]
	v_fma_f64 v[19:20], -v[17:18], v[17:18], v[15:16]
	v_fma_f64 v[11:12], v[19:20], v[11:12], v[17:18]
	v_cndmask_b32_e32 v12, v12, v16, vcc
	v_cndmask_b32_e32 v11, v11, v15, vcc
	v_add_f64 v[17:18], v[11:12], v[11:12]
	v_mul_f64 v[19:20], v[11:12], v[11:12]
	v_rcp_f64_e32 v[22:23], v[17:18]
	v_add_f64 v[24:25], v[15:16], -v[19:20]
	v_fma_f64 v[28:29], v[11:12], v[11:12], -v[19:20]
	v_add_f64 v[15:16], v[15:16], -v[24:25]
	v_fma_f64 v[26:27], -v[17:18], v[22:23], 1.0
	v_add_f64 v[15:16], v[15:16], -v[19:20]
	v_fma_f64 v[19:20], v[26:27], v[22:23], v[22:23]
	v_add_f64 v[15:16], v[15:16], -v[28:29]
	v_fma_f64 v[22:23], -v[17:18], v[19:20], 1.0
	v_add_f64 v[15:16], v[24:25], v[15:16]
	v_fma_f64 v[19:20], v[22:23], v[19:20], v[19:20]
	v_mul_f64 v[22:23], v[15:16], v[19:20]
	v_fma_f64 v[15:16], -v[17:18], v[22:23], v[15:16]
	v_fma_f64 v[15:16], v[15:16], v[19:20], v[22:23]
	v_cndmask_b32_e64 v16, v16, 0, vcc
	v_cndmask_b32_e64 v15, v15, 0, vcc
	v_add_f64 v[17:18], v[11:12], v[15:16]
	v_cmp_neq_f64_e64 vcc, |v[3:4]|, 1.0
	v_mov_b32_e32 v3, 0x54442d18
	v_add_f64 v[11:12], v[17:18], -v[11:12]
	v_mul_f64 v[19:20], v[13:14], v[17:18]
	v_add_f64 v[11:12], v[15:16], -v[11:12]
	v_fma_f64 v[15:16], v[17:18], v[13:14], -v[19:20]
	v_fma_f64 v[13:14], v[11:12], v[13:14], v[15:16]
	v_add_f64 v[15:16], v[19:20], v[13:14]
	v_add_f64 v[22:23], v[17:18], v[15:16]
	v_add_f64 v[19:20], v[15:16], -v[19:20]
	v_add_f64 v[17:18], v[22:23], -v[17:18]
	;; [unrolled: 1-line block ×4, first 2 shown]
	v_add_f64 v[11:12], v[11:12], v[13:14]
	v_add_f64 v[11:12], v[11:12], v[15:16]
	;; [unrolled: 1-line block ×3, first 2 shown]
	v_add_f64 v[15:16], -v[13:14], s[6:7]
	v_add_f64 v[19:20], v[13:14], -v[22:23]
	v_add_f64 v[17:18], -v[15:16], s[6:7]
	s_mov_b32 s6, 0x33145c07
	s_mov_b32 s7, 0x3c81a626
	v_add_f64 v[11:12], v[19:20], -v[11:12]
	v_add_f64 v[13:14], v[17:18], -v[13:14]
	v_add_f64 v[13:14], v[13:14], s[6:7]
	v_add_f64 v[11:12], v[11:12], v[13:14]
	;; [unrolled: 1-line block ×4, first 2 shown]
	v_cndmask_b32_e32 v12, v1, v12, vcc
	v_cndmask_b32_e32 v11, v3, v11, vcc
.LBB34_5:
	s_or_b64 exec, exec, s[4:5]
	s_waitcnt vmcnt(0)
	v_fma_f64 v[17:18], |v[5:6]|, -0.5, 0.5
	v_mul_f64 v[13:14], v[5:6], v[5:6]
	v_cmp_ge_f64_e64 vcc, |v[5:6]|, 0.5
	s_mov_b32 s4, 0x9fea6a70
	v_mov_b32_e32 v15, 0x78a05eaf
	v_mov_b32_e32 v16, 0xbf90a5a3
	s_mov_b32 s5, 0x3fa05985
	s_mov_b32 s6, 0x37024d6a
	;; [unrolled: 1-line block ×3, first 2 shown]
	v_cndmask_b32_e32 v14, v14, v18, vcc
	v_cndmask_b32_e32 v13, v13, v17, vcc
	v_fma_f64 v[19:20], v[13:14], s[4:5], v[15:16]
	v_fma_f64 v[19:20], v[13:14], v[19:20], s[6:7]
	;; [unrolled: 1-line block ×11, first 2 shown]
	v_mul_f64 v[19:20], v[13:14], v[19:20]
	v_fma_f64 v[13:14], |v[5:6]|, v[19:20], |v[5:6]|
	s_and_saveexec_b64 s[30:31], vcc
	s_cbranch_execz .LBB34_7
; %bb.6:
	v_rsq_f64_e32 v[13:14], v[17:18]
	v_cmp_eq_f64_e32 vcc, 0, v[17:18]
	s_mov_b32 s34, 0x54442d18
	s_mov_b32 s35, 0x3fe921fb
	v_mov_b32_e32 v1, 0x3ff921fb
	v_mul_f64 v[22:23], v[17:18], v[13:14]
	v_mul_f64 v[13:14], v[13:14], 0.5
	v_fma_f64 v[24:25], -v[13:14], v[22:23], 0.5
	v_fma_f64 v[22:23], v[22:23], v[24:25], v[22:23]
	v_fma_f64 v[13:14], v[13:14], v[24:25], v[13:14]
	v_fma_f64 v[24:25], -v[22:23], v[22:23], v[17:18]
	v_fma_f64 v[13:14], v[24:25], v[13:14], v[22:23]
	v_cndmask_b32_e32 v14, v14, v18, vcc
	v_cndmask_b32_e32 v13, v13, v17, vcc
	v_mul_f64 v[22:23], v[13:14], v[13:14]
	v_add_f64 v[26:27], v[17:18], -v[22:23]
	v_fma_f64 v[24:25], v[13:14], v[13:14], -v[22:23]
	v_add_f64 v[17:18], v[17:18], -v[26:27]
	v_add_f64 v[17:18], v[17:18], -v[22:23]
	v_add_f64 v[22:23], v[13:14], v[13:14]
	v_add_f64 v[17:18], v[17:18], -v[24:25]
	v_rcp_f64_e32 v[24:25], v[22:23]
	v_add_f64 v[17:18], v[26:27], v[17:18]
	v_fma_f64 v[26:27], -v[22:23], v[24:25], 1.0
	v_fma_f64 v[24:25], v[26:27], v[24:25], v[24:25]
	v_fma_f64 v[26:27], -v[22:23], v[24:25], 1.0
	v_fma_f64 v[24:25], v[26:27], v[24:25], v[24:25]
	v_mul_f64 v[26:27], v[17:18], v[24:25]
	v_fma_f64 v[17:18], -v[22:23], v[26:27], v[17:18]
	v_fma_f64 v[17:18], v[17:18], v[24:25], v[26:27]
	v_cndmask_b32_e64 v18, v18, 0, vcc
	v_cndmask_b32_e64 v17, v17, 0, vcc
	v_add_f64 v[22:23], v[13:14], v[17:18]
	v_cmp_neq_f64_e64 vcc, |v[5:6]|, 1.0
	v_add_f64 v[13:14], v[22:23], -v[13:14]
	v_add_f64 v[13:14], v[17:18], -v[13:14]
	v_mul_f64 v[17:18], v[19:20], v[22:23]
	v_fma_f64 v[24:25], v[22:23], v[19:20], -v[17:18]
	v_fma_f64 v[19:20], v[13:14], v[19:20], v[24:25]
	v_add_f64 v[24:25], v[17:18], v[19:20]
	v_add_f64 v[17:18], v[24:25], -v[17:18]
	v_add_f64 v[17:18], v[19:20], -v[17:18]
	v_add_f64 v[19:20], v[22:23], v[24:25]
	v_add_f64 v[13:14], v[13:14], v[17:18]
	v_add_f64 v[22:23], v[19:20], -v[22:23]
	v_add_f64 v[22:23], v[24:25], -v[22:23]
	v_add_f64 v[13:14], v[13:14], v[22:23]
	v_add_f64 v[17:18], v[19:20], v[13:14]
	v_add_f64 v[22:23], -v[17:18], s[34:35]
	v_add_f64 v[19:20], v[17:18], -v[19:20]
	v_add_f64 v[24:25], -v[22:23], s[34:35]
	s_mov_b32 s34, 0x33145c07
	s_mov_b32 s35, 0x3c81a626
	v_add_f64 v[13:14], v[19:20], -v[13:14]
	v_add_f64 v[17:18], v[24:25], -v[17:18]
	v_add_f64 v[17:18], v[17:18], s[34:35]
	v_add_f64 v[13:14], v[13:14], v[17:18]
	;; [unrolled: 1-line block ×4, first 2 shown]
	v_cndmask_b32_e32 v14, v1, v14, vcc
	v_mov_b32_e32 v1, 0x54442d18
	v_cndmask_b32_e32 v13, v1, v13, vcc
.LBB34_7:
	s_or_b64 exec, exec, s[30:31]
	v_fma_f64 v[19:20], |v[7:8]|, -0.5, 0.5
	v_mul_f64 v[17:18], v[7:8], v[7:8]
	v_cmp_ge_f64_e64 vcc, |v[7:8]|, 0.5
	v_cndmask_b32_e32 v18, v18, v20, vcc
	v_cndmask_b32_e32 v17, v17, v19, vcc
	v_fma_f64 v[15:16], v[17:18], s[4:5], v[15:16]
	v_fma_f64 v[15:16], v[17:18], v[15:16], s[6:7]
	v_fma_f64 v[15:16], v[17:18], v[15:16], s[12:13]
	v_fma_f64 v[15:16], v[17:18], v[15:16], s[14:15]
	v_fma_f64 v[15:16], v[17:18], v[15:16], s[16:17]
	v_fma_f64 v[15:16], v[17:18], v[15:16], s[18:19]
	v_fma_f64 v[15:16], v[17:18], v[15:16], s[20:21]
	v_fma_f64 v[15:16], v[17:18], v[15:16], s[22:23]
	v_fma_f64 v[15:16], v[17:18], v[15:16], s[24:25]
	v_fma_f64 v[15:16], v[17:18], v[15:16], s[26:27]
	v_fma_f64 v[15:16], v[17:18], v[15:16], s[28:29]
	v_mul_f64 v[17:18], v[17:18], v[15:16]
	v_fma_f64 v[15:16], |v[7:8]|, v[17:18], |v[7:8]|
	s_and_saveexec_b64 s[4:5], vcc
	s_cbranch_execz .LBB34_9
; %bb.8:
	v_rsq_f64_e32 v[15:16], v[19:20]
	v_cmp_eq_f64_e32 vcc, 0, v[19:20]
	s_mov_b32 s6, 0x54442d18
	s_mov_b32 s7, 0x3fe921fb
	v_mov_b32_e32 v1, 0x3ff921fb
	v_mul_f64 v[22:23], v[19:20], v[15:16]
	v_mul_f64 v[15:16], v[15:16], 0.5
	v_fma_f64 v[24:25], -v[15:16], v[22:23], 0.5
	v_fma_f64 v[22:23], v[22:23], v[24:25], v[22:23]
	v_fma_f64 v[15:16], v[15:16], v[24:25], v[15:16]
	v_fma_f64 v[24:25], -v[22:23], v[22:23], v[19:20]
	v_fma_f64 v[15:16], v[24:25], v[15:16], v[22:23]
	v_cndmask_b32_e32 v16, v16, v20, vcc
	v_cndmask_b32_e32 v15, v15, v19, vcc
	v_mul_f64 v[22:23], v[15:16], v[15:16]
	v_add_f64 v[26:27], v[19:20], -v[22:23]
	v_fma_f64 v[24:25], v[15:16], v[15:16], -v[22:23]
	v_add_f64 v[19:20], v[19:20], -v[26:27]
	v_add_f64 v[19:20], v[19:20], -v[22:23]
	v_add_f64 v[22:23], v[15:16], v[15:16]
	v_add_f64 v[19:20], v[19:20], -v[24:25]
	v_rcp_f64_e32 v[24:25], v[22:23]
	v_add_f64 v[19:20], v[26:27], v[19:20]
	v_fma_f64 v[26:27], -v[22:23], v[24:25], 1.0
	v_fma_f64 v[24:25], v[26:27], v[24:25], v[24:25]
	v_fma_f64 v[26:27], -v[22:23], v[24:25], 1.0
	v_fma_f64 v[24:25], v[26:27], v[24:25], v[24:25]
	v_mul_f64 v[26:27], v[19:20], v[24:25]
	v_fma_f64 v[19:20], -v[22:23], v[26:27], v[19:20]
	v_fma_f64 v[19:20], v[19:20], v[24:25], v[26:27]
	v_cndmask_b32_e64 v20, v20, 0, vcc
	v_cndmask_b32_e64 v19, v19, 0, vcc
	v_add_f64 v[22:23], v[15:16], v[19:20]
	v_cmp_neq_f64_e64 vcc, |v[7:8]|, 1.0
	v_add_f64 v[15:16], v[22:23], -v[15:16]
	v_add_f64 v[15:16], v[19:20], -v[15:16]
	v_mul_f64 v[19:20], v[17:18], v[22:23]
	v_fma_f64 v[24:25], v[22:23], v[17:18], -v[19:20]
	v_fma_f64 v[17:18], v[15:16], v[17:18], v[24:25]
	v_add_f64 v[24:25], v[19:20], v[17:18]
	v_add_f64 v[19:20], v[24:25], -v[19:20]
	v_add_f64 v[17:18], v[17:18], -v[19:20]
	v_add_f64 v[19:20], v[22:23], v[24:25]
	v_add_f64 v[15:16], v[15:16], v[17:18]
	v_add_f64 v[22:23], v[19:20], -v[22:23]
	v_add_f64 v[22:23], v[24:25], -v[22:23]
	v_add_f64 v[15:16], v[15:16], v[22:23]
	v_add_f64 v[17:18], v[19:20], v[15:16]
	v_add_f64 v[22:23], -v[17:18], s[6:7]
	v_add_f64 v[19:20], v[17:18], -v[19:20]
	v_add_f64 v[24:25], -v[22:23], s[6:7]
	s_mov_b32 s6, 0x33145c07
	s_mov_b32 s7, 0x3c81a626
	v_add_f64 v[15:16], v[19:20], -v[15:16]
	v_add_f64 v[17:18], v[24:25], -v[17:18]
	v_add_f64 v[17:18], v[17:18], s[6:7]
	v_add_f64 v[15:16], v[15:16], v[17:18]
	;; [unrolled: 1-line block ×4, first 2 shown]
	v_cndmask_b32_e32 v16, v1, v16, vcc
	v_mov_b32_e32 v1, 0x54442d18
	v_cndmask_b32_e32 v15, v1, v15, vcc
.LBB34_9:
	s_or_b64 exec, exec, s[4:5]
	s_brev_b32 s3, -2
	s_add_u32 s0, s8, s0
	v_bfi_b32 v12, s3, v12, v4
	v_bfi_b32 v10, s3, v10, v2
	s_addc_u32 s1, s9, s1
	v_bfi_b32 v14, s3, v14, v6
	v_bfi_b32 v16, s3, v16, v8
	global_store_dwordx4 v21, v[9:12], s[0:1]
	global_store_dwordx4 v21, v[13:16], s[0:1] offset:16
	s_mov_b64 s[0:1], 0
.LBB34_10:
	s_and_b64 vcc, exec, s[0:1]
	s_cbranch_vccz .LBB34_37
; %bb.11:
	v_mov_b32_e32 v14, 0
	v_mov_b32_e32 v16, 0
	v_cmp_gt_i32_e32 vcc, s33, v0
	v_mov_b32_e32 v15, 0
	v_or_b32_e32 v1, s2, v0
	v_mov_b32_e32 v17, 0
	v_mov_b32_e32 v4, v0
	s_and_saveexec_b64 s[4:5], vcc
	s_cbranch_execz .LBB34_13
; %bb.12:
	v_mov_b32_e32 v2, 0
	v_lshlrev_b64 v[2:3], 3, v[1:2]
	v_mov_b32_e32 v4, s11
	v_add_co_u32_e64 v2, s[0:1], s10, v2
	v_addc_co_u32_e64 v3, s[0:1], v4, v3, s[0:1]
	global_load_dwordx2 v[16:17], v[2:3], off
	v_or_b32_e32 v4, 0x100, v0
.LBB34_13:
	s_or_b64 exec, exec, s[4:5]
	v_cmp_gt_i32_e64 s[0:1], s33, v4
	s_and_saveexec_b64 s[4:5], s[0:1]
	s_cbranch_execz .LBB34_15
; %bb.14:
	v_add_u32_e32 v2, s2, v4
	v_mov_b32_e32 v3, 0
	v_lshlrev_b64 v[2:3], 3, v[2:3]
	v_mov_b32_e32 v5, s11
	v_add_co_u32_e64 v2, s[0:1], s10, v2
	v_addc_co_u32_e64 v3, s[0:1], v5, v3, s[0:1]
	global_load_dwordx2 v[14:15], v[2:3], off
	v_add_u32_e32 v4, 0x100, v4
.LBB34_15:
	s_or_b64 exec, exec, s[4:5]
	v_mov_b32_e32 v2, 0
	v_mov_b32_e32 v6, 0
	;; [unrolled: 1-line block ×4, first 2 shown]
	v_cmp_gt_i32_e64 s[0:1], s33, v4
	s_and_saveexec_b64 s[4:5], s[0:1]
	s_cbranch_execz .LBB34_17
; %bb.16:
	v_add_u32_e32 v5, s2, v4
	v_mov_b32_e32 v6, 0
	v_lshlrev_b64 v[5:6], 3, v[5:6]
	v_mov_b32_e32 v7, s11
	v_add_co_u32_e64 v5, s[0:1], s10, v5
	v_addc_co_u32_e64 v6, s[0:1], v7, v6, s[0:1]
	global_load_dwordx2 v[6:7], v[5:6], off
	v_add_u32_e32 v4, 0x100, v4
.LBB34_17:
	s_or_b64 exec, exec, s[4:5]
	v_cmp_gt_i32_e64 s[0:1], s33, v4
	s_and_saveexec_b64 s[4:5], s[0:1]
	s_cbranch_execz .LBB34_19
; %bb.18:
	v_add_u32_e32 v2, s2, v4
	v_mov_b32_e32 v3, 0
	v_lshlrev_b64 v[2:3], 3, v[2:3]
	v_mov_b32_e32 v4, s11
	v_add_co_u32_e64 v2, s[0:1], s10, v2
	v_addc_co_u32_e64 v3, s[0:1], v4, v3, s[0:1]
	global_load_dwordx2 v[2:3], v[2:3], off
.LBB34_19:
	s_or_b64 exec, exec, s[4:5]
	v_mov_b32_e32 v4, 0
	v_mov_b32_e32 v5, v4
	;; [unrolled: 1-line block ×8, first 2 shown]
	s_and_saveexec_b64 s[4:5], vcc
	s_cbranch_execz .LBB34_23
; %bb.20:
	s_waitcnt vmcnt(0)
	v_fma_f64 v[8:9], |v[16:17]|, -0.5, 0.5
	v_mul_f64 v[4:5], v[16:17], v[16:17]
	v_cmp_ge_f64_e64 s[0:1], |v[16:17]|, 0.5
	s_mov_b32 s6, 0x9fea6a70
	v_mov_b32_e32 v10, 0x78a05eaf
	v_mov_b32_e32 v11, 0xbf90a5a3
	s_mov_b32 s7, 0x3fa05985
	v_cndmask_b32_e64 v5, v5, v9, s[0:1]
	v_cndmask_b32_e64 v4, v4, v8, s[0:1]
	v_fma_f64 v[10:11], v[4:5], s[6:7], v[10:11]
	s_mov_b32 s6, 0x37024d6a
	s_mov_b32 s7, 0x3f940521
	v_fma_f64 v[10:11], v[4:5], v[10:11], s[6:7]
	s_mov_b32 s6, 0x98a70509
	s_mov_b32 s7, 0x3f7ab3a0
	;; [unrolled: 3-line block ×10, first 2 shown]
	v_fma_f64 v[10:11], v[4:5], v[10:11], s[6:7]
	v_mul_f64 v[10:11], v[4:5], v[10:11]
	v_fma_f64 v[4:5], |v[16:17]|, v[10:11], |v[16:17]|
	s_and_saveexec_b64 s[6:7], s[0:1]
	s_cbranch_execz .LBB34_22
; %bb.21:
	v_rsq_f64_e32 v[4:5], v[8:9]
	v_cmp_eq_f64_e64 s[0:1], 0, v[8:9]
	v_mul_f64 v[12:13], v[8:9], v[4:5]
	v_mul_f64 v[4:5], v[4:5], 0.5
	v_fma_f64 v[18:19], -v[4:5], v[12:13], 0.5
	v_fma_f64 v[12:13], v[12:13], v[18:19], v[12:13]
	v_fma_f64 v[4:5], v[4:5], v[18:19], v[4:5]
	v_fma_f64 v[18:19], -v[12:13], v[12:13], v[8:9]
	v_fma_f64 v[4:5], v[18:19], v[4:5], v[12:13]
	v_cndmask_b32_e64 v5, v5, v9, s[0:1]
	v_cndmask_b32_e64 v4, v4, v8, s[0:1]
	v_mul_f64 v[12:13], v[4:5], v[4:5]
	v_add_f64 v[20:21], v[8:9], -v[12:13]
	v_fma_f64 v[18:19], v[4:5], v[4:5], -v[12:13]
	v_add_f64 v[8:9], v[8:9], -v[20:21]
	v_add_f64 v[8:9], v[8:9], -v[12:13]
	v_add_f64 v[12:13], v[4:5], v[4:5]
	v_add_f64 v[8:9], v[8:9], -v[18:19]
	v_rcp_f64_e32 v[18:19], v[12:13]
	v_add_f64 v[8:9], v[20:21], v[8:9]
	v_fma_f64 v[20:21], -v[12:13], v[18:19], 1.0
	v_fma_f64 v[18:19], v[20:21], v[18:19], v[18:19]
	v_fma_f64 v[20:21], -v[12:13], v[18:19], 1.0
	v_fma_f64 v[18:19], v[20:21], v[18:19], v[18:19]
	v_mul_f64 v[20:21], v[8:9], v[18:19]
	v_fma_f64 v[8:9], -v[12:13], v[20:21], v[8:9]
	v_fma_f64 v[8:9], v[8:9], v[18:19], v[20:21]
	v_cndmask_b32_e64 v9, v9, 0, s[0:1]
	v_cndmask_b32_e64 v8, v8, 0, s[0:1]
	v_add_f64 v[12:13], v[4:5], v[8:9]
	s_mov_b32 s0, 0x54442d18
	s_mov_b32 s1, 0x3fe921fb
	v_add_f64 v[4:5], v[12:13], -v[4:5]
	v_add_f64 v[4:5], v[8:9], -v[4:5]
	v_mul_f64 v[8:9], v[10:11], v[12:13]
	v_fma_f64 v[18:19], v[12:13], v[10:11], -v[8:9]
	v_fma_f64 v[10:11], v[4:5], v[10:11], v[18:19]
	v_add_f64 v[18:19], v[8:9], v[10:11]
	v_add_f64 v[8:9], v[18:19], -v[8:9]
	v_add_f64 v[8:9], v[10:11], -v[8:9]
	v_add_f64 v[10:11], v[12:13], v[18:19]
	v_add_f64 v[4:5], v[4:5], v[8:9]
	v_add_f64 v[12:13], v[10:11], -v[12:13]
	v_add_f64 v[12:13], v[18:19], -v[12:13]
	v_add_f64 v[4:5], v[4:5], v[12:13]
	v_add_f64 v[8:9], v[10:11], v[4:5]
	v_add_f64 v[12:13], -v[8:9], s[0:1]
	v_add_f64 v[10:11], v[8:9], -v[10:11]
	v_add_f64 v[18:19], -v[12:13], s[0:1]
	s_mov_b32 s0, 0x33145c07
	s_mov_b32 s1, 0x3c81a626
	v_add_f64 v[4:5], v[10:11], -v[4:5]
	v_add_f64 v[8:9], v[18:19], -v[8:9]
	v_add_f64 v[8:9], v[8:9], s[0:1]
	v_cmp_neq_f64_e64 s[0:1], |v[16:17]|, 1.0
	v_add_f64 v[4:5], v[4:5], v[8:9]
	v_mov_b32_e32 v8, 0x3ff921fb
	v_add_f64 v[4:5], v[12:13], v[4:5]
	v_add_f64 v[4:5], v[4:5], v[4:5]
	v_cndmask_b32_e64 v5, v8, v5, s[0:1]
	v_mov_b32_e32 v8, 0x54442d18
	v_cndmask_b32_e64 v4, v8, v4, s[0:1]
.LBB34_22:
	s_or_b64 exec, exec, s[6:7]
	s_brev_b32 s0, -2
	v_mov_b32_e32 v12, 0
	v_bfi_b32 v5, s0, v5, v17
	v_mov_b32_e32 v13, v12
	v_mov_b32_e32 v10, v12
	;; [unrolled: 1-line block ×5, first 2 shown]
.LBB34_23:
	s_or_b64 exec, exec, s[4:5]
	v_or_b32_e32 v20, 0x100, v0
	v_cmp_gt_i32_e64 s[0:1], s33, v20
	s_and_saveexec_b64 s[4:5], s[0:1]
	s_cbranch_execz .LBB34_27
; %bb.24:
	s_waitcnt vmcnt(0)
	v_fma_f64 v[16:17], |v[14:15]|, -0.5, 0.5
	v_mul_f64 v[12:13], v[14:15], v[14:15]
	v_cmp_ge_f64_e64 s[0:1], |v[14:15]|, 0.5
	s_mov_b32 s6, 0x9fea6a70
	v_mov_b32_e32 v18, 0x78a05eaf
	v_mov_b32_e32 v19, 0xbf90a5a3
	s_mov_b32 s7, 0x3fa05985
	v_cndmask_b32_e64 v13, v13, v17, s[0:1]
	v_cndmask_b32_e64 v12, v12, v16, s[0:1]
	v_fma_f64 v[18:19], v[12:13], s[6:7], v[18:19]
	s_mov_b32 s6, 0x37024d6a
	s_mov_b32 s7, 0x3f940521
	v_fma_f64 v[18:19], v[12:13], v[18:19], s[6:7]
	s_mov_b32 s6, 0x98a70509
	s_mov_b32 s7, 0x3f7ab3a0
	;; [unrolled: 3-line block ×10, first 2 shown]
	v_fma_f64 v[18:19], v[12:13], v[18:19], s[6:7]
	v_mul_f64 v[18:19], v[12:13], v[18:19]
	v_fma_f64 v[12:13], |v[14:15]|, v[18:19], |v[14:15]|
	s_and_saveexec_b64 s[6:7], s[0:1]
	s_cbranch_execz .LBB34_26
; %bb.25:
	v_rsq_f64_e32 v[12:13], v[16:17]
	v_cmp_eq_f64_e64 s[0:1], 0, v[16:17]
	v_mul_f64 v[21:22], v[16:17], v[12:13]
	v_mul_f64 v[12:13], v[12:13], 0.5
	v_fma_f64 v[23:24], -v[12:13], v[21:22], 0.5
	v_fma_f64 v[21:22], v[21:22], v[23:24], v[21:22]
	v_fma_f64 v[12:13], v[12:13], v[23:24], v[12:13]
	v_fma_f64 v[23:24], -v[21:22], v[21:22], v[16:17]
	v_fma_f64 v[12:13], v[23:24], v[12:13], v[21:22]
	v_cndmask_b32_e64 v13, v13, v17, s[0:1]
	v_cndmask_b32_e64 v12, v12, v16, s[0:1]
	v_mul_f64 v[21:22], v[12:13], v[12:13]
	v_add_f64 v[25:26], v[16:17], -v[21:22]
	v_fma_f64 v[23:24], v[12:13], v[12:13], -v[21:22]
	v_add_f64 v[16:17], v[16:17], -v[25:26]
	v_add_f64 v[16:17], v[16:17], -v[21:22]
	v_add_f64 v[21:22], v[12:13], v[12:13]
	v_add_f64 v[16:17], v[16:17], -v[23:24]
	v_rcp_f64_e32 v[23:24], v[21:22]
	v_add_f64 v[16:17], v[25:26], v[16:17]
	v_fma_f64 v[25:26], -v[21:22], v[23:24], 1.0
	v_fma_f64 v[23:24], v[25:26], v[23:24], v[23:24]
	v_fma_f64 v[25:26], -v[21:22], v[23:24], 1.0
	v_fma_f64 v[23:24], v[25:26], v[23:24], v[23:24]
	v_mul_f64 v[25:26], v[16:17], v[23:24]
	v_fma_f64 v[16:17], -v[21:22], v[25:26], v[16:17]
	v_fma_f64 v[16:17], v[16:17], v[23:24], v[25:26]
	v_cndmask_b32_e64 v17, v17, 0, s[0:1]
	v_cndmask_b32_e64 v16, v16, 0, s[0:1]
	v_add_f64 v[21:22], v[12:13], v[16:17]
	s_mov_b32 s0, 0x54442d18
	s_mov_b32 s1, 0x3fe921fb
	v_add_f64 v[12:13], v[21:22], -v[12:13]
	v_add_f64 v[12:13], v[16:17], -v[12:13]
	v_mul_f64 v[16:17], v[18:19], v[21:22]
	v_fma_f64 v[23:24], v[21:22], v[18:19], -v[16:17]
	v_fma_f64 v[18:19], v[12:13], v[18:19], v[23:24]
	v_add_f64 v[23:24], v[16:17], v[18:19]
	v_add_f64 v[16:17], v[23:24], -v[16:17]
	v_add_f64 v[16:17], v[18:19], -v[16:17]
	v_add_f64 v[18:19], v[21:22], v[23:24]
	v_add_f64 v[12:13], v[12:13], v[16:17]
	v_add_f64 v[21:22], v[18:19], -v[21:22]
	v_add_f64 v[21:22], v[23:24], -v[21:22]
	v_add_f64 v[12:13], v[12:13], v[21:22]
	v_add_f64 v[16:17], v[18:19], v[12:13]
	v_add_f64 v[21:22], -v[16:17], s[0:1]
	v_add_f64 v[18:19], v[16:17], -v[18:19]
	v_add_f64 v[23:24], -v[21:22], s[0:1]
	s_mov_b32 s0, 0x33145c07
	s_mov_b32 s1, 0x3c81a626
	v_add_f64 v[12:13], v[18:19], -v[12:13]
	v_add_f64 v[16:17], v[23:24], -v[16:17]
	v_add_f64 v[16:17], v[16:17], s[0:1]
	v_cmp_neq_f64_e64 s[0:1], |v[14:15]|, 1.0
	v_mov_b32_e32 v14, 0x3ff921fb
	v_add_f64 v[12:13], v[12:13], v[16:17]
	v_add_f64 v[12:13], v[21:22], v[12:13]
	;; [unrolled: 1-line block ×3, first 2 shown]
	v_cndmask_b32_e64 v13, v14, v13, s[0:1]
	v_mov_b32_e32 v14, 0x54442d18
	v_cndmask_b32_e64 v12, v14, v12, s[0:1]
.LBB34_26:
	s_or_b64 exec, exec, s[6:7]
	s_brev_b32 s0, -2
	v_bfi_b32 v13, s0, v13, v15
.LBB34_27:
	s_or_b64 exec, exec, s[4:5]
	s_waitcnt vmcnt(0)
	v_or_b32_e32 v14, 0x200, v0
	v_cmp_gt_i32_e64 s[0:1], s33, v14
	s_and_saveexec_b64 s[4:5], s[0:1]
	s_cbranch_execz .LBB34_31
; %bb.28:
	v_fma_f64 v[14:15], |v[6:7]|, -0.5, 0.5
	v_mul_f64 v[10:11], v[6:7], v[6:7]
	v_cmp_ge_f64_e64 s[0:1], |v[6:7]|, 0.5
	s_mov_b32 s6, 0x9fea6a70
	v_mov_b32_e32 v16, 0x78a05eaf
	v_mov_b32_e32 v17, 0xbf90a5a3
	s_mov_b32 s7, 0x3fa05985
	v_cndmask_b32_e64 v11, v11, v15, s[0:1]
	v_cndmask_b32_e64 v10, v10, v14, s[0:1]
	v_fma_f64 v[16:17], v[10:11], s[6:7], v[16:17]
	s_mov_b32 s6, 0x37024d6a
	s_mov_b32 s7, 0x3f940521
	v_fma_f64 v[16:17], v[10:11], v[16:17], s[6:7]
	s_mov_b32 s6, 0x98a70509
	s_mov_b32 s7, 0x3f7ab3a0
	;; [unrolled: 3-line block ×10, first 2 shown]
	v_fma_f64 v[16:17], v[10:11], v[16:17], s[6:7]
	v_mul_f64 v[16:17], v[10:11], v[16:17]
	v_fma_f64 v[10:11], |v[6:7]|, v[16:17], |v[6:7]|
	s_and_saveexec_b64 s[6:7], s[0:1]
	s_cbranch_execz .LBB34_30
; %bb.29:
	v_rsq_f64_e32 v[10:11], v[14:15]
	v_cmp_eq_f64_e64 s[0:1], 0, v[14:15]
	v_mul_f64 v[18:19], v[14:15], v[10:11]
	v_mul_f64 v[10:11], v[10:11], 0.5
	v_fma_f64 v[21:22], -v[10:11], v[18:19], 0.5
	v_fma_f64 v[18:19], v[18:19], v[21:22], v[18:19]
	v_fma_f64 v[10:11], v[10:11], v[21:22], v[10:11]
	v_fma_f64 v[21:22], -v[18:19], v[18:19], v[14:15]
	v_fma_f64 v[10:11], v[21:22], v[10:11], v[18:19]
	v_cndmask_b32_e64 v11, v11, v15, s[0:1]
	v_cndmask_b32_e64 v10, v10, v14, s[0:1]
	v_mul_f64 v[18:19], v[10:11], v[10:11]
	v_add_f64 v[23:24], v[14:15], -v[18:19]
	v_fma_f64 v[21:22], v[10:11], v[10:11], -v[18:19]
	v_add_f64 v[14:15], v[14:15], -v[23:24]
	v_add_f64 v[14:15], v[14:15], -v[18:19]
	v_add_f64 v[18:19], v[10:11], v[10:11]
	v_add_f64 v[14:15], v[14:15], -v[21:22]
	v_rcp_f64_e32 v[21:22], v[18:19]
	v_add_f64 v[14:15], v[23:24], v[14:15]
	v_fma_f64 v[23:24], -v[18:19], v[21:22], 1.0
	v_fma_f64 v[21:22], v[23:24], v[21:22], v[21:22]
	v_fma_f64 v[23:24], -v[18:19], v[21:22], 1.0
	v_fma_f64 v[21:22], v[23:24], v[21:22], v[21:22]
	v_mul_f64 v[23:24], v[14:15], v[21:22]
	v_fma_f64 v[14:15], -v[18:19], v[23:24], v[14:15]
	v_fma_f64 v[14:15], v[14:15], v[21:22], v[23:24]
	v_cndmask_b32_e64 v15, v15, 0, s[0:1]
	v_cndmask_b32_e64 v14, v14, 0, s[0:1]
	v_add_f64 v[18:19], v[10:11], v[14:15]
	s_mov_b32 s0, 0x54442d18
	s_mov_b32 s1, 0x3fe921fb
	v_add_f64 v[10:11], v[18:19], -v[10:11]
	v_add_f64 v[10:11], v[14:15], -v[10:11]
	v_mul_f64 v[14:15], v[16:17], v[18:19]
	v_fma_f64 v[21:22], v[18:19], v[16:17], -v[14:15]
	v_fma_f64 v[16:17], v[10:11], v[16:17], v[21:22]
	v_add_f64 v[21:22], v[14:15], v[16:17]
	v_add_f64 v[14:15], v[21:22], -v[14:15]
	v_add_f64 v[14:15], v[16:17], -v[14:15]
	v_add_f64 v[16:17], v[18:19], v[21:22]
	v_add_f64 v[10:11], v[10:11], v[14:15]
	v_add_f64 v[18:19], v[16:17], -v[18:19]
	v_add_f64 v[18:19], v[21:22], -v[18:19]
	v_add_f64 v[10:11], v[10:11], v[18:19]
	v_add_f64 v[14:15], v[16:17], v[10:11]
	v_add_f64 v[18:19], -v[14:15], s[0:1]
	v_add_f64 v[16:17], v[14:15], -v[16:17]
	v_add_f64 v[21:22], -v[18:19], s[0:1]
	s_mov_b32 s0, 0x33145c07
	s_mov_b32 s1, 0x3c81a626
	v_add_f64 v[10:11], v[16:17], -v[10:11]
	v_add_f64 v[14:15], v[21:22], -v[14:15]
	v_add_f64 v[14:15], v[14:15], s[0:1]
	v_cmp_neq_f64_e64 s[0:1], |v[6:7]|, 1.0
	v_mov_b32_e32 v6, 0x3ff921fb
	v_add_f64 v[10:11], v[10:11], v[14:15]
	v_add_f64 v[10:11], v[18:19], v[10:11]
	;; [unrolled: 1-line block ×3, first 2 shown]
	v_cndmask_b32_e64 v11, v6, v11, s[0:1]
	v_mov_b32_e32 v6, 0x54442d18
	v_cndmask_b32_e64 v10, v6, v10, s[0:1]
.LBB34_30:
	s_or_b64 exec, exec, s[6:7]
	s_brev_b32 s0, -2
	v_bfi_b32 v11, s0, v11, v7
.LBB34_31:
	s_or_b64 exec, exec, s[4:5]
	v_or_b32_e32 v6, 0x300, v0
	v_cmp_gt_i32_e64 s[0:1], s33, v6
	s_and_saveexec_b64 s[4:5], s[0:1]
	s_cbranch_execnz .LBB34_38
; %bb.32:
	s_or_b64 exec, exec, s[4:5]
	s_and_saveexec_b64 s[0:1], vcc
	s_xor_b64 s[0:1], exec, s[0:1]
	s_cbranch_execnz .LBB34_41
.LBB34_33:
	s_or_b64 exec, exec, s[0:1]
	v_cmp_gt_i32_e32 vcc, s33, v0
	s_and_saveexec_b64 s[0:1], vcc
	s_cbranch_execnz .LBB34_42
.LBB34_34:
	s_or_b64 exec, exec, s[0:1]
	v_cmp_gt_i32_e32 vcc, s33, v0
	s_and_saveexec_b64 s[0:1], vcc
	s_cbranch_execnz .LBB34_43
.LBB34_35:
	s_or_b64 exec, exec, s[0:1]
	v_cmp_gt_i32_e32 vcc, s33, v0
	s_and_saveexec_b64 s[0:1], vcc
	s_cbranch_execz .LBB34_37
.LBB34_36:
	v_add_u32_e32 v0, s2, v0
	v_mov_b32_e32 v1, 0
	v_lshlrev_b64 v[0:1], 3, v[0:1]
	v_mov_b32_e32 v2, s9
	v_add_co_u32_e32 v0, vcc, s8, v0
	v_addc_co_u32_e32 v1, vcc, v2, v1, vcc
	global_store_dwordx2 v[0:1], v[8:9], off
.LBB34_37:
	s_endpgm
.LBB34_38:
	v_fma_f64 v[6:7], |v[2:3]|, -0.5, 0.5
	v_mul_f64 v[8:9], v[2:3], v[2:3]
	v_cmp_ge_f64_e64 s[0:1], |v[2:3]|, 0.5
	s_mov_b32 s6, 0x9fea6a70
	v_mov_b32_e32 v14, 0x78a05eaf
	v_mov_b32_e32 v15, 0xbf90a5a3
	s_mov_b32 s7, 0x3fa05985
	v_cndmask_b32_e64 v9, v9, v7, s[0:1]
	v_cndmask_b32_e64 v8, v8, v6, s[0:1]
	v_fma_f64 v[14:15], v[8:9], s[6:7], v[14:15]
	s_mov_b32 s6, 0x37024d6a
	s_mov_b32 s7, 0x3f940521
	v_fma_f64 v[14:15], v[8:9], v[14:15], s[6:7]
	s_mov_b32 s6, 0x98a70509
	s_mov_b32 s7, 0x3f7ab3a0
	;; [unrolled: 3-line block ×10, first 2 shown]
	v_fma_f64 v[14:15], v[8:9], v[14:15], s[6:7]
	v_mul_f64 v[14:15], v[8:9], v[14:15]
	v_fma_f64 v[8:9], |v[2:3]|, v[14:15], |v[2:3]|
	s_and_saveexec_b64 s[6:7], s[0:1]
	s_cbranch_execz .LBB34_40
; %bb.39:
	v_rsq_f64_e32 v[8:9], v[6:7]
	v_cmp_eq_f64_e64 s[0:1], 0, v[6:7]
	v_mul_f64 v[16:17], v[6:7], v[8:9]
	v_mul_f64 v[8:9], v[8:9], 0.5
	v_fma_f64 v[18:19], -v[8:9], v[16:17], 0.5
	v_fma_f64 v[16:17], v[16:17], v[18:19], v[16:17]
	v_fma_f64 v[8:9], v[8:9], v[18:19], v[8:9]
	v_fma_f64 v[18:19], -v[16:17], v[16:17], v[6:7]
	v_fma_f64 v[8:9], v[18:19], v[8:9], v[16:17]
	v_cndmask_b32_e64 v9, v9, v7, s[0:1]
	v_cndmask_b32_e64 v8, v8, v6, s[0:1]
	v_add_f64 v[16:17], v[8:9], v[8:9]
	v_mul_f64 v[18:19], v[8:9], v[8:9]
	v_rcp_f64_e32 v[21:22], v[16:17]
	v_add_f64 v[23:24], v[6:7], -v[18:19]
	v_fma_f64 v[27:28], v[8:9], v[8:9], -v[18:19]
	v_add_f64 v[6:7], v[6:7], -v[23:24]
	v_fma_f64 v[25:26], -v[16:17], v[21:22], 1.0
	v_add_f64 v[6:7], v[6:7], -v[18:19]
	v_fma_f64 v[18:19], v[25:26], v[21:22], v[21:22]
	v_add_f64 v[6:7], v[6:7], -v[27:28]
	v_fma_f64 v[21:22], -v[16:17], v[18:19], 1.0
	v_add_f64 v[6:7], v[23:24], v[6:7]
	v_fma_f64 v[18:19], v[21:22], v[18:19], v[18:19]
	v_mul_f64 v[21:22], v[6:7], v[18:19]
	v_fma_f64 v[6:7], -v[16:17], v[21:22], v[6:7]
	v_fma_f64 v[6:7], v[6:7], v[18:19], v[21:22]
	v_cndmask_b32_e64 v7, v7, 0, s[0:1]
	v_cndmask_b32_e64 v6, v6, 0, s[0:1]
	v_add_f64 v[16:17], v[8:9], v[6:7]
	s_mov_b32 s0, 0x54442d18
	s_mov_b32 s1, 0x3fe921fb
	v_add_f64 v[8:9], v[16:17], -v[8:9]
	v_mul_f64 v[18:19], v[14:15], v[16:17]
	v_add_f64 v[6:7], v[6:7], -v[8:9]
	v_fma_f64 v[8:9], v[16:17], v[14:15], -v[18:19]
	v_fma_f64 v[8:9], v[6:7], v[14:15], v[8:9]
	v_add_f64 v[14:15], v[18:19], v[8:9]
	v_add_f64 v[21:22], v[16:17], v[14:15]
	v_add_f64 v[18:19], v[14:15], -v[18:19]
	v_add_f64 v[16:17], v[21:22], -v[16:17]
	;; [unrolled: 1-line block ×4, first 2 shown]
	v_add_f64 v[6:7], v[6:7], v[8:9]
	v_add_f64 v[6:7], v[6:7], v[14:15]
	;; [unrolled: 1-line block ×3, first 2 shown]
	v_add_f64 v[14:15], -v[8:9], s[0:1]
	v_add_f64 v[18:19], v[8:9], -v[21:22]
	v_add_f64 v[16:17], -v[14:15], s[0:1]
	s_mov_b32 s0, 0x33145c07
	s_mov_b32 s1, 0x3c81a626
	v_add_f64 v[6:7], v[18:19], -v[6:7]
	v_add_f64 v[8:9], v[16:17], -v[8:9]
	v_add_f64 v[8:9], v[8:9], s[0:1]
	v_cmp_neq_f64_e64 s[0:1], |v[2:3]|, 1.0
	v_mov_b32_e32 v2, 0x54442d18
	v_add_f64 v[6:7], v[6:7], v[8:9]
	v_mov_b32_e32 v8, 0x3ff921fb
	v_add_f64 v[6:7], v[14:15], v[6:7]
	v_add_f64 v[6:7], v[6:7], v[6:7]
	v_cndmask_b32_e64 v9, v8, v7, s[0:1]
	v_cndmask_b32_e64 v8, v2, v6, s[0:1]
.LBB34_40:
	s_or_b64 exec, exec, s[6:7]
	s_brev_b32 s0, -2
	v_bfi_b32 v9, s0, v9, v3
	s_or_b64 exec, exec, s[4:5]
	s_and_saveexec_b64 s[0:1], vcc
	s_xor_b64 s[0:1], exec, s[0:1]
	s_cbranch_execz .LBB34_33
.LBB34_41:
	v_mov_b32_e32 v2, 0
	v_lshlrev_b64 v[0:1], 3, v[1:2]
	v_mov_b32_e32 v2, s9
	v_add_co_u32_e32 v0, vcc, s8, v0
	v_addc_co_u32_e32 v1, vcc, v2, v1, vcc
	global_store_dwordx2 v[0:1], v[4:5], off
	v_mov_b32_e32 v0, v20
	s_or_b64 exec, exec, s[0:1]
	v_cmp_gt_i32_e32 vcc, s33, v0
	s_and_saveexec_b64 s[0:1], vcc
	s_cbranch_execz .LBB34_34
.LBB34_42:
	v_add_u32_e32 v1, s2, v0
	v_mov_b32_e32 v2, 0
	v_lshlrev_b64 v[1:2], 3, v[1:2]
	v_mov_b32_e32 v3, s9
	v_add_co_u32_e32 v1, vcc, s8, v1
	v_addc_co_u32_e32 v2, vcc, v3, v2, vcc
	v_add_u32_e32 v0, 0x100, v0
	global_store_dwordx2 v[1:2], v[12:13], off
	s_or_b64 exec, exec, s[0:1]
	v_cmp_gt_i32_e32 vcc, s33, v0
	s_and_saveexec_b64 s[0:1], vcc
	s_cbranch_execz .LBB34_35
.LBB34_43:
	v_add_u32_e32 v1, s2, v0
	v_mov_b32_e32 v2, 0
	v_lshlrev_b64 v[1:2], 3, v[1:2]
	v_mov_b32_e32 v3, s9
	v_add_co_u32_e32 v1, vcc, s8, v1
	v_addc_co_u32_e32 v2, vcc, v3, v2, vcc
	v_add_u32_e32 v0, 0x100, v0
	global_store_dwordx2 v[1:2], v[10:11], off
	s_or_b64 exec, exec, s[0:1]
	v_cmp_gt_i32_e32 vcc, s33, v0
	s_and_saveexec_b64 s[0:1], vcc
	s_cbranch_execnz .LBB34_36
	s_branch .LBB34_37
	.section	.rodata,"a",@progbits
	.p2align	6, 0x0
	.amdhsa_kernel _ZN2at6native29vectorized_elementwise_kernelILi8EZZZNS0_16asin_kernel_cudaERNS_18TensorIteratorBaseEENKUlvE0_clEvENKUlvE_clEvEUldE_St5arrayIPcLm2EEEEviT0_T1_
		.amdhsa_group_segment_fixed_size 0
		.amdhsa_private_segment_fixed_size 0
		.amdhsa_kernarg_size 24
		.amdhsa_user_sgpr_count 6
		.amdhsa_user_sgpr_private_segment_buffer 1
		.amdhsa_user_sgpr_dispatch_ptr 0
		.amdhsa_user_sgpr_queue_ptr 0
		.amdhsa_user_sgpr_kernarg_segment_ptr 1
		.amdhsa_user_sgpr_dispatch_id 0
		.amdhsa_user_sgpr_flat_scratch_init 0
		.amdhsa_user_sgpr_private_segment_size 0
		.amdhsa_uses_dynamic_stack 0
		.amdhsa_system_sgpr_private_segment_wavefront_offset 0
		.amdhsa_system_sgpr_workgroup_id_x 1
		.amdhsa_system_sgpr_workgroup_id_y 0
		.amdhsa_system_sgpr_workgroup_id_z 0
		.amdhsa_system_sgpr_workgroup_info 0
		.amdhsa_system_vgpr_workitem_id 0
		.amdhsa_next_free_vgpr 30
		.amdhsa_next_free_sgpr 36
		.amdhsa_reserve_vcc 1
		.amdhsa_reserve_flat_scratch 0
		.amdhsa_float_round_mode_32 0
		.amdhsa_float_round_mode_16_64 0
		.amdhsa_float_denorm_mode_32 3
		.amdhsa_float_denorm_mode_16_64 3
		.amdhsa_dx10_clamp 1
		.amdhsa_ieee_mode 1
		.amdhsa_fp16_overflow 0
		.amdhsa_exception_fp_ieee_invalid_op 0
		.amdhsa_exception_fp_denorm_src 0
		.amdhsa_exception_fp_ieee_div_zero 0
		.amdhsa_exception_fp_ieee_overflow 0
		.amdhsa_exception_fp_ieee_underflow 0
		.amdhsa_exception_fp_ieee_inexact 0
		.amdhsa_exception_int_div_zero 0
	.end_amdhsa_kernel
	.section	.text._ZN2at6native29vectorized_elementwise_kernelILi8EZZZNS0_16asin_kernel_cudaERNS_18TensorIteratorBaseEENKUlvE0_clEvENKUlvE_clEvEUldE_St5arrayIPcLm2EEEEviT0_T1_,"axG",@progbits,_ZN2at6native29vectorized_elementwise_kernelILi8EZZZNS0_16asin_kernel_cudaERNS_18TensorIteratorBaseEENKUlvE0_clEvENKUlvE_clEvEUldE_St5arrayIPcLm2EEEEviT0_T1_,comdat
.Lfunc_end34:
	.size	_ZN2at6native29vectorized_elementwise_kernelILi8EZZZNS0_16asin_kernel_cudaERNS_18TensorIteratorBaseEENKUlvE0_clEvENKUlvE_clEvEUldE_St5arrayIPcLm2EEEEviT0_T1_, .Lfunc_end34-_ZN2at6native29vectorized_elementwise_kernelILi8EZZZNS0_16asin_kernel_cudaERNS_18TensorIteratorBaseEENKUlvE0_clEvENKUlvE_clEvEUldE_St5arrayIPcLm2EEEEviT0_T1_
                                        ; -- End function
	.set _ZN2at6native29vectorized_elementwise_kernelILi8EZZZNS0_16asin_kernel_cudaERNS_18TensorIteratorBaseEENKUlvE0_clEvENKUlvE_clEvEUldE_St5arrayIPcLm2EEEEviT0_T1_.num_vgpr, 30
	.set _ZN2at6native29vectorized_elementwise_kernelILi8EZZZNS0_16asin_kernel_cudaERNS_18TensorIteratorBaseEENKUlvE0_clEvENKUlvE_clEvEUldE_St5arrayIPcLm2EEEEviT0_T1_.num_agpr, 0
	.set _ZN2at6native29vectorized_elementwise_kernelILi8EZZZNS0_16asin_kernel_cudaERNS_18TensorIteratorBaseEENKUlvE0_clEvENKUlvE_clEvEUldE_St5arrayIPcLm2EEEEviT0_T1_.numbered_sgpr, 36
	.set _ZN2at6native29vectorized_elementwise_kernelILi8EZZZNS0_16asin_kernel_cudaERNS_18TensorIteratorBaseEENKUlvE0_clEvENKUlvE_clEvEUldE_St5arrayIPcLm2EEEEviT0_T1_.num_named_barrier, 0
	.set _ZN2at6native29vectorized_elementwise_kernelILi8EZZZNS0_16asin_kernel_cudaERNS_18TensorIteratorBaseEENKUlvE0_clEvENKUlvE_clEvEUldE_St5arrayIPcLm2EEEEviT0_T1_.private_seg_size, 0
	.set _ZN2at6native29vectorized_elementwise_kernelILi8EZZZNS0_16asin_kernel_cudaERNS_18TensorIteratorBaseEENKUlvE0_clEvENKUlvE_clEvEUldE_St5arrayIPcLm2EEEEviT0_T1_.uses_vcc, 1
	.set _ZN2at6native29vectorized_elementwise_kernelILi8EZZZNS0_16asin_kernel_cudaERNS_18TensorIteratorBaseEENKUlvE0_clEvENKUlvE_clEvEUldE_St5arrayIPcLm2EEEEviT0_T1_.uses_flat_scratch, 0
	.set _ZN2at6native29vectorized_elementwise_kernelILi8EZZZNS0_16asin_kernel_cudaERNS_18TensorIteratorBaseEENKUlvE0_clEvENKUlvE_clEvEUldE_St5arrayIPcLm2EEEEviT0_T1_.has_dyn_sized_stack, 0
	.set _ZN2at6native29vectorized_elementwise_kernelILi8EZZZNS0_16asin_kernel_cudaERNS_18TensorIteratorBaseEENKUlvE0_clEvENKUlvE_clEvEUldE_St5arrayIPcLm2EEEEviT0_T1_.has_recursion, 0
	.set _ZN2at6native29vectorized_elementwise_kernelILi8EZZZNS0_16asin_kernel_cudaERNS_18TensorIteratorBaseEENKUlvE0_clEvENKUlvE_clEvEUldE_St5arrayIPcLm2EEEEviT0_T1_.has_indirect_call, 0
	.section	.AMDGPU.csdata,"",@progbits
; Kernel info:
; codeLenInByte = 7020
; TotalNumSgprs: 40
; NumVgprs: 30
; ScratchSize: 0
; MemoryBound: 0
; FloatMode: 240
; IeeeMode: 1
; LDSByteSize: 0 bytes/workgroup (compile time only)
; SGPRBlocks: 4
; VGPRBlocks: 7
; NumSGPRsForWavesPerEU: 40
; NumVGPRsForWavesPerEU: 30
; Occupancy: 8
; WaveLimiterHint : 0
; COMPUTE_PGM_RSRC2:SCRATCH_EN: 0
; COMPUTE_PGM_RSRC2:USER_SGPR: 6
; COMPUTE_PGM_RSRC2:TRAP_HANDLER: 0
; COMPUTE_PGM_RSRC2:TGID_X_EN: 1
; COMPUTE_PGM_RSRC2:TGID_Y_EN: 0
; COMPUTE_PGM_RSRC2:TGID_Z_EN: 0
; COMPUTE_PGM_RSRC2:TIDIG_COMP_CNT: 0
	.section	.text._ZN2at6native29vectorized_elementwise_kernelILi4EZZZNS0_16asin_kernel_cudaERNS_18TensorIteratorBaseEENKUlvE0_clEvENKUlvE_clEvEUldE_St5arrayIPcLm2EEEEviT0_T1_,"axG",@progbits,_ZN2at6native29vectorized_elementwise_kernelILi4EZZZNS0_16asin_kernel_cudaERNS_18TensorIteratorBaseEENKUlvE0_clEvENKUlvE_clEvEUldE_St5arrayIPcLm2EEEEviT0_T1_,comdat
	.globl	_ZN2at6native29vectorized_elementwise_kernelILi4EZZZNS0_16asin_kernel_cudaERNS_18TensorIteratorBaseEENKUlvE0_clEvENKUlvE_clEvEUldE_St5arrayIPcLm2EEEEviT0_T1_ ; -- Begin function _ZN2at6native29vectorized_elementwise_kernelILi4EZZZNS0_16asin_kernel_cudaERNS_18TensorIteratorBaseEENKUlvE0_clEvENKUlvE_clEvEUldE_St5arrayIPcLm2EEEEviT0_T1_
	.p2align	8
	.type	_ZN2at6native29vectorized_elementwise_kernelILi4EZZZNS0_16asin_kernel_cudaERNS_18TensorIteratorBaseEENKUlvE0_clEvENKUlvE_clEvEUldE_St5arrayIPcLm2EEEEviT0_T1_,@function
_ZN2at6native29vectorized_elementwise_kernelILi4EZZZNS0_16asin_kernel_cudaERNS_18TensorIteratorBaseEENKUlvE0_clEvENKUlvE_clEvEUldE_St5arrayIPcLm2EEEEviT0_T1_: ; @_ZN2at6native29vectorized_elementwise_kernelILi4EZZZNS0_16asin_kernel_cudaERNS_18TensorIteratorBaseEENKUlvE0_clEvENKUlvE_clEvEUldE_St5arrayIPcLm2EEEEviT0_T1_
; %bb.0:
	s_load_dword s0, s[4:5], 0x0
	s_load_dwordx4 s[8:11], s[4:5], 0x8
	s_lshl_b32 s2, s6, 10
	s_waitcnt lgkmcnt(0)
	s_sub_i32 s33, s0, s2
	s_cmpk_gt_i32 s33, 0x3ff
	s_mov_b64 s[0:1], -1
	s_cbranch_scc0 .LBB35_10
; %bb.1:
	s_ashr_i32 s3, s2, 31
	s_lshl_b64 s[0:1], s[2:3], 3
	s_add_u32 s14, s10, s0
	s_addc_u32 s15, s11, s1
	v_lshlrev_b32_e32 v21, 5, v0
	global_load_dwordx4 v[1:4], v21, s[14:15]
	s_mov_b32 s4, 0x9fea6a70
	v_mov_b32_e32 v11, 0x78a05eaf
	v_mov_b32_e32 v12, 0xbf90a5a3
	s_mov_b32 s5, 0x3fa05985
	s_mov_b32 s6, 0x37024d6a
	;; [unrolled: 1-line block ×19, first 2 shown]
	s_waitcnt vmcnt(0)
	v_fma_f64 v[13:14], |v[1:2]|, -0.5, 0.5
	v_mul_f64 v[5:6], v[1:2], v[1:2]
	v_cmp_ge_f64_e64 vcc, |v[1:2]|, 0.5
	v_cndmask_b32_e32 v10, v6, v14, vcc
	v_cndmask_b32_e32 v9, v5, v13, vcc
	v_fma_f64 v[5:6], v[9:10], s[4:5], v[11:12]
	v_fma_f64 v[5:6], v[9:10], v[5:6], s[6:7]
	;; [unrolled: 1-line block ×3, first 2 shown]
	global_load_dwordx4 v[5:8], v21, s[14:15] offset:16
	s_mov_b32 s14, 0xa300c8d2
	s_mov_b32 s15, 0x3f88ed60
	v_fma_f64 v[15:16], v[9:10], v[15:16], s[14:15]
	v_fma_f64 v[15:16], v[9:10], v[15:16], s[16:17]
	v_fma_f64 v[15:16], v[9:10], v[15:16], s[18:19]
	v_fma_f64 v[15:16], v[9:10], v[15:16], s[20:21]
	v_fma_f64 v[15:16], v[9:10], v[15:16], s[22:23]
	v_fma_f64 v[15:16], v[9:10], v[15:16], s[24:25]
	v_fma_f64 v[15:16], v[9:10], v[15:16], s[26:27]
	v_fma_f64 v[15:16], v[9:10], v[15:16], s[28:29]
	v_mul_f64 v[15:16], v[9:10], v[15:16]
	v_fma_f64 v[9:10], |v[1:2]|, v[15:16], |v[1:2]|
	s_and_saveexec_b64 s[30:31], vcc
	s_cbranch_execz .LBB35_3
; %bb.2:
	v_rsq_f64_e32 v[9:10], v[13:14]
	v_cmp_eq_f64_e32 vcc, 0, v[13:14]
	s_mov_b32 s34, 0x54442d18
	s_mov_b32 s35, 0x3fe921fb
	v_mul_f64 v[17:18], v[13:14], v[9:10]
	v_mul_f64 v[9:10], v[9:10], 0.5
	v_fma_f64 v[19:20], -v[9:10], v[17:18], 0.5
	v_fma_f64 v[17:18], v[17:18], v[19:20], v[17:18]
	v_fma_f64 v[9:10], v[9:10], v[19:20], v[9:10]
	v_fma_f64 v[19:20], -v[17:18], v[17:18], v[13:14]
	v_fma_f64 v[9:10], v[19:20], v[9:10], v[17:18]
	v_cndmask_b32_e32 v10, v10, v14, vcc
	v_cndmask_b32_e32 v9, v9, v13, vcc
	v_add_f64 v[17:18], v[9:10], v[9:10]
	v_mul_f64 v[19:20], v[9:10], v[9:10]
	v_rcp_f64_e32 v[22:23], v[17:18]
	v_add_f64 v[24:25], v[13:14], -v[19:20]
	v_fma_f64 v[28:29], v[9:10], v[9:10], -v[19:20]
	v_add_f64 v[13:14], v[13:14], -v[24:25]
	v_fma_f64 v[26:27], -v[17:18], v[22:23], 1.0
	v_add_f64 v[13:14], v[13:14], -v[19:20]
	v_fma_f64 v[19:20], v[26:27], v[22:23], v[22:23]
	v_add_f64 v[13:14], v[13:14], -v[28:29]
	v_fma_f64 v[22:23], -v[17:18], v[19:20], 1.0
	v_add_f64 v[13:14], v[24:25], v[13:14]
	v_fma_f64 v[19:20], v[22:23], v[19:20], v[19:20]
	v_mul_f64 v[22:23], v[13:14], v[19:20]
	v_fma_f64 v[13:14], -v[17:18], v[22:23], v[13:14]
	v_fma_f64 v[13:14], v[13:14], v[19:20], v[22:23]
	v_cndmask_b32_e64 v14, v14, 0, vcc
	v_cndmask_b32_e64 v13, v13, 0, vcc
	v_add_f64 v[17:18], v[9:10], v[13:14]
	v_cmp_neq_f64_e64 vcc, |v[1:2]|, 1.0
	v_mov_b32_e32 v1, 0x54442d18
	v_add_f64 v[9:10], v[17:18], -v[9:10]
	v_mul_f64 v[19:20], v[15:16], v[17:18]
	v_add_f64 v[9:10], v[13:14], -v[9:10]
	v_fma_f64 v[13:14], v[17:18], v[15:16], -v[19:20]
	v_fma_f64 v[13:14], v[9:10], v[15:16], v[13:14]
	v_add_f64 v[15:16], v[19:20], v[13:14]
	v_add_f64 v[22:23], v[17:18], v[15:16]
	v_add_f64 v[19:20], v[15:16], -v[19:20]
	v_add_f64 v[17:18], v[22:23], -v[17:18]
	;; [unrolled: 1-line block ×4, first 2 shown]
	v_add_f64 v[9:10], v[9:10], v[13:14]
	v_add_f64 v[9:10], v[9:10], v[15:16]
	;; [unrolled: 1-line block ×3, first 2 shown]
	v_add_f64 v[15:16], -v[13:14], s[34:35]
	v_add_f64 v[19:20], v[13:14], -v[22:23]
	v_add_f64 v[17:18], -v[15:16], s[34:35]
	s_mov_b32 s34, 0x33145c07
	s_mov_b32 s35, 0x3c81a626
	v_add_f64 v[9:10], v[19:20], -v[9:10]
	v_add_f64 v[13:14], v[17:18], -v[13:14]
	v_add_f64 v[13:14], v[13:14], s[34:35]
	v_add_f64 v[9:10], v[9:10], v[13:14]
	v_mov_b32_e32 v13, 0x3ff921fb
	v_add_f64 v[9:10], v[15:16], v[9:10]
	v_add_f64 v[9:10], v[9:10], v[9:10]
	v_cndmask_b32_e32 v10, v13, v10, vcc
	v_cndmask_b32_e32 v9, v1, v9, vcc
.LBB35_3:
	s_or_b64 exec, exec, s[30:31]
	v_fma_f64 v[15:16], |v[3:4]|, -0.5, 0.5
	v_mul_f64 v[13:14], v[3:4], v[3:4]
	v_cmp_ge_f64_e64 vcc, |v[3:4]|, 0.5
	v_cndmask_b32_e32 v14, v14, v16, vcc
	v_cndmask_b32_e32 v13, v13, v15, vcc
	v_fma_f64 v[11:12], v[13:14], s[4:5], v[11:12]
	v_fma_f64 v[11:12], v[13:14], v[11:12], s[6:7]
	;; [unrolled: 1-line block ×11, first 2 shown]
	v_mul_f64 v[13:14], v[13:14], v[11:12]
	v_fma_f64 v[11:12], |v[3:4]|, v[13:14], |v[3:4]|
	s_and_saveexec_b64 s[4:5], vcc
	s_cbranch_execz .LBB35_5
; %bb.4:
	v_rsq_f64_e32 v[11:12], v[15:16]
	v_cmp_eq_f64_e32 vcc, 0, v[15:16]
	s_mov_b32 s6, 0x54442d18
	s_mov_b32 s7, 0x3fe921fb
	v_mov_b32_e32 v1, 0x3ff921fb
	v_mul_f64 v[17:18], v[15:16], v[11:12]
	v_mul_f64 v[11:12], v[11:12], 0.5
	v_fma_f64 v[19:20], -v[11:12], v[17:18], 0.5
	v_fma_f64 v[17:18], v[17:18], v[19:20], v[17:18]
	v_fma_f64 v[11:12], v[11:12], v[19:20], v[11:12]
	v_fma_f64 v[19:20], -v[17:18], v[17:18], v[15:16]
	v_fma_f64 v[11:12], v[19:20], v[11:12], v[17:18]
	v_cndmask_b32_e32 v12, v12, v16, vcc
	v_cndmask_b32_e32 v11, v11, v15, vcc
	v_add_f64 v[17:18], v[11:12], v[11:12]
	v_mul_f64 v[19:20], v[11:12], v[11:12]
	v_rcp_f64_e32 v[22:23], v[17:18]
	v_add_f64 v[24:25], v[15:16], -v[19:20]
	v_fma_f64 v[28:29], v[11:12], v[11:12], -v[19:20]
	v_add_f64 v[15:16], v[15:16], -v[24:25]
	v_fma_f64 v[26:27], -v[17:18], v[22:23], 1.0
	v_add_f64 v[15:16], v[15:16], -v[19:20]
	v_fma_f64 v[19:20], v[26:27], v[22:23], v[22:23]
	v_add_f64 v[15:16], v[15:16], -v[28:29]
	v_fma_f64 v[22:23], -v[17:18], v[19:20], 1.0
	v_add_f64 v[15:16], v[24:25], v[15:16]
	v_fma_f64 v[19:20], v[22:23], v[19:20], v[19:20]
	v_mul_f64 v[22:23], v[15:16], v[19:20]
	v_fma_f64 v[15:16], -v[17:18], v[22:23], v[15:16]
	v_fma_f64 v[15:16], v[15:16], v[19:20], v[22:23]
	v_cndmask_b32_e64 v16, v16, 0, vcc
	v_cndmask_b32_e64 v15, v15, 0, vcc
	v_add_f64 v[17:18], v[11:12], v[15:16]
	v_cmp_neq_f64_e64 vcc, |v[3:4]|, 1.0
	v_mov_b32_e32 v3, 0x54442d18
	v_add_f64 v[11:12], v[17:18], -v[11:12]
	v_mul_f64 v[19:20], v[13:14], v[17:18]
	v_add_f64 v[11:12], v[15:16], -v[11:12]
	v_fma_f64 v[15:16], v[17:18], v[13:14], -v[19:20]
	v_fma_f64 v[13:14], v[11:12], v[13:14], v[15:16]
	v_add_f64 v[15:16], v[19:20], v[13:14]
	v_add_f64 v[22:23], v[17:18], v[15:16]
	v_add_f64 v[19:20], v[15:16], -v[19:20]
	v_add_f64 v[17:18], v[22:23], -v[17:18]
	;; [unrolled: 1-line block ×4, first 2 shown]
	v_add_f64 v[11:12], v[11:12], v[13:14]
	v_add_f64 v[11:12], v[11:12], v[15:16]
	;; [unrolled: 1-line block ×3, first 2 shown]
	v_add_f64 v[15:16], -v[13:14], s[6:7]
	v_add_f64 v[19:20], v[13:14], -v[22:23]
	v_add_f64 v[17:18], -v[15:16], s[6:7]
	s_mov_b32 s6, 0x33145c07
	s_mov_b32 s7, 0x3c81a626
	v_add_f64 v[11:12], v[19:20], -v[11:12]
	v_add_f64 v[13:14], v[17:18], -v[13:14]
	v_add_f64 v[13:14], v[13:14], s[6:7]
	v_add_f64 v[11:12], v[11:12], v[13:14]
	;; [unrolled: 1-line block ×4, first 2 shown]
	v_cndmask_b32_e32 v12, v1, v12, vcc
	v_cndmask_b32_e32 v11, v3, v11, vcc
.LBB35_5:
	s_or_b64 exec, exec, s[4:5]
	s_waitcnt vmcnt(0)
	v_fma_f64 v[17:18], |v[5:6]|, -0.5, 0.5
	v_mul_f64 v[13:14], v[5:6], v[5:6]
	v_cmp_ge_f64_e64 vcc, |v[5:6]|, 0.5
	s_mov_b32 s4, 0x9fea6a70
	v_mov_b32_e32 v15, 0x78a05eaf
	v_mov_b32_e32 v16, 0xbf90a5a3
	s_mov_b32 s5, 0x3fa05985
	s_mov_b32 s6, 0x37024d6a
	;; [unrolled: 1-line block ×3, first 2 shown]
	v_cndmask_b32_e32 v14, v14, v18, vcc
	v_cndmask_b32_e32 v13, v13, v17, vcc
	v_fma_f64 v[19:20], v[13:14], s[4:5], v[15:16]
	v_fma_f64 v[19:20], v[13:14], v[19:20], s[6:7]
	;; [unrolled: 1-line block ×11, first 2 shown]
	v_mul_f64 v[19:20], v[13:14], v[19:20]
	v_fma_f64 v[13:14], |v[5:6]|, v[19:20], |v[5:6]|
	s_and_saveexec_b64 s[30:31], vcc
	s_cbranch_execz .LBB35_7
; %bb.6:
	v_rsq_f64_e32 v[13:14], v[17:18]
	v_cmp_eq_f64_e32 vcc, 0, v[17:18]
	s_mov_b32 s34, 0x54442d18
	s_mov_b32 s35, 0x3fe921fb
	v_mov_b32_e32 v1, 0x3ff921fb
	v_mul_f64 v[22:23], v[17:18], v[13:14]
	v_mul_f64 v[13:14], v[13:14], 0.5
	v_fma_f64 v[24:25], -v[13:14], v[22:23], 0.5
	v_fma_f64 v[22:23], v[22:23], v[24:25], v[22:23]
	v_fma_f64 v[13:14], v[13:14], v[24:25], v[13:14]
	v_fma_f64 v[24:25], -v[22:23], v[22:23], v[17:18]
	v_fma_f64 v[13:14], v[24:25], v[13:14], v[22:23]
	v_cndmask_b32_e32 v14, v14, v18, vcc
	v_cndmask_b32_e32 v13, v13, v17, vcc
	v_mul_f64 v[22:23], v[13:14], v[13:14]
	v_add_f64 v[26:27], v[17:18], -v[22:23]
	v_fma_f64 v[24:25], v[13:14], v[13:14], -v[22:23]
	v_add_f64 v[17:18], v[17:18], -v[26:27]
	v_add_f64 v[17:18], v[17:18], -v[22:23]
	v_add_f64 v[22:23], v[13:14], v[13:14]
	v_add_f64 v[17:18], v[17:18], -v[24:25]
	v_rcp_f64_e32 v[24:25], v[22:23]
	v_add_f64 v[17:18], v[26:27], v[17:18]
	v_fma_f64 v[26:27], -v[22:23], v[24:25], 1.0
	v_fma_f64 v[24:25], v[26:27], v[24:25], v[24:25]
	v_fma_f64 v[26:27], -v[22:23], v[24:25], 1.0
	v_fma_f64 v[24:25], v[26:27], v[24:25], v[24:25]
	v_mul_f64 v[26:27], v[17:18], v[24:25]
	v_fma_f64 v[17:18], -v[22:23], v[26:27], v[17:18]
	v_fma_f64 v[17:18], v[17:18], v[24:25], v[26:27]
	v_cndmask_b32_e64 v18, v18, 0, vcc
	v_cndmask_b32_e64 v17, v17, 0, vcc
	v_add_f64 v[22:23], v[13:14], v[17:18]
	v_cmp_neq_f64_e64 vcc, |v[5:6]|, 1.0
	v_add_f64 v[13:14], v[22:23], -v[13:14]
	v_add_f64 v[13:14], v[17:18], -v[13:14]
	v_mul_f64 v[17:18], v[19:20], v[22:23]
	v_fma_f64 v[24:25], v[22:23], v[19:20], -v[17:18]
	v_fma_f64 v[19:20], v[13:14], v[19:20], v[24:25]
	v_add_f64 v[24:25], v[17:18], v[19:20]
	v_add_f64 v[17:18], v[24:25], -v[17:18]
	v_add_f64 v[17:18], v[19:20], -v[17:18]
	v_add_f64 v[19:20], v[22:23], v[24:25]
	v_add_f64 v[13:14], v[13:14], v[17:18]
	v_add_f64 v[22:23], v[19:20], -v[22:23]
	v_add_f64 v[22:23], v[24:25], -v[22:23]
	v_add_f64 v[13:14], v[13:14], v[22:23]
	v_add_f64 v[17:18], v[19:20], v[13:14]
	v_add_f64 v[22:23], -v[17:18], s[34:35]
	v_add_f64 v[19:20], v[17:18], -v[19:20]
	v_add_f64 v[24:25], -v[22:23], s[34:35]
	s_mov_b32 s34, 0x33145c07
	s_mov_b32 s35, 0x3c81a626
	v_add_f64 v[13:14], v[19:20], -v[13:14]
	v_add_f64 v[17:18], v[24:25], -v[17:18]
	v_add_f64 v[17:18], v[17:18], s[34:35]
	v_add_f64 v[13:14], v[13:14], v[17:18]
	;; [unrolled: 1-line block ×4, first 2 shown]
	v_cndmask_b32_e32 v14, v1, v14, vcc
	v_mov_b32_e32 v1, 0x54442d18
	v_cndmask_b32_e32 v13, v1, v13, vcc
.LBB35_7:
	s_or_b64 exec, exec, s[30:31]
	v_fma_f64 v[19:20], |v[7:8]|, -0.5, 0.5
	v_mul_f64 v[17:18], v[7:8], v[7:8]
	v_cmp_ge_f64_e64 vcc, |v[7:8]|, 0.5
	v_cndmask_b32_e32 v18, v18, v20, vcc
	v_cndmask_b32_e32 v17, v17, v19, vcc
	v_fma_f64 v[15:16], v[17:18], s[4:5], v[15:16]
	v_fma_f64 v[15:16], v[17:18], v[15:16], s[6:7]
	;; [unrolled: 1-line block ×11, first 2 shown]
	v_mul_f64 v[17:18], v[17:18], v[15:16]
	v_fma_f64 v[15:16], |v[7:8]|, v[17:18], |v[7:8]|
	s_and_saveexec_b64 s[4:5], vcc
	s_cbranch_execz .LBB35_9
; %bb.8:
	v_rsq_f64_e32 v[15:16], v[19:20]
	v_cmp_eq_f64_e32 vcc, 0, v[19:20]
	s_mov_b32 s6, 0x54442d18
	s_mov_b32 s7, 0x3fe921fb
	v_mov_b32_e32 v1, 0x3ff921fb
	v_mul_f64 v[22:23], v[19:20], v[15:16]
	v_mul_f64 v[15:16], v[15:16], 0.5
	v_fma_f64 v[24:25], -v[15:16], v[22:23], 0.5
	v_fma_f64 v[22:23], v[22:23], v[24:25], v[22:23]
	v_fma_f64 v[15:16], v[15:16], v[24:25], v[15:16]
	v_fma_f64 v[24:25], -v[22:23], v[22:23], v[19:20]
	v_fma_f64 v[15:16], v[24:25], v[15:16], v[22:23]
	v_cndmask_b32_e32 v16, v16, v20, vcc
	v_cndmask_b32_e32 v15, v15, v19, vcc
	v_mul_f64 v[22:23], v[15:16], v[15:16]
	v_add_f64 v[26:27], v[19:20], -v[22:23]
	v_fma_f64 v[24:25], v[15:16], v[15:16], -v[22:23]
	v_add_f64 v[19:20], v[19:20], -v[26:27]
	v_add_f64 v[19:20], v[19:20], -v[22:23]
	v_add_f64 v[22:23], v[15:16], v[15:16]
	v_add_f64 v[19:20], v[19:20], -v[24:25]
	v_rcp_f64_e32 v[24:25], v[22:23]
	v_add_f64 v[19:20], v[26:27], v[19:20]
	v_fma_f64 v[26:27], -v[22:23], v[24:25], 1.0
	v_fma_f64 v[24:25], v[26:27], v[24:25], v[24:25]
	v_fma_f64 v[26:27], -v[22:23], v[24:25], 1.0
	v_fma_f64 v[24:25], v[26:27], v[24:25], v[24:25]
	v_mul_f64 v[26:27], v[19:20], v[24:25]
	v_fma_f64 v[19:20], -v[22:23], v[26:27], v[19:20]
	v_fma_f64 v[19:20], v[19:20], v[24:25], v[26:27]
	v_cndmask_b32_e64 v20, v20, 0, vcc
	v_cndmask_b32_e64 v19, v19, 0, vcc
	v_add_f64 v[22:23], v[15:16], v[19:20]
	v_cmp_neq_f64_e64 vcc, |v[7:8]|, 1.0
	v_add_f64 v[15:16], v[22:23], -v[15:16]
	v_add_f64 v[15:16], v[19:20], -v[15:16]
	v_mul_f64 v[19:20], v[17:18], v[22:23]
	v_fma_f64 v[24:25], v[22:23], v[17:18], -v[19:20]
	v_fma_f64 v[17:18], v[15:16], v[17:18], v[24:25]
	v_add_f64 v[24:25], v[19:20], v[17:18]
	v_add_f64 v[19:20], v[24:25], -v[19:20]
	v_add_f64 v[17:18], v[17:18], -v[19:20]
	v_add_f64 v[19:20], v[22:23], v[24:25]
	v_add_f64 v[15:16], v[15:16], v[17:18]
	v_add_f64 v[22:23], v[19:20], -v[22:23]
	v_add_f64 v[22:23], v[24:25], -v[22:23]
	v_add_f64 v[15:16], v[15:16], v[22:23]
	v_add_f64 v[17:18], v[19:20], v[15:16]
	v_add_f64 v[22:23], -v[17:18], s[6:7]
	v_add_f64 v[19:20], v[17:18], -v[19:20]
	v_add_f64 v[24:25], -v[22:23], s[6:7]
	s_mov_b32 s6, 0x33145c07
	s_mov_b32 s7, 0x3c81a626
	v_add_f64 v[15:16], v[19:20], -v[15:16]
	v_add_f64 v[17:18], v[24:25], -v[17:18]
	v_add_f64 v[17:18], v[17:18], s[6:7]
	v_add_f64 v[15:16], v[15:16], v[17:18]
	v_add_f64 v[15:16], v[22:23], v[15:16]
	v_add_f64 v[15:16], v[15:16], v[15:16]
	v_cndmask_b32_e32 v16, v1, v16, vcc
	v_mov_b32_e32 v1, 0x54442d18
	v_cndmask_b32_e32 v15, v1, v15, vcc
.LBB35_9:
	s_or_b64 exec, exec, s[4:5]
	s_brev_b32 s3, -2
	s_add_u32 s0, s8, s0
	v_bfi_b32 v12, s3, v12, v4
	v_bfi_b32 v10, s3, v10, v2
	s_addc_u32 s1, s9, s1
	v_bfi_b32 v14, s3, v14, v6
	v_bfi_b32 v16, s3, v16, v8
	global_store_dwordx4 v21, v[9:12], s[0:1]
	global_store_dwordx4 v21, v[13:16], s[0:1] offset:16
	s_mov_b64 s[0:1], 0
.LBB35_10:
	s_and_b64 vcc, exec, s[0:1]
	s_cbranch_vccz .LBB35_37
; %bb.11:
	v_mov_b32_e32 v14, 0
	v_mov_b32_e32 v16, 0
	v_cmp_gt_i32_e32 vcc, s33, v0
	v_mov_b32_e32 v15, 0
	v_or_b32_e32 v1, s2, v0
	v_mov_b32_e32 v17, 0
	v_mov_b32_e32 v4, v0
	s_and_saveexec_b64 s[4:5], vcc
	s_cbranch_execz .LBB35_13
; %bb.12:
	v_mov_b32_e32 v2, 0
	v_lshlrev_b64 v[2:3], 3, v[1:2]
	v_mov_b32_e32 v4, s11
	v_add_co_u32_e64 v2, s[0:1], s10, v2
	v_addc_co_u32_e64 v3, s[0:1], v4, v3, s[0:1]
	global_load_dwordx2 v[16:17], v[2:3], off
	v_or_b32_e32 v4, 0x100, v0
.LBB35_13:
	s_or_b64 exec, exec, s[4:5]
	v_cmp_gt_i32_e64 s[0:1], s33, v4
	s_and_saveexec_b64 s[4:5], s[0:1]
	s_cbranch_execz .LBB35_15
; %bb.14:
	v_add_u32_e32 v2, s2, v4
	v_mov_b32_e32 v3, 0
	v_lshlrev_b64 v[2:3], 3, v[2:3]
	v_mov_b32_e32 v5, s11
	v_add_co_u32_e64 v2, s[0:1], s10, v2
	v_addc_co_u32_e64 v3, s[0:1], v5, v3, s[0:1]
	global_load_dwordx2 v[14:15], v[2:3], off
	v_add_u32_e32 v4, 0x100, v4
.LBB35_15:
	s_or_b64 exec, exec, s[4:5]
	v_mov_b32_e32 v2, 0
	v_mov_b32_e32 v6, 0
	v_mov_b32_e32 v3, 0
	v_mov_b32_e32 v7, 0
	v_cmp_gt_i32_e64 s[0:1], s33, v4
	s_and_saveexec_b64 s[4:5], s[0:1]
	s_cbranch_execz .LBB35_17
; %bb.16:
	v_add_u32_e32 v5, s2, v4
	v_mov_b32_e32 v6, 0
	v_lshlrev_b64 v[5:6], 3, v[5:6]
	v_mov_b32_e32 v7, s11
	v_add_co_u32_e64 v5, s[0:1], s10, v5
	v_addc_co_u32_e64 v6, s[0:1], v7, v6, s[0:1]
	global_load_dwordx2 v[6:7], v[5:6], off
	v_add_u32_e32 v4, 0x100, v4
.LBB35_17:
	s_or_b64 exec, exec, s[4:5]
	v_cmp_gt_i32_e64 s[0:1], s33, v4
	s_and_saveexec_b64 s[4:5], s[0:1]
	s_cbranch_execz .LBB35_19
; %bb.18:
	v_add_u32_e32 v2, s2, v4
	v_mov_b32_e32 v3, 0
	v_lshlrev_b64 v[2:3], 3, v[2:3]
	v_mov_b32_e32 v4, s11
	v_add_co_u32_e64 v2, s[0:1], s10, v2
	v_addc_co_u32_e64 v3, s[0:1], v4, v3, s[0:1]
	global_load_dwordx2 v[2:3], v[2:3], off
.LBB35_19:
	s_or_b64 exec, exec, s[4:5]
	v_mov_b32_e32 v4, 0
	v_mov_b32_e32 v5, v4
	;; [unrolled: 1-line block ×8, first 2 shown]
	s_and_saveexec_b64 s[4:5], vcc
	s_cbranch_execz .LBB35_23
; %bb.20:
	s_waitcnt vmcnt(0)
	v_fma_f64 v[8:9], |v[16:17]|, -0.5, 0.5
	v_mul_f64 v[4:5], v[16:17], v[16:17]
	v_cmp_ge_f64_e64 s[0:1], |v[16:17]|, 0.5
	s_mov_b32 s6, 0x9fea6a70
	v_mov_b32_e32 v10, 0x78a05eaf
	v_mov_b32_e32 v11, 0xbf90a5a3
	s_mov_b32 s7, 0x3fa05985
	v_cndmask_b32_e64 v5, v5, v9, s[0:1]
	v_cndmask_b32_e64 v4, v4, v8, s[0:1]
	v_fma_f64 v[10:11], v[4:5], s[6:7], v[10:11]
	s_mov_b32 s6, 0x37024d6a
	s_mov_b32 s7, 0x3f940521
	v_fma_f64 v[10:11], v[4:5], v[10:11], s[6:7]
	s_mov_b32 s6, 0x98a70509
	s_mov_b32 s7, 0x3f7ab3a0
	v_fma_f64 v[10:11], v[4:5], v[10:11], s[6:7]
	s_mov_b32 s6, 0xa300c8d2
	s_mov_b32 s7, 0x3f88ed60
	v_fma_f64 v[10:11], v[4:5], v[10:11], s[6:7]
	s_mov_b32 s6, 0x4b77012b
	s_mov_b32 s7, 0x3f8c6fa8
	v_fma_f64 v[10:11], v[4:5], v[10:11], s[6:7]
	s_mov_b32 s6, 0x11dccb70
	s_mov_b32 s7, 0x3f91c6c1
	v_fma_f64 v[10:11], v[4:5], v[10:11], s[6:7]
	s_mov_b32 s6, 0xa0adacf
	s_mov_b32 s7, 0x3f96e89f
	v_fma_f64 v[10:11], v[4:5], v[10:11], s[6:7]
	s_mov_b32 s6, 0xc668963f
	s_mov_b32 s7, 0x3f9f1c72
	v_fma_f64 v[10:11], v[4:5], v[10:11], s[6:7]
	s_mov_b32 s6, 0xb41ce4bd
	s_mov_b32 s7, 0x3fa6db6d
	v_fma_f64 v[10:11], v[4:5], v[10:11], s[6:7]
	s_mov_b32 s6, 0x3336fd5b
	s_mov_b32 s7, 0x3fb33333
	v_fma_f64 v[10:11], v[4:5], v[10:11], s[6:7]
	s_mov_b32 s6, 0x55555380
	s_mov_b32 s7, 0x3fc55555
	v_fma_f64 v[10:11], v[4:5], v[10:11], s[6:7]
	v_mul_f64 v[10:11], v[4:5], v[10:11]
	v_fma_f64 v[4:5], |v[16:17]|, v[10:11], |v[16:17]|
	s_and_saveexec_b64 s[6:7], s[0:1]
	s_cbranch_execz .LBB35_22
; %bb.21:
	v_rsq_f64_e32 v[4:5], v[8:9]
	v_cmp_eq_f64_e64 s[0:1], 0, v[8:9]
	v_mul_f64 v[12:13], v[8:9], v[4:5]
	v_mul_f64 v[4:5], v[4:5], 0.5
	v_fma_f64 v[18:19], -v[4:5], v[12:13], 0.5
	v_fma_f64 v[12:13], v[12:13], v[18:19], v[12:13]
	v_fma_f64 v[4:5], v[4:5], v[18:19], v[4:5]
	v_fma_f64 v[18:19], -v[12:13], v[12:13], v[8:9]
	v_fma_f64 v[4:5], v[18:19], v[4:5], v[12:13]
	v_cndmask_b32_e64 v5, v5, v9, s[0:1]
	v_cndmask_b32_e64 v4, v4, v8, s[0:1]
	v_mul_f64 v[12:13], v[4:5], v[4:5]
	v_add_f64 v[20:21], v[8:9], -v[12:13]
	v_fma_f64 v[18:19], v[4:5], v[4:5], -v[12:13]
	v_add_f64 v[8:9], v[8:9], -v[20:21]
	v_add_f64 v[8:9], v[8:9], -v[12:13]
	v_add_f64 v[12:13], v[4:5], v[4:5]
	v_add_f64 v[8:9], v[8:9], -v[18:19]
	v_rcp_f64_e32 v[18:19], v[12:13]
	v_add_f64 v[8:9], v[20:21], v[8:9]
	v_fma_f64 v[20:21], -v[12:13], v[18:19], 1.0
	v_fma_f64 v[18:19], v[20:21], v[18:19], v[18:19]
	v_fma_f64 v[20:21], -v[12:13], v[18:19], 1.0
	v_fma_f64 v[18:19], v[20:21], v[18:19], v[18:19]
	v_mul_f64 v[20:21], v[8:9], v[18:19]
	v_fma_f64 v[8:9], -v[12:13], v[20:21], v[8:9]
	v_fma_f64 v[8:9], v[8:9], v[18:19], v[20:21]
	v_cndmask_b32_e64 v9, v9, 0, s[0:1]
	v_cndmask_b32_e64 v8, v8, 0, s[0:1]
	v_add_f64 v[12:13], v[4:5], v[8:9]
	s_mov_b32 s0, 0x54442d18
	s_mov_b32 s1, 0x3fe921fb
	v_add_f64 v[4:5], v[12:13], -v[4:5]
	v_add_f64 v[4:5], v[8:9], -v[4:5]
	v_mul_f64 v[8:9], v[10:11], v[12:13]
	v_fma_f64 v[18:19], v[12:13], v[10:11], -v[8:9]
	v_fma_f64 v[10:11], v[4:5], v[10:11], v[18:19]
	v_add_f64 v[18:19], v[8:9], v[10:11]
	v_add_f64 v[8:9], v[18:19], -v[8:9]
	v_add_f64 v[8:9], v[10:11], -v[8:9]
	v_add_f64 v[10:11], v[12:13], v[18:19]
	v_add_f64 v[4:5], v[4:5], v[8:9]
	v_add_f64 v[12:13], v[10:11], -v[12:13]
	v_add_f64 v[12:13], v[18:19], -v[12:13]
	v_add_f64 v[4:5], v[4:5], v[12:13]
	v_add_f64 v[8:9], v[10:11], v[4:5]
	v_add_f64 v[12:13], -v[8:9], s[0:1]
	v_add_f64 v[10:11], v[8:9], -v[10:11]
	v_add_f64 v[18:19], -v[12:13], s[0:1]
	s_mov_b32 s0, 0x33145c07
	s_mov_b32 s1, 0x3c81a626
	v_add_f64 v[4:5], v[10:11], -v[4:5]
	v_add_f64 v[8:9], v[18:19], -v[8:9]
	v_add_f64 v[8:9], v[8:9], s[0:1]
	v_cmp_neq_f64_e64 s[0:1], |v[16:17]|, 1.0
	v_add_f64 v[4:5], v[4:5], v[8:9]
	v_mov_b32_e32 v8, 0x3ff921fb
	v_add_f64 v[4:5], v[12:13], v[4:5]
	v_add_f64 v[4:5], v[4:5], v[4:5]
	v_cndmask_b32_e64 v5, v8, v5, s[0:1]
	v_mov_b32_e32 v8, 0x54442d18
	v_cndmask_b32_e64 v4, v8, v4, s[0:1]
.LBB35_22:
	s_or_b64 exec, exec, s[6:7]
	s_brev_b32 s0, -2
	v_mov_b32_e32 v12, 0
	v_bfi_b32 v5, s0, v5, v17
	v_mov_b32_e32 v13, v12
	v_mov_b32_e32 v10, v12
	;; [unrolled: 1-line block ×5, first 2 shown]
.LBB35_23:
	s_or_b64 exec, exec, s[4:5]
	v_or_b32_e32 v20, 0x100, v0
	v_cmp_gt_i32_e64 s[0:1], s33, v20
	s_and_saveexec_b64 s[4:5], s[0:1]
	s_cbranch_execz .LBB35_27
; %bb.24:
	s_waitcnt vmcnt(0)
	v_fma_f64 v[16:17], |v[14:15]|, -0.5, 0.5
	v_mul_f64 v[12:13], v[14:15], v[14:15]
	v_cmp_ge_f64_e64 s[0:1], |v[14:15]|, 0.5
	s_mov_b32 s6, 0x9fea6a70
	v_mov_b32_e32 v18, 0x78a05eaf
	v_mov_b32_e32 v19, 0xbf90a5a3
	s_mov_b32 s7, 0x3fa05985
	v_cndmask_b32_e64 v13, v13, v17, s[0:1]
	v_cndmask_b32_e64 v12, v12, v16, s[0:1]
	v_fma_f64 v[18:19], v[12:13], s[6:7], v[18:19]
	s_mov_b32 s6, 0x37024d6a
	s_mov_b32 s7, 0x3f940521
	v_fma_f64 v[18:19], v[12:13], v[18:19], s[6:7]
	s_mov_b32 s6, 0x98a70509
	s_mov_b32 s7, 0x3f7ab3a0
	;; [unrolled: 3-line block ×10, first 2 shown]
	v_fma_f64 v[18:19], v[12:13], v[18:19], s[6:7]
	v_mul_f64 v[18:19], v[12:13], v[18:19]
	v_fma_f64 v[12:13], |v[14:15]|, v[18:19], |v[14:15]|
	s_and_saveexec_b64 s[6:7], s[0:1]
	s_cbranch_execz .LBB35_26
; %bb.25:
	v_rsq_f64_e32 v[12:13], v[16:17]
	v_cmp_eq_f64_e64 s[0:1], 0, v[16:17]
	v_mul_f64 v[21:22], v[16:17], v[12:13]
	v_mul_f64 v[12:13], v[12:13], 0.5
	v_fma_f64 v[23:24], -v[12:13], v[21:22], 0.5
	v_fma_f64 v[21:22], v[21:22], v[23:24], v[21:22]
	v_fma_f64 v[12:13], v[12:13], v[23:24], v[12:13]
	v_fma_f64 v[23:24], -v[21:22], v[21:22], v[16:17]
	v_fma_f64 v[12:13], v[23:24], v[12:13], v[21:22]
	v_cndmask_b32_e64 v13, v13, v17, s[0:1]
	v_cndmask_b32_e64 v12, v12, v16, s[0:1]
	v_mul_f64 v[21:22], v[12:13], v[12:13]
	v_add_f64 v[25:26], v[16:17], -v[21:22]
	v_fma_f64 v[23:24], v[12:13], v[12:13], -v[21:22]
	v_add_f64 v[16:17], v[16:17], -v[25:26]
	v_add_f64 v[16:17], v[16:17], -v[21:22]
	v_add_f64 v[21:22], v[12:13], v[12:13]
	v_add_f64 v[16:17], v[16:17], -v[23:24]
	v_rcp_f64_e32 v[23:24], v[21:22]
	v_add_f64 v[16:17], v[25:26], v[16:17]
	v_fma_f64 v[25:26], -v[21:22], v[23:24], 1.0
	v_fma_f64 v[23:24], v[25:26], v[23:24], v[23:24]
	v_fma_f64 v[25:26], -v[21:22], v[23:24], 1.0
	v_fma_f64 v[23:24], v[25:26], v[23:24], v[23:24]
	v_mul_f64 v[25:26], v[16:17], v[23:24]
	v_fma_f64 v[16:17], -v[21:22], v[25:26], v[16:17]
	v_fma_f64 v[16:17], v[16:17], v[23:24], v[25:26]
	v_cndmask_b32_e64 v17, v17, 0, s[0:1]
	v_cndmask_b32_e64 v16, v16, 0, s[0:1]
	v_add_f64 v[21:22], v[12:13], v[16:17]
	s_mov_b32 s0, 0x54442d18
	s_mov_b32 s1, 0x3fe921fb
	v_add_f64 v[12:13], v[21:22], -v[12:13]
	v_add_f64 v[12:13], v[16:17], -v[12:13]
	v_mul_f64 v[16:17], v[18:19], v[21:22]
	v_fma_f64 v[23:24], v[21:22], v[18:19], -v[16:17]
	v_fma_f64 v[18:19], v[12:13], v[18:19], v[23:24]
	v_add_f64 v[23:24], v[16:17], v[18:19]
	v_add_f64 v[16:17], v[23:24], -v[16:17]
	v_add_f64 v[16:17], v[18:19], -v[16:17]
	v_add_f64 v[18:19], v[21:22], v[23:24]
	v_add_f64 v[12:13], v[12:13], v[16:17]
	v_add_f64 v[21:22], v[18:19], -v[21:22]
	v_add_f64 v[21:22], v[23:24], -v[21:22]
	v_add_f64 v[12:13], v[12:13], v[21:22]
	v_add_f64 v[16:17], v[18:19], v[12:13]
	v_add_f64 v[21:22], -v[16:17], s[0:1]
	v_add_f64 v[18:19], v[16:17], -v[18:19]
	v_add_f64 v[23:24], -v[21:22], s[0:1]
	s_mov_b32 s0, 0x33145c07
	s_mov_b32 s1, 0x3c81a626
	v_add_f64 v[12:13], v[18:19], -v[12:13]
	v_add_f64 v[16:17], v[23:24], -v[16:17]
	v_add_f64 v[16:17], v[16:17], s[0:1]
	v_cmp_neq_f64_e64 s[0:1], |v[14:15]|, 1.0
	v_mov_b32_e32 v14, 0x3ff921fb
	v_add_f64 v[12:13], v[12:13], v[16:17]
	v_add_f64 v[12:13], v[21:22], v[12:13]
	v_add_f64 v[12:13], v[12:13], v[12:13]
	v_cndmask_b32_e64 v13, v14, v13, s[0:1]
	v_mov_b32_e32 v14, 0x54442d18
	v_cndmask_b32_e64 v12, v14, v12, s[0:1]
.LBB35_26:
	s_or_b64 exec, exec, s[6:7]
	s_brev_b32 s0, -2
	v_bfi_b32 v13, s0, v13, v15
.LBB35_27:
	s_or_b64 exec, exec, s[4:5]
	s_waitcnt vmcnt(0)
	v_or_b32_e32 v14, 0x200, v0
	v_cmp_gt_i32_e64 s[0:1], s33, v14
	s_and_saveexec_b64 s[4:5], s[0:1]
	s_cbranch_execz .LBB35_31
; %bb.28:
	v_fma_f64 v[14:15], |v[6:7]|, -0.5, 0.5
	v_mul_f64 v[10:11], v[6:7], v[6:7]
	v_cmp_ge_f64_e64 s[0:1], |v[6:7]|, 0.5
	s_mov_b32 s6, 0x9fea6a70
	v_mov_b32_e32 v16, 0x78a05eaf
	v_mov_b32_e32 v17, 0xbf90a5a3
	s_mov_b32 s7, 0x3fa05985
	v_cndmask_b32_e64 v11, v11, v15, s[0:1]
	v_cndmask_b32_e64 v10, v10, v14, s[0:1]
	v_fma_f64 v[16:17], v[10:11], s[6:7], v[16:17]
	s_mov_b32 s6, 0x37024d6a
	s_mov_b32 s7, 0x3f940521
	v_fma_f64 v[16:17], v[10:11], v[16:17], s[6:7]
	s_mov_b32 s6, 0x98a70509
	s_mov_b32 s7, 0x3f7ab3a0
	;; [unrolled: 3-line block ×10, first 2 shown]
	v_fma_f64 v[16:17], v[10:11], v[16:17], s[6:7]
	v_mul_f64 v[16:17], v[10:11], v[16:17]
	v_fma_f64 v[10:11], |v[6:7]|, v[16:17], |v[6:7]|
	s_and_saveexec_b64 s[6:7], s[0:1]
	s_cbranch_execz .LBB35_30
; %bb.29:
	v_rsq_f64_e32 v[10:11], v[14:15]
	v_cmp_eq_f64_e64 s[0:1], 0, v[14:15]
	v_mul_f64 v[18:19], v[14:15], v[10:11]
	v_mul_f64 v[10:11], v[10:11], 0.5
	v_fma_f64 v[21:22], -v[10:11], v[18:19], 0.5
	v_fma_f64 v[18:19], v[18:19], v[21:22], v[18:19]
	v_fma_f64 v[10:11], v[10:11], v[21:22], v[10:11]
	v_fma_f64 v[21:22], -v[18:19], v[18:19], v[14:15]
	v_fma_f64 v[10:11], v[21:22], v[10:11], v[18:19]
	v_cndmask_b32_e64 v11, v11, v15, s[0:1]
	v_cndmask_b32_e64 v10, v10, v14, s[0:1]
	v_mul_f64 v[18:19], v[10:11], v[10:11]
	v_add_f64 v[23:24], v[14:15], -v[18:19]
	v_fma_f64 v[21:22], v[10:11], v[10:11], -v[18:19]
	v_add_f64 v[14:15], v[14:15], -v[23:24]
	v_add_f64 v[14:15], v[14:15], -v[18:19]
	v_add_f64 v[18:19], v[10:11], v[10:11]
	v_add_f64 v[14:15], v[14:15], -v[21:22]
	v_rcp_f64_e32 v[21:22], v[18:19]
	v_add_f64 v[14:15], v[23:24], v[14:15]
	v_fma_f64 v[23:24], -v[18:19], v[21:22], 1.0
	v_fma_f64 v[21:22], v[23:24], v[21:22], v[21:22]
	v_fma_f64 v[23:24], -v[18:19], v[21:22], 1.0
	v_fma_f64 v[21:22], v[23:24], v[21:22], v[21:22]
	v_mul_f64 v[23:24], v[14:15], v[21:22]
	v_fma_f64 v[14:15], -v[18:19], v[23:24], v[14:15]
	v_fma_f64 v[14:15], v[14:15], v[21:22], v[23:24]
	v_cndmask_b32_e64 v15, v15, 0, s[0:1]
	v_cndmask_b32_e64 v14, v14, 0, s[0:1]
	v_add_f64 v[18:19], v[10:11], v[14:15]
	s_mov_b32 s0, 0x54442d18
	s_mov_b32 s1, 0x3fe921fb
	v_add_f64 v[10:11], v[18:19], -v[10:11]
	v_add_f64 v[10:11], v[14:15], -v[10:11]
	v_mul_f64 v[14:15], v[16:17], v[18:19]
	v_fma_f64 v[21:22], v[18:19], v[16:17], -v[14:15]
	v_fma_f64 v[16:17], v[10:11], v[16:17], v[21:22]
	v_add_f64 v[21:22], v[14:15], v[16:17]
	v_add_f64 v[14:15], v[21:22], -v[14:15]
	v_add_f64 v[14:15], v[16:17], -v[14:15]
	v_add_f64 v[16:17], v[18:19], v[21:22]
	v_add_f64 v[10:11], v[10:11], v[14:15]
	v_add_f64 v[18:19], v[16:17], -v[18:19]
	v_add_f64 v[18:19], v[21:22], -v[18:19]
	v_add_f64 v[10:11], v[10:11], v[18:19]
	v_add_f64 v[14:15], v[16:17], v[10:11]
	v_add_f64 v[18:19], -v[14:15], s[0:1]
	v_add_f64 v[16:17], v[14:15], -v[16:17]
	v_add_f64 v[21:22], -v[18:19], s[0:1]
	s_mov_b32 s0, 0x33145c07
	s_mov_b32 s1, 0x3c81a626
	v_add_f64 v[10:11], v[16:17], -v[10:11]
	v_add_f64 v[14:15], v[21:22], -v[14:15]
	v_add_f64 v[14:15], v[14:15], s[0:1]
	v_cmp_neq_f64_e64 s[0:1], |v[6:7]|, 1.0
	v_mov_b32_e32 v6, 0x3ff921fb
	v_add_f64 v[10:11], v[10:11], v[14:15]
	v_add_f64 v[10:11], v[18:19], v[10:11]
	;; [unrolled: 1-line block ×3, first 2 shown]
	v_cndmask_b32_e64 v11, v6, v11, s[0:1]
	v_mov_b32_e32 v6, 0x54442d18
	v_cndmask_b32_e64 v10, v6, v10, s[0:1]
.LBB35_30:
	s_or_b64 exec, exec, s[6:7]
	s_brev_b32 s0, -2
	v_bfi_b32 v11, s0, v11, v7
.LBB35_31:
	s_or_b64 exec, exec, s[4:5]
	v_or_b32_e32 v6, 0x300, v0
	v_cmp_gt_i32_e64 s[0:1], s33, v6
	s_and_saveexec_b64 s[4:5], s[0:1]
	s_cbranch_execnz .LBB35_38
; %bb.32:
	s_or_b64 exec, exec, s[4:5]
	s_and_saveexec_b64 s[0:1], vcc
	s_xor_b64 s[0:1], exec, s[0:1]
	s_cbranch_execnz .LBB35_41
.LBB35_33:
	s_or_b64 exec, exec, s[0:1]
	v_cmp_gt_i32_e32 vcc, s33, v0
	s_and_saveexec_b64 s[0:1], vcc
	s_cbranch_execnz .LBB35_42
.LBB35_34:
	s_or_b64 exec, exec, s[0:1]
	v_cmp_gt_i32_e32 vcc, s33, v0
	s_and_saveexec_b64 s[0:1], vcc
	s_cbranch_execnz .LBB35_43
.LBB35_35:
	s_or_b64 exec, exec, s[0:1]
	v_cmp_gt_i32_e32 vcc, s33, v0
	s_and_saveexec_b64 s[0:1], vcc
	s_cbranch_execz .LBB35_37
.LBB35_36:
	v_add_u32_e32 v0, s2, v0
	v_mov_b32_e32 v1, 0
	v_lshlrev_b64 v[0:1], 3, v[0:1]
	v_mov_b32_e32 v2, s9
	v_add_co_u32_e32 v0, vcc, s8, v0
	v_addc_co_u32_e32 v1, vcc, v2, v1, vcc
	global_store_dwordx2 v[0:1], v[8:9], off
.LBB35_37:
	s_endpgm
.LBB35_38:
	v_fma_f64 v[6:7], |v[2:3]|, -0.5, 0.5
	v_mul_f64 v[8:9], v[2:3], v[2:3]
	v_cmp_ge_f64_e64 s[0:1], |v[2:3]|, 0.5
	s_mov_b32 s6, 0x9fea6a70
	v_mov_b32_e32 v14, 0x78a05eaf
	v_mov_b32_e32 v15, 0xbf90a5a3
	s_mov_b32 s7, 0x3fa05985
	v_cndmask_b32_e64 v9, v9, v7, s[0:1]
	v_cndmask_b32_e64 v8, v8, v6, s[0:1]
	v_fma_f64 v[14:15], v[8:9], s[6:7], v[14:15]
	s_mov_b32 s6, 0x37024d6a
	s_mov_b32 s7, 0x3f940521
	v_fma_f64 v[14:15], v[8:9], v[14:15], s[6:7]
	s_mov_b32 s6, 0x98a70509
	s_mov_b32 s7, 0x3f7ab3a0
	;; [unrolled: 3-line block ×10, first 2 shown]
	v_fma_f64 v[14:15], v[8:9], v[14:15], s[6:7]
	v_mul_f64 v[14:15], v[8:9], v[14:15]
	v_fma_f64 v[8:9], |v[2:3]|, v[14:15], |v[2:3]|
	s_and_saveexec_b64 s[6:7], s[0:1]
	s_cbranch_execz .LBB35_40
; %bb.39:
	v_rsq_f64_e32 v[8:9], v[6:7]
	v_cmp_eq_f64_e64 s[0:1], 0, v[6:7]
	v_mul_f64 v[16:17], v[6:7], v[8:9]
	v_mul_f64 v[8:9], v[8:9], 0.5
	v_fma_f64 v[18:19], -v[8:9], v[16:17], 0.5
	v_fma_f64 v[16:17], v[16:17], v[18:19], v[16:17]
	v_fma_f64 v[8:9], v[8:9], v[18:19], v[8:9]
	v_fma_f64 v[18:19], -v[16:17], v[16:17], v[6:7]
	v_fma_f64 v[8:9], v[18:19], v[8:9], v[16:17]
	v_cndmask_b32_e64 v9, v9, v7, s[0:1]
	v_cndmask_b32_e64 v8, v8, v6, s[0:1]
	v_add_f64 v[16:17], v[8:9], v[8:9]
	v_mul_f64 v[18:19], v[8:9], v[8:9]
	v_rcp_f64_e32 v[21:22], v[16:17]
	v_add_f64 v[23:24], v[6:7], -v[18:19]
	v_fma_f64 v[27:28], v[8:9], v[8:9], -v[18:19]
	v_add_f64 v[6:7], v[6:7], -v[23:24]
	v_fma_f64 v[25:26], -v[16:17], v[21:22], 1.0
	v_add_f64 v[6:7], v[6:7], -v[18:19]
	v_fma_f64 v[18:19], v[25:26], v[21:22], v[21:22]
	v_add_f64 v[6:7], v[6:7], -v[27:28]
	v_fma_f64 v[21:22], -v[16:17], v[18:19], 1.0
	v_add_f64 v[6:7], v[23:24], v[6:7]
	v_fma_f64 v[18:19], v[21:22], v[18:19], v[18:19]
	v_mul_f64 v[21:22], v[6:7], v[18:19]
	v_fma_f64 v[6:7], -v[16:17], v[21:22], v[6:7]
	v_fma_f64 v[6:7], v[6:7], v[18:19], v[21:22]
	v_cndmask_b32_e64 v7, v7, 0, s[0:1]
	v_cndmask_b32_e64 v6, v6, 0, s[0:1]
	v_add_f64 v[16:17], v[8:9], v[6:7]
	s_mov_b32 s0, 0x54442d18
	s_mov_b32 s1, 0x3fe921fb
	v_add_f64 v[8:9], v[16:17], -v[8:9]
	v_mul_f64 v[18:19], v[14:15], v[16:17]
	v_add_f64 v[6:7], v[6:7], -v[8:9]
	v_fma_f64 v[8:9], v[16:17], v[14:15], -v[18:19]
	v_fma_f64 v[8:9], v[6:7], v[14:15], v[8:9]
	v_add_f64 v[14:15], v[18:19], v[8:9]
	v_add_f64 v[21:22], v[16:17], v[14:15]
	v_add_f64 v[18:19], v[14:15], -v[18:19]
	v_add_f64 v[16:17], v[21:22], -v[16:17]
	;; [unrolled: 1-line block ×4, first 2 shown]
	v_add_f64 v[6:7], v[6:7], v[8:9]
	v_add_f64 v[6:7], v[6:7], v[14:15]
	;; [unrolled: 1-line block ×3, first 2 shown]
	v_add_f64 v[14:15], -v[8:9], s[0:1]
	v_add_f64 v[18:19], v[8:9], -v[21:22]
	v_add_f64 v[16:17], -v[14:15], s[0:1]
	s_mov_b32 s0, 0x33145c07
	s_mov_b32 s1, 0x3c81a626
	v_add_f64 v[6:7], v[18:19], -v[6:7]
	v_add_f64 v[8:9], v[16:17], -v[8:9]
	v_add_f64 v[8:9], v[8:9], s[0:1]
	v_cmp_neq_f64_e64 s[0:1], |v[2:3]|, 1.0
	v_mov_b32_e32 v2, 0x54442d18
	v_add_f64 v[6:7], v[6:7], v[8:9]
	v_mov_b32_e32 v8, 0x3ff921fb
	v_add_f64 v[6:7], v[14:15], v[6:7]
	v_add_f64 v[6:7], v[6:7], v[6:7]
	v_cndmask_b32_e64 v9, v8, v7, s[0:1]
	v_cndmask_b32_e64 v8, v2, v6, s[0:1]
.LBB35_40:
	s_or_b64 exec, exec, s[6:7]
	s_brev_b32 s0, -2
	v_bfi_b32 v9, s0, v9, v3
	s_or_b64 exec, exec, s[4:5]
	s_and_saveexec_b64 s[0:1], vcc
	s_xor_b64 s[0:1], exec, s[0:1]
	s_cbranch_execz .LBB35_33
.LBB35_41:
	v_mov_b32_e32 v2, 0
	v_lshlrev_b64 v[0:1], 3, v[1:2]
	v_mov_b32_e32 v2, s9
	v_add_co_u32_e32 v0, vcc, s8, v0
	v_addc_co_u32_e32 v1, vcc, v2, v1, vcc
	global_store_dwordx2 v[0:1], v[4:5], off
	v_mov_b32_e32 v0, v20
	s_or_b64 exec, exec, s[0:1]
	v_cmp_gt_i32_e32 vcc, s33, v0
	s_and_saveexec_b64 s[0:1], vcc
	s_cbranch_execz .LBB35_34
.LBB35_42:
	v_add_u32_e32 v1, s2, v0
	v_mov_b32_e32 v2, 0
	v_lshlrev_b64 v[1:2], 3, v[1:2]
	v_mov_b32_e32 v3, s9
	v_add_co_u32_e32 v1, vcc, s8, v1
	v_addc_co_u32_e32 v2, vcc, v3, v2, vcc
	v_add_u32_e32 v0, 0x100, v0
	global_store_dwordx2 v[1:2], v[12:13], off
	s_or_b64 exec, exec, s[0:1]
	v_cmp_gt_i32_e32 vcc, s33, v0
	s_and_saveexec_b64 s[0:1], vcc
	s_cbranch_execz .LBB35_35
.LBB35_43:
	v_add_u32_e32 v1, s2, v0
	v_mov_b32_e32 v2, 0
	v_lshlrev_b64 v[1:2], 3, v[1:2]
	v_mov_b32_e32 v3, s9
	v_add_co_u32_e32 v1, vcc, s8, v1
	v_addc_co_u32_e32 v2, vcc, v3, v2, vcc
	v_add_u32_e32 v0, 0x100, v0
	global_store_dwordx2 v[1:2], v[10:11], off
	s_or_b64 exec, exec, s[0:1]
	v_cmp_gt_i32_e32 vcc, s33, v0
	s_and_saveexec_b64 s[0:1], vcc
	s_cbranch_execnz .LBB35_36
	s_branch .LBB35_37
	.section	.rodata,"a",@progbits
	.p2align	6, 0x0
	.amdhsa_kernel _ZN2at6native29vectorized_elementwise_kernelILi4EZZZNS0_16asin_kernel_cudaERNS_18TensorIteratorBaseEENKUlvE0_clEvENKUlvE_clEvEUldE_St5arrayIPcLm2EEEEviT0_T1_
		.amdhsa_group_segment_fixed_size 0
		.amdhsa_private_segment_fixed_size 0
		.amdhsa_kernarg_size 24
		.amdhsa_user_sgpr_count 6
		.amdhsa_user_sgpr_private_segment_buffer 1
		.amdhsa_user_sgpr_dispatch_ptr 0
		.amdhsa_user_sgpr_queue_ptr 0
		.amdhsa_user_sgpr_kernarg_segment_ptr 1
		.amdhsa_user_sgpr_dispatch_id 0
		.amdhsa_user_sgpr_flat_scratch_init 0
		.amdhsa_user_sgpr_private_segment_size 0
		.amdhsa_uses_dynamic_stack 0
		.amdhsa_system_sgpr_private_segment_wavefront_offset 0
		.amdhsa_system_sgpr_workgroup_id_x 1
		.amdhsa_system_sgpr_workgroup_id_y 0
		.amdhsa_system_sgpr_workgroup_id_z 0
		.amdhsa_system_sgpr_workgroup_info 0
		.amdhsa_system_vgpr_workitem_id 0
		.amdhsa_next_free_vgpr 30
		.amdhsa_next_free_sgpr 36
		.amdhsa_reserve_vcc 1
		.amdhsa_reserve_flat_scratch 0
		.amdhsa_float_round_mode_32 0
		.amdhsa_float_round_mode_16_64 0
		.amdhsa_float_denorm_mode_32 3
		.amdhsa_float_denorm_mode_16_64 3
		.amdhsa_dx10_clamp 1
		.amdhsa_ieee_mode 1
		.amdhsa_fp16_overflow 0
		.amdhsa_exception_fp_ieee_invalid_op 0
		.amdhsa_exception_fp_denorm_src 0
		.amdhsa_exception_fp_ieee_div_zero 0
		.amdhsa_exception_fp_ieee_overflow 0
		.amdhsa_exception_fp_ieee_underflow 0
		.amdhsa_exception_fp_ieee_inexact 0
		.amdhsa_exception_int_div_zero 0
	.end_amdhsa_kernel
	.section	.text._ZN2at6native29vectorized_elementwise_kernelILi4EZZZNS0_16asin_kernel_cudaERNS_18TensorIteratorBaseEENKUlvE0_clEvENKUlvE_clEvEUldE_St5arrayIPcLm2EEEEviT0_T1_,"axG",@progbits,_ZN2at6native29vectorized_elementwise_kernelILi4EZZZNS0_16asin_kernel_cudaERNS_18TensorIteratorBaseEENKUlvE0_clEvENKUlvE_clEvEUldE_St5arrayIPcLm2EEEEviT0_T1_,comdat
.Lfunc_end35:
	.size	_ZN2at6native29vectorized_elementwise_kernelILi4EZZZNS0_16asin_kernel_cudaERNS_18TensorIteratorBaseEENKUlvE0_clEvENKUlvE_clEvEUldE_St5arrayIPcLm2EEEEviT0_T1_, .Lfunc_end35-_ZN2at6native29vectorized_elementwise_kernelILi4EZZZNS0_16asin_kernel_cudaERNS_18TensorIteratorBaseEENKUlvE0_clEvENKUlvE_clEvEUldE_St5arrayIPcLm2EEEEviT0_T1_
                                        ; -- End function
	.set _ZN2at6native29vectorized_elementwise_kernelILi4EZZZNS0_16asin_kernel_cudaERNS_18TensorIteratorBaseEENKUlvE0_clEvENKUlvE_clEvEUldE_St5arrayIPcLm2EEEEviT0_T1_.num_vgpr, 30
	.set _ZN2at6native29vectorized_elementwise_kernelILi4EZZZNS0_16asin_kernel_cudaERNS_18TensorIteratorBaseEENKUlvE0_clEvENKUlvE_clEvEUldE_St5arrayIPcLm2EEEEviT0_T1_.num_agpr, 0
	.set _ZN2at6native29vectorized_elementwise_kernelILi4EZZZNS0_16asin_kernel_cudaERNS_18TensorIteratorBaseEENKUlvE0_clEvENKUlvE_clEvEUldE_St5arrayIPcLm2EEEEviT0_T1_.numbered_sgpr, 36
	.set _ZN2at6native29vectorized_elementwise_kernelILi4EZZZNS0_16asin_kernel_cudaERNS_18TensorIteratorBaseEENKUlvE0_clEvENKUlvE_clEvEUldE_St5arrayIPcLm2EEEEviT0_T1_.num_named_barrier, 0
	.set _ZN2at6native29vectorized_elementwise_kernelILi4EZZZNS0_16asin_kernel_cudaERNS_18TensorIteratorBaseEENKUlvE0_clEvENKUlvE_clEvEUldE_St5arrayIPcLm2EEEEviT0_T1_.private_seg_size, 0
	.set _ZN2at6native29vectorized_elementwise_kernelILi4EZZZNS0_16asin_kernel_cudaERNS_18TensorIteratorBaseEENKUlvE0_clEvENKUlvE_clEvEUldE_St5arrayIPcLm2EEEEviT0_T1_.uses_vcc, 1
	.set _ZN2at6native29vectorized_elementwise_kernelILi4EZZZNS0_16asin_kernel_cudaERNS_18TensorIteratorBaseEENKUlvE0_clEvENKUlvE_clEvEUldE_St5arrayIPcLm2EEEEviT0_T1_.uses_flat_scratch, 0
	.set _ZN2at6native29vectorized_elementwise_kernelILi4EZZZNS0_16asin_kernel_cudaERNS_18TensorIteratorBaseEENKUlvE0_clEvENKUlvE_clEvEUldE_St5arrayIPcLm2EEEEviT0_T1_.has_dyn_sized_stack, 0
	.set _ZN2at6native29vectorized_elementwise_kernelILi4EZZZNS0_16asin_kernel_cudaERNS_18TensorIteratorBaseEENKUlvE0_clEvENKUlvE_clEvEUldE_St5arrayIPcLm2EEEEviT0_T1_.has_recursion, 0
	.set _ZN2at6native29vectorized_elementwise_kernelILi4EZZZNS0_16asin_kernel_cudaERNS_18TensorIteratorBaseEENKUlvE0_clEvENKUlvE_clEvEUldE_St5arrayIPcLm2EEEEviT0_T1_.has_indirect_call, 0
	.section	.AMDGPU.csdata,"",@progbits
; Kernel info:
; codeLenInByte = 7020
; TotalNumSgprs: 40
; NumVgprs: 30
; ScratchSize: 0
; MemoryBound: 0
; FloatMode: 240
; IeeeMode: 1
; LDSByteSize: 0 bytes/workgroup (compile time only)
; SGPRBlocks: 4
; VGPRBlocks: 7
; NumSGPRsForWavesPerEU: 40
; NumVGPRsForWavesPerEU: 30
; Occupancy: 8
; WaveLimiterHint : 0
; COMPUTE_PGM_RSRC2:SCRATCH_EN: 0
; COMPUTE_PGM_RSRC2:USER_SGPR: 6
; COMPUTE_PGM_RSRC2:TRAP_HANDLER: 0
; COMPUTE_PGM_RSRC2:TGID_X_EN: 1
; COMPUTE_PGM_RSRC2:TGID_Y_EN: 0
; COMPUTE_PGM_RSRC2:TGID_Z_EN: 0
; COMPUTE_PGM_RSRC2:TIDIG_COMP_CNT: 0
	.section	.text._ZN2at6native29vectorized_elementwise_kernelILi2EZZZNS0_16asin_kernel_cudaERNS_18TensorIteratorBaseEENKUlvE0_clEvENKUlvE_clEvEUldE_St5arrayIPcLm2EEEEviT0_T1_,"axG",@progbits,_ZN2at6native29vectorized_elementwise_kernelILi2EZZZNS0_16asin_kernel_cudaERNS_18TensorIteratorBaseEENKUlvE0_clEvENKUlvE_clEvEUldE_St5arrayIPcLm2EEEEviT0_T1_,comdat
	.globl	_ZN2at6native29vectorized_elementwise_kernelILi2EZZZNS0_16asin_kernel_cudaERNS_18TensorIteratorBaseEENKUlvE0_clEvENKUlvE_clEvEUldE_St5arrayIPcLm2EEEEviT0_T1_ ; -- Begin function _ZN2at6native29vectorized_elementwise_kernelILi2EZZZNS0_16asin_kernel_cudaERNS_18TensorIteratorBaseEENKUlvE0_clEvENKUlvE_clEvEUldE_St5arrayIPcLm2EEEEviT0_T1_
	.p2align	8
	.type	_ZN2at6native29vectorized_elementwise_kernelILi2EZZZNS0_16asin_kernel_cudaERNS_18TensorIteratorBaseEENKUlvE0_clEvENKUlvE_clEvEUldE_St5arrayIPcLm2EEEEviT0_T1_,@function
_ZN2at6native29vectorized_elementwise_kernelILi2EZZZNS0_16asin_kernel_cudaERNS_18TensorIteratorBaseEENKUlvE0_clEvENKUlvE_clEvEUldE_St5arrayIPcLm2EEEEviT0_T1_: ; @_ZN2at6native29vectorized_elementwise_kernelILi2EZZZNS0_16asin_kernel_cudaERNS_18TensorIteratorBaseEENKUlvE0_clEvENKUlvE_clEvEUldE_St5arrayIPcLm2EEEEviT0_T1_
; %bb.0:
	s_load_dword s0, s[4:5], 0x0
	s_load_dwordx4 s[8:11], s[4:5], 0x8
	s_lshl_b32 s2, s6, 10
	s_waitcnt lgkmcnt(0)
	s_sub_i32 s33, s0, s2
	s_cmpk_gt_i32 s33, 0x3ff
	s_mov_b64 s[0:1], -1
	s_cbranch_scc0 .LBB36_10
; %bb.1:
	s_ashr_i32 s3, s2, 31
	s_lshl_b64 s[0:1], s[2:3], 3
	s_add_u32 s4, s10, s0
	s_addc_u32 s5, s11, s1
	v_lshlrev_b32_e32 v21, 4, v0
	global_load_dwordx4 v[1:4], v21, s[4:5]
	v_mov_b32_e32 v5, s5
	v_add_co_u32_e32 v6, vcc, s4, v21
	v_addc_co_u32_e32 v7, vcc, 0, v5, vcc
	v_add_co_u32_e32 v5, vcc, 0x1000, v6
	v_addc_co_u32_e32 v6, vcc, 0, v7, vcc
	global_load_dwordx4 v[5:8], v[5:6], off
	s_mov_b32 s4, 0x9fea6a70
	v_mov_b32_e32 v11, 0x78a05eaf
	v_mov_b32_e32 v12, 0xbf90a5a3
	s_mov_b32 s5, 0x3fa05985
	s_mov_b32 s6, 0x37024d6a
	;; [unrolled: 1-line block ×21, first 2 shown]
	s_waitcnt vmcnt(1)
	v_fma_f64 v[13:14], |v[1:2]|, -0.5, 0.5
	v_mul_f64 v[9:10], v[1:2], v[1:2]
	v_cmp_ge_f64_e64 vcc, |v[1:2]|, 0.5
	v_cndmask_b32_e32 v10, v10, v14, vcc
	v_cndmask_b32_e32 v9, v9, v13, vcc
	v_fma_f64 v[15:16], v[9:10], s[4:5], v[11:12]
	v_fma_f64 v[15:16], v[9:10], v[15:16], s[6:7]
	;; [unrolled: 1-line block ×11, first 2 shown]
	v_mul_f64 v[15:16], v[9:10], v[15:16]
	v_fma_f64 v[9:10], |v[1:2]|, v[15:16], |v[1:2]|
	s_and_saveexec_b64 s[30:31], vcc
	s_cbranch_execz .LBB36_3
; %bb.2:
	v_rsq_f64_e32 v[9:10], v[13:14]
	v_cmp_eq_f64_e32 vcc, 0, v[13:14]
	s_mov_b32 s34, 0x54442d18
	s_mov_b32 s35, 0x3fe921fb
	v_mul_f64 v[17:18], v[13:14], v[9:10]
	v_mul_f64 v[9:10], v[9:10], 0.5
	v_fma_f64 v[19:20], -v[9:10], v[17:18], 0.5
	v_fma_f64 v[17:18], v[17:18], v[19:20], v[17:18]
	v_fma_f64 v[9:10], v[9:10], v[19:20], v[9:10]
	v_fma_f64 v[19:20], -v[17:18], v[17:18], v[13:14]
	v_fma_f64 v[9:10], v[19:20], v[9:10], v[17:18]
	v_cndmask_b32_e32 v10, v10, v14, vcc
	v_cndmask_b32_e32 v9, v9, v13, vcc
	v_add_f64 v[17:18], v[9:10], v[9:10]
	v_mul_f64 v[19:20], v[9:10], v[9:10]
	v_rcp_f64_e32 v[22:23], v[17:18]
	v_add_f64 v[24:25], v[13:14], -v[19:20]
	v_fma_f64 v[28:29], v[9:10], v[9:10], -v[19:20]
	v_add_f64 v[13:14], v[13:14], -v[24:25]
	v_fma_f64 v[26:27], -v[17:18], v[22:23], 1.0
	v_add_f64 v[13:14], v[13:14], -v[19:20]
	v_fma_f64 v[19:20], v[26:27], v[22:23], v[22:23]
	v_add_f64 v[13:14], v[13:14], -v[28:29]
	v_fma_f64 v[22:23], -v[17:18], v[19:20], 1.0
	v_add_f64 v[13:14], v[24:25], v[13:14]
	v_fma_f64 v[19:20], v[22:23], v[19:20], v[19:20]
	v_mul_f64 v[22:23], v[13:14], v[19:20]
	v_fma_f64 v[13:14], -v[17:18], v[22:23], v[13:14]
	v_fma_f64 v[13:14], v[13:14], v[19:20], v[22:23]
	v_cndmask_b32_e64 v14, v14, 0, vcc
	v_cndmask_b32_e64 v13, v13, 0, vcc
	v_add_f64 v[17:18], v[9:10], v[13:14]
	v_cmp_neq_f64_e64 vcc, |v[1:2]|, 1.0
	v_mov_b32_e32 v1, 0x54442d18
	v_add_f64 v[9:10], v[17:18], -v[9:10]
	v_mul_f64 v[19:20], v[15:16], v[17:18]
	v_add_f64 v[9:10], v[13:14], -v[9:10]
	v_fma_f64 v[13:14], v[17:18], v[15:16], -v[19:20]
	v_fma_f64 v[13:14], v[9:10], v[15:16], v[13:14]
	v_add_f64 v[15:16], v[19:20], v[13:14]
	v_add_f64 v[22:23], v[17:18], v[15:16]
	v_add_f64 v[19:20], v[15:16], -v[19:20]
	v_add_f64 v[17:18], v[22:23], -v[17:18]
	;; [unrolled: 1-line block ×4, first 2 shown]
	v_add_f64 v[9:10], v[9:10], v[13:14]
	v_add_f64 v[9:10], v[9:10], v[15:16]
	;; [unrolled: 1-line block ×3, first 2 shown]
	v_add_f64 v[15:16], -v[13:14], s[34:35]
	v_add_f64 v[19:20], v[13:14], -v[22:23]
	v_add_f64 v[17:18], -v[15:16], s[34:35]
	s_mov_b32 s34, 0x33145c07
	s_mov_b32 s35, 0x3c81a626
	v_add_f64 v[9:10], v[19:20], -v[9:10]
	v_add_f64 v[13:14], v[17:18], -v[13:14]
	v_add_f64 v[13:14], v[13:14], s[34:35]
	v_add_f64 v[9:10], v[9:10], v[13:14]
	v_mov_b32_e32 v13, 0x3ff921fb
	v_add_f64 v[9:10], v[15:16], v[9:10]
	v_add_f64 v[9:10], v[9:10], v[9:10]
	v_cndmask_b32_e32 v10, v13, v10, vcc
	v_cndmask_b32_e32 v9, v1, v9, vcc
.LBB36_3:
	s_or_b64 exec, exec, s[30:31]
	v_fma_f64 v[15:16], |v[3:4]|, -0.5, 0.5
	v_mul_f64 v[13:14], v[3:4], v[3:4]
	v_cmp_ge_f64_e64 vcc, |v[3:4]|, 0.5
	v_cndmask_b32_e32 v14, v14, v16, vcc
	v_cndmask_b32_e32 v13, v13, v15, vcc
	v_fma_f64 v[11:12], v[13:14], s[4:5], v[11:12]
	v_fma_f64 v[11:12], v[13:14], v[11:12], s[6:7]
	;; [unrolled: 1-line block ×11, first 2 shown]
	v_mul_f64 v[13:14], v[13:14], v[11:12]
	v_fma_f64 v[11:12], |v[3:4]|, v[13:14], |v[3:4]|
	s_and_saveexec_b64 s[4:5], vcc
	s_cbranch_execz .LBB36_5
; %bb.4:
	v_rsq_f64_e32 v[11:12], v[15:16]
	v_cmp_eq_f64_e32 vcc, 0, v[15:16]
	s_mov_b32 s6, 0x54442d18
	s_mov_b32 s7, 0x3fe921fb
	v_mov_b32_e32 v1, 0x3ff921fb
	v_mul_f64 v[17:18], v[15:16], v[11:12]
	v_mul_f64 v[11:12], v[11:12], 0.5
	v_fma_f64 v[19:20], -v[11:12], v[17:18], 0.5
	v_fma_f64 v[17:18], v[17:18], v[19:20], v[17:18]
	v_fma_f64 v[11:12], v[11:12], v[19:20], v[11:12]
	v_fma_f64 v[19:20], -v[17:18], v[17:18], v[15:16]
	v_fma_f64 v[11:12], v[19:20], v[11:12], v[17:18]
	v_cndmask_b32_e32 v12, v12, v16, vcc
	v_cndmask_b32_e32 v11, v11, v15, vcc
	v_add_f64 v[17:18], v[11:12], v[11:12]
	v_mul_f64 v[19:20], v[11:12], v[11:12]
	v_rcp_f64_e32 v[22:23], v[17:18]
	v_add_f64 v[24:25], v[15:16], -v[19:20]
	v_fma_f64 v[28:29], v[11:12], v[11:12], -v[19:20]
	v_add_f64 v[15:16], v[15:16], -v[24:25]
	v_fma_f64 v[26:27], -v[17:18], v[22:23], 1.0
	v_add_f64 v[15:16], v[15:16], -v[19:20]
	v_fma_f64 v[19:20], v[26:27], v[22:23], v[22:23]
	v_add_f64 v[15:16], v[15:16], -v[28:29]
	v_fma_f64 v[22:23], -v[17:18], v[19:20], 1.0
	v_add_f64 v[15:16], v[24:25], v[15:16]
	v_fma_f64 v[19:20], v[22:23], v[19:20], v[19:20]
	v_mul_f64 v[22:23], v[15:16], v[19:20]
	v_fma_f64 v[15:16], -v[17:18], v[22:23], v[15:16]
	v_fma_f64 v[15:16], v[15:16], v[19:20], v[22:23]
	v_cndmask_b32_e64 v16, v16, 0, vcc
	v_cndmask_b32_e64 v15, v15, 0, vcc
	v_add_f64 v[17:18], v[11:12], v[15:16]
	v_cmp_neq_f64_e64 vcc, |v[3:4]|, 1.0
	v_mov_b32_e32 v3, 0x54442d18
	v_add_f64 v[11:12], v[17:18], -v[11:12]
	v_mul_f64 v[19:20], v[13:14], v[17:18]
	v_add_f64 v[11:12], v[15:16], -v[11:12]
	v_fma_f64 v[15:16], v[17:18], v[13:14], -v[19:20]
	v_fma_f64 v[13:14], v[11:12], v[13:14], v[15:16]
	v_add_f64 v[15:16], v[19:20], v[13:14]
	v_add_f64 v[22:23], v[17:18], v[15:16]
	v_add_f64 v[19:20], v[15:16], -v[19:20]
	v_add_f64 v[17:18], v[22:23], -v[17:18]
	;; [unrolled: 1-line block ×4, first 2 shown]
	v_add_f64 v[11:12], v[11:12], v[13:14]
	v_add_f64 v[11:12], v[11:12], v[15:16]
	;; [unrolled: 1-line block ×3, first 2 shown]
	v_add_f64 v[15:16], -v[13:14], s[6:7]
	v_add_f64 v[19:20], v[13:14], -v[22:23]
	v_add_f64 v[17:18], -v[15:16], s[6:7]
	s_mov_b32 s6, 0x33145c07
	s_mov_b32 s7, 0x3c81a626
	v_add_f64 v[11:12], v[19:20], -v[11:12]
	v_add_f64 v[13:14], v[17:18], -v[13:14]
	v_add_f64 v[13:14], v[13:14], s[6:7]
	v_add_f64 v[11:12], v[11:12], v[13:14]
	v_add_f64 v[11:12], v[15:16], v[11:12]
	v_add_f64 v[11:12], v[11:12], v[11:12]
	v_cndmask_b32_e32 v12, v1, v12, vcc
	v_cndmask_b32_e32 v11, v3, v11, vcc
.LBB36_5:
	s_or_b64 exec, exec, s[4:5]
	s_waitcnt vmcnt(0)
	v_fma_f64 v[17:18], |v[5:6]|, -0.5, 0.5
	v_mul_f64 v[13:14], v[5:6], v[5:6]
	v_cmp_ge_f64_e64 vcc, |v[5:6]|, 0.5
	s_mov_b32 s4, 0x9fea6a70
	v_mov_b32_e32 v15, 0x78a05eaf
	v_mov_b32_e32 v16, 0xbf90a5a3
	s_mov_b32 s5, 0x3fa05985
	s_mov_b32 s6, 0x37024d6a
	;; [unrolled: 1-line block ×3, first 2 shown]
	v_cndmask_b32_e32 v14, v14, v18, vcc
	v_cndmask_b32_e32 v13, v13, v17, vcc
	v_fma_f64 v[19:20], v[13:14], s[4:5], v[15:16]
	v_fma_f64 v[19:20], v[13:14], v[19:20], s[6:7]
	;; [unrolled: 1-line block ×11, first 2 shown]
	v_mul_f64 v[19:20], v[13:14], v[19:20]
	v_fma_f64 v[13:14], |v[5:6]|, v[19:20], |v[5:6]|
	s_and_saveexec_b64 s[30:31], vcc
	s_cbranch_execz .LBB36_7
; %bb.6:
	v_rsq_f64_e32 v[13:14], v[17:18]
	v_cmp_eq_f64_e32 vcc, 0, v[17:18]
	s_mov_b32 s34, 0x54442d18
	s_mov_b32 s35, 0x3fe921fb
	v_mov_b32_e32 v1, 0x3ff921fb
	v_mov_b32_e32 v3, 0x54442d18
	v_mul_f64 v[22:23], v[17:18], v[13:14]
	v_mul_f64 v[13:14], v[13:14], 0.5
	v_fma_f64 v[24:25], -v[13:14], v[22:23], 0.5
	v_fma_f64 v[22:23], v[22:23], v[24:25], v[22:23]
	v_fma_f64 v[13:14], v[13:14], v[24:25], v[13:14]
	v_fma_f64 v[24:25], -v[22:23], v[22:23], v[17:18]
	v_fma_f64 v[13:14], v[24:25], v[13:14], v[22:23]
	v_cndmask_b32_e32 v14, v14, v18, vcc
	v_cndmask_b32_e32 v13, v13, v17, vcc
	v_add_f64 v[22:23], v[13:14], v[13:14]
	v_mul_f64 v[24:25], v[13:14], v[13:14]
	v_rcp_f64_e32 v[26:27], v[22:23]
	v_add_f64 v[28:29], v[17:18], -v[24:25]
	v_fma_f64 v[32:33], v[13:14], v[13:14], -v[24:25]
	v_add_f64 v[17:18], v[17:18], -v[28:29]
	v_fma_f64 v[30:31], -v[22:23], v[26:27], 1.0
	v_add_f64 v[17:18], v[17:18], -v[24:25]
	v_fma_f64 v[24:25], v[30:31], v[26:27], v[26:27]
	v_add_f64 v[17:18], v[17:18], -v[32:33]
	v_fma_f64 v[26:27], -v[22:23], v[24:25], 1.0
	v_add_f64 v[17:18], v[28:29], v[17:18]
	v_fma_f64 v[24:25], v[26:27], v[24:25], v[24:25]
	v_mul_f64 v[26:27], v[17:18], v[24:25]
	v_fma_f64 v[17:18], -v[22:23], v[26:27], v[17:18]
	v_fma_f64 v[17:18], v[17:18], v[24:25], v[26:27]
	v_cndmask_b32_e64 v18, v18, 0, vcc
	v_cndmask_b32_e64 v17, v17, 0, vcc
	v_add_f64 v[22:23], v[13:14], v[17:18]
	v_cmp_neq_f64_e64 vcc, |v[5:6]|, 1.0
	v_add_f64 v[13:14], v[22:23], -v[13:14]
	v_mul_f64 v[24:25], v[19:20], v[22:23]
	v_add_f64 v[13:14], v[17:18], -v[13:14]
	v_fma_f64 v[17:18], v[22:23], v[19:20], -v[24:25]
	v_fma_f64 v[17:18], v[13:14], v[19:20], v[17:18]
	v_add_f64 v[19:20], v[24:25], v[17:18]
	v_add_f64 v[26:27], v[22:23], v[19:20]
	v_add_f64 v[24:25], v[19:20], -v[24:25]
	v_add_f64 v[22:23], v[26:27], -v[22:23]
	;; [unrolled: 1-line block ×4, first 2 shown]
	v_add_f64 v[13:14], v[13:14], v[17:18]
	v_add_f64 v[13:14], v[13:14], v[19:20]
	;; [unrolled: 1-line block ×3, first 2 shown]
	v_add_f64 v[19:20], -v[17:18], s[34:35]
	v_add_f64 v[24:25], v[17:18], -v[26:27]
	v_add_f64 v[22:23], -v[19:20], s[34:35]
	s_mov_b32 s34, 0x33145c07
	s_mov_b32 s35, 0x3c81a626
	v_add_f64 v[13:14], v[24:25], -v[13:14]
	v_add_f64 v[17:18], v[22:23], -v[17:18]
	v_add_f64 v[17:18], v[17:18], s[34:35]
	v_add_f64 v[13:14], v[13:14], v[17:18]
	;; [unrolled: 1-line block ×4, first 2 shown]
	v_cndmask_b32_e32 v14, v1, v14, vcc
	v_cndmask_b32_e32 v13, v3, v13, vcc
.LBB36_7:
	s_or_b64 exec, exec, s[30:31]
	v_fma_f64 v[19:20], |v[7:8]|, -0.5, 0.5
	v_mul_f64 v[17:18], v[7:8], v[7:8]
	v_cmp_ge_f64_e64 vcc, |v[7:8]|, 0.5
	v_cndmask_b32_e32 v18, v18, v20, vcc
	v_cndmask_b32_e32 v17, v17, v19, vcc
	v_fma_f64 v[15:16], v[17:18], s[4:5], v[15:16]
	v_fma_f64 v[15:16], v[17:18], v[15:16], s[6:7]
	;; [unrolled: 1-line block ×11, first 2 shown]
	v_mul_f64 v[17:18], v[17:18], v[15:16]
	v_fma_f64 v[15:16], |v[7:8]|, v[17:18], |v[7:8]|
	s_and_saveexec_b64 s[4:5], vcc
	s_cbranch_execz .LBB36_9
; %bb.8:
	v_rsq_f64_e32 v[15:16], v[19:20]
	v_cmp_eq_f64_e32 vcc, 0, v[19:20]
	s_mov_b32 s6, 0x54442d18
	s_mov_b32 s7, 0x3fe921fb
	v_mov_b32_e32 v1, 0x3ff921fb
	v_mov_b32_e32 v3, 0x54442d18
	v_mul_f64 v[22:23], v[19:20], v[15:16]
	v_mul_f64 v[15:16], v[15:16], 0.5
	v_fma_f64 v[24:25], -v[15:16], v[22:23], 0.5
	v_fma_f64 v[22:23], v[22:23], v[24:25], v[22:23]
	v_fma_f64 v[15:16], v[15:16], v[24:25], v[15:16]
	v_fma_f64 v[24:25], -v[22:23], v[22:23], v[19:20]
	v_fma_f64 v[15:16], v[24:25], v[15:16], v[22:23]
	v_cndmask_b32_e32 v16, v16, v20, vcc
	v_cndmask_b32_e32 v15, v15, v19, vcc
	v_add_f64 v[22:23], v[15:16], v[15:16]
	v_mul_f64 v[24:25], v[15:16], v[15:16]
	v_rcp_f64_e32 v[26:27], v[22:23]
	v_add_f64 v[28:29], v[19:20], -v[24:25]
	v_fma_f64 v[32:33], v[15:16], v[15:16], -v[24:25]
	v_add_f64 v[19:20], v[19:20], -v[28:29]
	v_fma_f64 v[30:31], -v[22:23], v[26:27], 1.0
	v_add_f64 v[19:20], v[19:20], -v[24:25]
	v_fma_f64 v[24:25], v[30:31], v[26:27], v[26:27]
	v_add_f64 v[19:20], v[19:20], -v[32:33]
	v_fma_f64 v[26:27], -v[22:23], v[24:25], 1.0
	v_add_f64 v[19:20], v[28:29], v[19:20]
	v_fma_f64 v[24:25], v[26:27], v[24:25], v[24:25]
	v_mul_f64 v[26:27], v[19:20], v[24:25]
	v_fma_f64 v[19:20], -v[22:23], v[26:27], v[19:20]
	v_fma_f64 v[19:20], v[19:20], v[24:25], v[26:27]
	v_cndmask_b32_e64 v20, v20, 0, vcc
	v_cndmask_b32_e64 v19, v19, 0, vcc
	v_add_f64 v[22:23], v[15:16], v[19:20]
	v_cmp_neq_f64_e64 vcc, |v[7:8]|, 1.0
	v_add_f64 v[15:16], v[22:23], -v[15:16]
	v_mul_f64 v[24:25], v[17:18], v[22:23]
	v_add_f64 v[15:16], v[19:20], -v[15:16]
	v_fma_f64 v[19:20], v[22:23], v[17:18], -v[24:25]
	v_fma_f64 v[17:18], v[15:16], v[17:18], v[19:20]
	v_add_f64 v[19:20], v[24:25], v[17:18]
	v_add_f64 v[26:27], v[22:23], v[19:20]
	v_add_f64 v[24:25], v[19:20], -v[24:25]
	v_add_f64 v[22:23], v[26:27], -v[22:23]
	;; [unrolled: 1-line block ×4, first 2 shown]
	v_add_f64 v[15:16], v[15:16], v[17:18]
	v_add_f64 v[15:16], v[15:16], v[19:20]
	;; [unrolled: 1-line block ×3, first 2 shown]
	v_add_f64 v[19:20], -v[17:18], s[6:7]
	v_add_f64 v[24:25], v[17:18], -v[26:27]
	v_add_f64 v[22:23], -v[19:20], s[6:7]
	s_mov_b32 s6, 0x33145c07
	s_mov_b32 s7, 0x3c81a626
	v_add_f64 v[15:16], v[24:25], -v[15:16]
	v_add_f64 v[17:18], v[22:23], -v[17:18]
	v_add_f64 v[17:18], v[17:18], s[6:7]
	v_add_f64 v[15:16], v[15:16], v[17:18]
	;; [unrolled: 1-line block ×4, first 2 shown]
	v_cndmask_b32_e32 v16, v1, v16, vcc
	v_cndmask_b32_e32 v15, v3, v15, vcc
.LBB36_9:
	s_or_b64 exec, exec, s[4:5]
	s_add_u32 s0, s8, s0
	s_brev_b32 s3, -2
	s_addc_u32 s1, s9, s1
	v_bfi_b32 v10, s3, v10, v2
	v_mov_b32_e32 v1, s1
	v_add_co_u32_e32 v2, vcc, s0, v21
	v_addc_co_u32_e32 v3, vcc, 0, v1, vcc
	v_bfi_b32 v12, s3, v12, v4
	v_add_co_u32_e32 v1, vcc, 0x1000, v2
	v_bfi_b32 v14, s3, v14, v6
	v_bfi_b32 v16, s3, v16, v8
	global_store_dwordx4 v21, v[9:12], s[0:1]
	v_addc_co_u32_e32 v2, vcc, 0, v3, vcc
	s_mov_b64 s[0:1], 0
	global_store_dwordx4 v[1:2], v[13:16], off
.LBB36_10:
	s_and_b64 vcc, exec, s[0:1]
	s_cbranch_vccz .LBB36_37
; %bb.11:
	v_mov_b32_e32 v14, 0
	v_mov_b32_e32 v16, 0
	v_cmp_gt_i32_e32 vcc, s33, v0
	v_mov_b32_e32 v15, 0
	v_or_b32_e32 v1, s2, v0
	v_mov_b32_e32 v17, 0
	v_mov_b32_e32 v4, v0
	s_and_saveexec_b64 s[4:5], vcc
	s_cbranch_execz .LBB36_13
; %bb.12:
	v_mov_b32_e32 v2, 0
	v_lshlrev_b64 v[2:3], 3, v[1:2]
	v_mov_b32_e32 v4, s11
	v_add_co_u32_e64 v2, s[0:1], s10, v2
	v_addc_co_u32_e64 v3, s[0:1], v4, v3, s[0:1]
	global_load_dwordx2 v[16:17], v[2:3], off
	v_or_b32_e32 v4, 0x100, v0
.LBB36_13:
	s_or_b64 exec, exec, s[4:5]
	v_cmp_gt_i32_e64 s[0:1], s33, v4
	s_and_saveexec_b64 s[4:5], s[0:1]
	s_cbranch_execz .LBB36_15
; %bb.14:
	v_add_u32_e32 v2, s2, v4
	v_mov_b32_e32 v3, 0
	v_lshlrev_b64 v[2:3], 3, v[2:3]
	v_mov_b32_e32 v5, s11
	v_add_co_u32_e64 v2, s[0:1], s10, v2
	v_addc_co_u32_e64 v3, s[0:1], v5, v3, s[0:1]
	global_load_dwordx2 v[14:15], v[2:3], off
	v_add_u32_e32 v4, 0x100, v4
.LBB36_15:
	s_or_b64 exec, exec, s[4:5]
	v_mov_b32_e32 v2, 0
	v_mov_b32_e32 v6, 0
	;; [unrolled: 1-line block ×4, first 2 shown]
	v_cmp_gt_i32_e64 s[0:1], s33, v4
	s_and_saveexec_b64 s[4:5], s[0:1]
	s_cbranch_execz .LBB36_17
; %bb.16:
	v_add_u32_e32 v5, s2, v4
	v_mov_b32_e32 v6, 0
	v_lshlrev_b64 v[5:6], 3, v[5:6]
	v_mov_b32_e32 v7, s11
	v_add_co_u32_e64 v5, s[0:1], s10, v5
	v_addc_co_u32_e64 v6, s[0:1], v7, v6, s[0:1]
	global_load_dwordx2 v[6:7], v[5:6], off
	v_add_u32_e32 v4, 0x100, v4
.LBB36_17:
	s_or_b64 exec, exec, s[4:5]
	v_cmp_gt_i32_e64 s[0:1], s33, v4
	s_and_saveexec_b64 s[4:5], s[0:1]
	s_cbranch_execz .LBB36_19
; %bb.18:
	v_add_u32_e32 v2, s2, v4
	v_mov_b32_e32 v3, 0
	v_lshlrev_b64 v[2:3], 3, v[2:3]
	v_mov_b32_e32 v4, s11
	v_add_co_u32_e64 v2, s[0:1], s10, v2
	v_addc_co_u32_e64 v3, s[0:1], v4, v3, s[0:1]
	global_load_dwordx2 v[2:3], v[2:3], off
.LBB36_19:
	s_or_b64 exec, exec, s[4:5]
	v_mov_b32_e32 v4, 0
	v_mov_b32_e32 v5, v4
	;; [unrolled: 1-line block ×8, first 2 shown]
	s_and_saveexec_b64 s[4:5], vcc
	s_cbranch_execz .LBB36_23
; %bb.20:
	s_waitcnt vmcnt(0)
	v_fma_f64 v[8:9], |v[16:17]|, -0.5, 0.5
	v_mul_f64 v[4:5], v[16:17], v[16:17]
	v_cmp_ge_f64_e64 s[0:1], |v[16:17]|, 0.5
	s_mov_b32 s6, 0x9fea6a70
	v_mov_b32_e32 v10, 0x78a05eaf
	v_mov_b32_e32 v11, 0xbf90a5a3
	s_mov_b32 s7, 0x3fa05985
	v_cndmask_b32_e64 v5, v5, v9, s[0:1]
	v_cndmask_b32_e64 v4, v4, v8, s[0:1]
	v_fma_f64 v[10:11], v[4:5], s[6:7], v[10:11]
	s_mov_b32 s6, 0x37024d6a
	s_mov_b32 s7, 0x3f940521
	v_fma_f64 v[10:11], v[4:5], v[10:11], s[6:7]
	s_mov_b32 s6, 0x98a70509
	s_mov_b32 s7, 0x3f7ab3a0
	;; [unrolled: 3-line block ×10, first 2 shown]
	v_fma_f64 v[10:11], v[4:5], v[10:11], s[6:7]
	v_mul_f64 v[10:11], v[4:5], v[10:11]
	v_fma_f64 v[4:5], |v[16:17]|, v[10:11], |v[16:17]|
	s_and_saveexec_b64 s[6:7], s[0:1]
	s_cbranch_execz .LBB36_22
; %bb.21:
	v_rsq_f64_e32 v[4:5], v[8:9]
	v_cmp_eq_f64_e64 s[0:1], 0, v[8:9]
	v_mul_f64 v[12:13], v[8:9], v[4:5]
	v_mul_f64 v[4:5], v[4:5], 0.5
	v_fma_f64 v[18:19], -v[4:5], v[12:13], 0.5
	v_fma_f64 v[12:13], v[12:13], v[18:19], v[12:13]
	v_fma_f64 v[4:5], v[4:5], v[18:19], v[4:5]
	v_fma_f64 v[18:19], -v[12:13], v[12:13], v[8:9]
	v_fma_f64 v[4:5], v[18:19], v[4:5], v[12:13]
	v_cndmask_b32_e64 v5, v5, v9, s[0:1]
	v_cndmask_b32_e64 v4, v4, v8, s[0:1]
	v_add_f64 v[12:13], v[4:5], v[4:5]
	v_mul_f64 v[18:19], v[4:5], v[4:5]
	v_rcp_f64_e32 v[20:21], v[12:13]
	v_add_f64 v[22:23], v[8:9], -v[18:19]
	v_fma_f64 v[26:27], v[4:5], v[4:5], -v[18:19]
	v_add_f64 v[8:9], v[8:9], -v[22:23]
	v_fma_f64 v[24:25], -v[12:13], v[20:21], 1.0
	v_add_f64 v[8:9], v[8:9], -v[18:19]
	v_fma_f64 v[18:19], v[24:25], v[20:21], v[20:21]
	v_add_f64 v[8:9], v[8:9], -v[26:27]
	v_fma_f64 v[20:21], -v[12:13], v[18:19], 1.0
	v_add_f64 v[8:9], v[22:23], v[8:9]
	v_fma_f64 v[18:19], v[20:21], v[18:19], v[18:19]
	v_mul_f64 v[20:21], v[8:9], v[18:19]
	v_fma_f64 v[8:9], -v[12:13], v[20:21], v[8:9]
	v_fma_f64 v[8:9], v[8:9], v[18:19], v[20:21]
	v_cndmask_b32_e64 v9, v9, 0, s[0:1]
	v_cndmask_b32_e64 v8, v8, 0, s[0:1]
	v_add_f64 v[12:13], v[4:5], v[8:9]
	s_mov_b32 s0, 0x54442d18
	s_mov_b32 s1, 0x3fe921fb
	v_add_f64 v[4:5], v[12:13], -v[4:5]
	v_mul_f64 v[18:19], v[10:11], v[12:13]
	v_add_f64 v[4:5], v[8:9], -v[4:5]
	v_fma_f64 v[8:9], v[12:13], v[10:11], -v[18:19]
	v_fma_f64 v[8:9], v[4:5], v[10:11], v[8:9]
	v_add_f64 v[10:11], v[18:19], v[8:9]
	v_add_f64 v[20:21], v[12:13], v[10:11]
	v_add_f64 v[18:19], v[10:11], -v[18:19]
	v_add_f64 v[12:13], v[20:21], -v[12:13]
	;; [unrolled: 1-line block ×4, first 2 shown]
	v_add_f64 v[4:5], v[4:5], v[8:9]
	v_add_f64 v[4:5], v[4:5], v[10:11]
	;; [unrolled: 1-line block ×3, first 2 shown]
	v_add_f64 v[10:11], -v[8:9], s[0:1]
	v_add_f64 v[18:19], v[8:9], -v[20:21]
	v_add_f64 v[12:13], -v[10:11], s[0:1]
	s_mov_b32 s0, 0x33145c07
	s_mov_b32 s1, 0x3c81a626
	v_add_f64 v[4:5], v[18:19], -v[4:5]
	v_add_f64 v[8:9], v[12:13], -v[8:9]
	v_add_f64 v[8:9], v[8:9], s[0:1]
	v_cmp_neq_f64_e64 s[0:1], |v[16:17]|, 1.0
	v_add_f64 v[4:5], v[4:5], v[8:9]
	v_mov_b32_e32 v8, 0x3ff921fb
	v_mov_b32_e32 v9, 0x54442d18
	v_add_f64 v[4:5], v[10:11], v[4:5]
	v_add_f64 v[4:5], v[4:5], v[4:5]
	v_cndmask_b32_e64 v5, v8, v5, s[0:1]
	v_cndmask_b32_e64 v4, v9, v4, s[0:1]
.LBB36_22:
	s_or_b64 exec, exec, s[6:7]
	s_brev_b32 s0, -2
	v_mov_b32_e32 v12, 0
	v_bfi_b32 v5, s0, v5, v17
	v_mov_b32_e32 v13, v12
	v_mov_b32_e32 v10, v12
	;; [unrolled: 1-line block ×5, first 2 shown]
.LBB36_23:
	s_or_b64 exec, exec, s[4:5]
	v_or_b32_e32 v20, 0x100, v0
	v_cmp_gt_i32_e64 s[0:1], s33, v20
	s_and_saveexec_b64 s[4:5], s[0:1]
	s_cbranch_execz .LBB36_27
; %bb.24:
	s_waitcnt vmcnt(0)
	v_fma_f64 v[16:17], |v[14:15]|, -0.5, 0.5
	v_mul_f64 v[12:13], v[14:15], v[14:15]
	v_cmp_ge_f64_e64 s[0:1], |v[14:15]|, 0.5
	s_mov_b32 s6, 0x9fea6a70
	v_mov_b32_e32 v18, 0x78a05eaf
	v_mov_b32_e32 v19, 0xbf90a5a3
	s_mov_b32 s7, 0x3fa05985
	v_cndmask_b32_e64 v13, v13, v17, s[0:1]
	v_cndmask_b32_e64 v12, v12, v16, s[0:1]
	v_fma_f64 v[18:19], v[12:13], s[6:7], v[18:19]
	s_mov_b32 s6, 0x37024d6a
	s_mov_b32 s7, 0x3f940521
	v_fma_f64 v[18:19], v[12:13], v[18:19], s[6:7]
	s_mov_b32 s6, 0x98a70509
	s_mov_b32 s7, 0x3f7ab3a0
	;; [unrolled: 3-line block ×10, first 2 shown]
	v_fma_f64 v[18:19], v[12:13], v[18:19], s[6:7]
	v_mul_f64 v[18:19], v[12:13], v[18:19]
	v_fma_f64 v[12:13], |v[14:15]|, v[18:19], |v[14:15]|
	s_and_saveexec_b64 s[6:7], s[0:1]
	s_cbranch_execz .LBB36_26
; %bb.25:
	v_rsq_f64_e32 v[12:13], v[16:17]
	v_cmp_eq_f64_e64 s[0:1], 0, v[16:17]
	v_mul_f64 v[21:22], v[16:17], v[12:13]
	v_mul_f64 v[12:13], v[12:13], 0.5
	v_fma_f64 v[23:24], -v[12:13], v[21:22], 0.5
	v_fma_f64 v[21:22], v[21:22], v[23:24], v[21:22]
	v_fma_f64 v[12:13], v[12:13], v[23:24], v[12:13]
	v_fma_f64 v[23:24], -v[21:22], v[21:22], v[16:17]
	v_fma_f64 v[12:13], v[23:24], v[12:13], v[21:22]
	v_cndmask_b32_e64 v13, v13, v17, s[0:1]
	v_cndmask_b32_e64 v12, v12, v16, s[0:1]
	v_add_f64 v[21:22], v[12:13], v[12:13]
	v_mul_f64 v[23:24], v[12:13], v[12:13]
	v_rcp_f64_e32 v[25:26], v[21:22]
	v_add_f64 v[27:28], v[16:17], -v[23:24]
	v_fma_f64 v[31:32], v[12:13], v[12:13], -v[23:24]
	v_add_f64 v[16:17], v[16:17], -v[27:28]
	v_fma_f64 v[29:30], -v[21:22], v[25:26], 1.0
	v_add_f64 v[16:17], v[16:17], -v[23:24]
	v_fma_f64 v[23:24], v[29:30], v[25:26], v[25:26]
	v_add_f64 v[16:17], v[16:17], -v[31:32]
	v_fma_f64 v[25:26], -v[21:22], v[23:24], 1.0
	v_add_f64 v[16:17], v[27:28], v[16:17]
	v_fma_f64 v[23:24], v[25:26], v[23:24], v[23:24]
	v_mul_f64 v[25:26], v[16:17], v[23:24]
	v_fma_f64 v[16:17], -v[21:22], v[25:26], v[16:17]
	v_fma_f64 v[16:17], v[16:17], v[23:24], v[25:26]
	v_cndmask_b32_e64 v17, v17, 0, s[0:1]
	v_cndmask_b32_e64 v16, v16, 0, s[0:1]
	v_add_f64 v[21:22], v[12:13], v[16:17]
	s_mov_b32 s0, 0x54442d18
	s_mov_b32 s1, 0x3fe921fb
	v_add_f64 v[12:13], v[21:22], -v[12:13]
	v_mul_f64 v[23:24], v[18:19], v[21:22]
	v_add_f64 v[12:13], v[16:17], -v[12:13]
	v_fma_f64 v[16:17], v[21:22], v[18:19], -v[23:24]
	v_fma_f64 v[16:17], v[12:13], v[18:19], v[16:17]
	v_add_f64 v[18:19], v[23:24], v[16:17]
	v_add_f64 v[25:26], v[21:22], v[18:19]
	v_add_f64 v[23:24], v[18:19], -v[23:24]
	v_add_f64 v[21:22], v[25:26], -v[21:22]
	;; [unrolled: 1-line block ×4, first 2 shown]
	v_add_f64 v[12:13], v[12:13], v[16:17]
	v_add_f64 v[12:13], v[12:13], v[18:19]
	;; [unrolled: 1-line block ×3, first 2 shown]
	v_add_f64 v[18:19], -v[16:17], s[0:1]
	v_add_f64 v[23:24], v[16:17], -v[25:26]
	v_add_f64 v[21:22], -v[18:19], s[0:1]
	s_mov_b32 s0, 0x33145c07
	s_mov_b32 s1, 0x3c81a626
	v_add_f64 v[12:13], v[23:24], -v[12:13]
	v_add_f64 v[16:17], v[21:22], -v[16:17]
	v_add_f64 v[16:17], v[16:17], s[0:1]
	v_cmp_neq_f64_e64 s[0:1], |v[14:15]|, 1.0
	v_mov_b32_e32 v14, 0x54442d18
	v_add_f64 v[12:13], v[12:13], v[16:17]
	v_mov_b32_e32 v16, 0x3ff921fb
	v_add_f64 v[12:13], v[18:19], v[12:13]
	v_add_f64 v[12:13], v[12:13], v[12:13]
	v_cndmask_b32_e64 v13, v16, v13, s[0:1]
	v_cndmask_b32_e64 v12, v14, v12, s[0:1]
.LBB36_26:
	s_or_b64 exec, exec, s[6:7]
	s_brev_b32 s0, -2
	v_bfi_b32 v13, s0, v13, v15
.LBB36_27:
	s_or_b64 exec, exec, s[4:5]
	s_waitcnt vmcnt(0)
	v_or_b32_e32 v14, 0x200, v0
	v_cmp_gt_i32_e64 s[0:1], s33, v14
	s_and_saveexec_b64 s[4:5], s[0:1]
	s_cbranch_execz .LBB36_31
; %bb.28:
	v_fma_f64 v[14:15], |v[6:7]|, -0.5, 0.5
	v_mul_f64 v[10:11], v[6:7], v[6:7]
	v_cmp_ge_f64_e64 s[0:1], |v[6:7]|, 0.5
	s_mov_b32 s6, 0x9fea6a70
	v_mov_b32_e32 v16, 0x78a05eaf
	v_mov_b32_e32 v17, 0xbf90a5a3
	s_mov_b32 s7, 0x3fa05985
	v_cndmask_b32_e64 v11, v11, v15, s[0:1]
	v_cndmask_b32_e64 v10, v10, v14, s[0:1]
	v_fma_f64 v[16:17], v[10:11], s[6:7], v[16:17]
	s_mov_b32 s6, 0x37024d6a
	s_mov_b32 s7, 0x3f940521
	v_fma_f64 v[16:17], v[10:11], v[16:17], s[6:7]
	s_mov_b32 s6, 0x98a70509
	s_mov_b32 s7, 0x3f7ab3a0
	;; [unrolled: 3-line block ×10, first 2 shown]
	v_fma_f64 v[16:17], v[10:11], v[16:17], s[6:7]
	v_mul_f64 v[16:17], v[10:11], v[16:17]
	v_fma_f64 v[10:11], |v[6:7]|, v[16:17], |v[6:7]|
	s_and_saveexec_b64 s[6:7], s[0:1]
	s_cbranch_execz .LBB36_30
; %bb.29:
	v_rsq_f64_e32 v[10:11], v[14:15]
	v_cmp_eq_f64_e64 s[0:1], 0, v[14:15]
	v_mul_f64 v[18:19], v[14:15], v[10:11]
	v_mul_f64 v[10:11], v[10:11], 0.5
	v_fma_f64 v[21:22], -v[10:11], v[18:19], 0.5
	v_fma_f64 v[18:19], v[18:19], v[21:22], v[18:19]
	v_fma_f64 v[10:11], v[10:11], v[21:22], v[10:11]
	v_fma_f64 v[21:22], -v[18:19], v[18:19], v[14:15]
	v_fma_f64 v[10:11], v[21:22], v[10:11], v[18:19]
	v_cndmask_b32_e64 v11, v11, v15, s[0:1]
	v_cndmask_b32_e64 v10, v10, v14, s[0:1]
	v_add_f64 v[18:19], v[10:11], v[10:11]
	v_mul_f64 v[21:22], v[10:11], v[10:11]
	v_rcp_f64_e32 v[23:24], v[18:19]
	v_add_f64 v[25:26], v[14:15], -v[21:22]
	v_fma_f64 v[29:30], v[10:11], v[10:11], -v[21:22]
	v_add_f64 v[14:15], v[14:15], -v[25:26]
	v_fma_f64 v[27:28], -v[18:19], v[23:24], 1.0
	v_add_f64 v[14:15], v[14:15], -v[21:22]
	v_fma_f64 v[21:22], v[27:28], v[23:24], v[23:24]
	v_add_f64 v[14:15], v[14:15], -v[29:30]
	v_fma_f64 v[23:24], -v[18:19], v[21:22], 1.0
	v_add_f64 v[14:15], v[25:26], v[14:15]
	v_fma_f64 v[21:22], v[23:24], v[21:22], v[21:22]
	v_mul_f64 v[23:24], v[14:15], v[21:22]
	v_fma_f64 v[14:15], -v[18:19], v[23:24], v[14:15]
	v_fma_f64 v[14:15], v[14:15], v[21:22], v[23:24]
	v_cndmask_b32_e64 v15, v15, 0, s[0:1]
	v_cndmask_b32_e64 v14, v14, 0, s[0:1]
	v_add_f64 v[18:19], v[10:11], v[14:15]
	s_mov_b32 s0, 0x54442d18
	s_mov_b32 s1, 0x3fe921fb
	v_add_f64 v[10:11], v[18:19], -v[10:11]
	v_mul_f64 v[21:22], v[16:17], v[18:19]
	v_add_f64 v[10:11], v[14:15], -v[10:11]
	v_fma_f64 v[14:15], v[18:19], v[16:17], -v[21:22]
	v_fma_f64 v[14:15], v[10:11], v[16:17], v[14:15]
	v_add_f64 v[16:17], v[21:22], v[14:15]
	v_add_f64 v[23:24], v[18:19], v[16:17]
	v_add_f64 v[21:22], v[16:17], -v[21:22]
	v_add_f64 v[18:19], v[23:24], -v[18:19]
	;; [unrolled: 1-line block ×4, first 2 shown]
	v_add_f64 v[10:11], v[10:11], v[14:15]
	v_add_f64 v[10:11], v[10:11], v[16:17]
	;; [unrolled: 1-line block ×3, first 2 shown]
	v_add_f64 v[16:17], -v[14:15], s[0:1]
	v_add_f64 v[21:22], v[14:15], -v[23:24]
	v_add_f64 v[18:19], -v[16:17], s[0:1]
	s_mov_b32 s0, 0x33145c07
	s_mov_b32 s1, 0x3c81a626
	v_add_f64 v[10:11], v[21:22], -v[10:11]
	v_add_f64 v[14:15], v[18:19], -v[14:15]
	v_add_f64 v[14:15], v[14:15], s[0:1]
	v_cmp_neq_f64_e64 s[0:1], |v[6:7]|, 1.0
	v_mov_b32_e32 v6, 0x54442d18
	v_add_f64 v[10:11], v[10:11], v[14:15]
	v_mov_b32_e32 v14, 0x3ff921fb
	v_add_f64 v[10:11], v[16:17], v[10:11]
	v_add_f64 v[10:11], v[10:11], v[10:11]
	v_cndmask_b32_e64 v11, v14, v11, s[0:1]
	v_cndmask_b32_e64 v10, v6, v10, s[0:1]
.LBB36_30:
	s_or_b64 exec, exec, s[6:7]
	s_brev_b32 s0, -2
	v_bfi_b32 v11, s0, v11, v7
.LBB36_31:
	s_or_b64 exec, exec, s[4:5]
	v_or_b32_e32 v6, 0x300, v0
	v_cmp_gt_i32_e64 s[0:1], s33, v6
	s_and_saveexec_b64 s[4:5], s[0:1]
	s_cbranch_execnz .LBB36_38
; %bb.32:
	s_or_b64 exec, exec, s[4:5]
	s_and_saveexec_b64 s[0:1], vcc
	s_xor_b64 s[0:1], exec, s[0:1]
	s_cbranch_execnz .LBB36_41
.LBB36_33:
	s_or_b64 exec, exec, s[0:1]
	v_cmp_gt_i32_e32 vcc, s33, v0
	s_and_saveexec_b64 s[0:1], vcc
	s_cbranch_execnz .LBB36_42
.LBB36_34:
	s_or_b64 exec, exec, s[0:1]
	v_cmp_gt_i32_e32 vcc, s33, v0
	s_and_saveexec_b64 s[0:1], vcc
	s_cbranch_execnz .LBB36_43
.LBB36_35:
	s_or_b64 exec, exec, s[0:1]
	v_cmp_gt_i32_e32 vcc, s33, v0
	s_and_saveexec_b64 s[0:1], vcc
	s_cbranch_execz .LBB36_37
.LBB36_36:
	v_add_u32_e32 v0, s2, v0
	v_mov_b32_e32 v1, 0
	v_lshlrev_b64 v[0:1], 3, v[0:1]
	v_mov_b32_e32 v2, s9
	v_add_co_u32_e32 v0, vcc, s8, v0
	v_addc_co_u32_e32 v1, vcc, v2, v1, vcc
	global_store_dwordx2 v[0:1], v[8:9], off
.LBB36_37:
	s_endpgm
.LBB36_38:
	v_fma_f64 v[6:7], |v[2:3]|, -0.5, 0.5
	v_mul_f64 v[8:9], v[2:3], v[2:3]
	v_cmp_ge_f64_e64 s[0:1], |v[2:3]|, 0.5
	s_mov_b32 s6, 0x9fea6a70
	v_mov_b32_e32 v14, 0x78a05eaf
	v_mov_b32_e32 v15, 0xbf90a5a3
	s_mov_b32 s7, 0x3fa05985
	v_cndmask_b32_e64 v9, v9, v7, s[0:1]
	v_cndmask_b32_e64 v8, v8, v6, s[0:1]
	v_fma_f64 v[14:15], v[8:9], s[6:7], v[14:15]
	s_mov_b32 s6, 0x37024d6a
	s_mov_b32 s7, 0x3f940521
	v_fma_f64 v[14:15], v[8:9], v[14:15], s[6:7]
	s_mov_b32 s6, 0x98a70509
	s_mov_b32 s7, 0x3f7ab3a0
	;; [unrolled: 3-line block ×10, first 2 shown]
	v_fma_f64 v[14:15], v[8:9], v[14:15], s[6:7]
	v_mul_f64 v[14:15], v[8:9], v[14:15]
	v_fma_f64 v[8:9], |v[2:3]|, v[14:15], |v[2:3]|
	s_and_saveexec_b64 s[6:7], s[0:1]
	s_cbranch_execz .LBB36_40
; %bb.39:
	v_rsq_f64_e32 v[8:9], v[6:7]
	v_cmp_eq_f64_e64 s[0:1], 0, v[6:7]
	v_mul_f64 v[16:17], v[6:7], v[8:9]
	v_mul_f64 v[8:9], v[8:9], 0.5
	v_fma_f64 v[18:19], -v[8:9], v[16:17], 0.5
	v_fma_f64 v[16:17], v[16:17], v[18:19], v[16:17]
	v_fma_f64 v[8:9], v[8:9], v[18:19], v[8:9]
	v_fma_f64 v[18:19], -v[16:17], v[16:17], v[6:7]
	v_fma_f64 v[8:9], v[18:19], v[8:9], v[16:17]
	v_cndmask_b32_e64 v9, v9, v7, s[0:1]
	v_cndmask_b32_e64 v8, v8, v6, s[0:1]
	v_add_f64 v[16:17], v[8:9], v[8:9]
	v_mul_f64 v[18:19], v[8:9], v[8:9]
	v_rcp_f64_e32 v[21:22], v[16:17]
	v_add_f64 v[23:24], v[6:7], -v[18:19]
	v_fma_f64 v[27:28], v[8:9], v[8:9], -v[18:19]
	v_add_f64 v[6:7], v[6:7], -v[23:24]
	v_fma_f64 v[25:26], -v[16:17], v[21:22], 1.0
	v_add_f64 v[6:7], v[6:7], -v[18:19]
	v_fma_f64 v[18:19], v[25:26], v[21:22], v[21:22]
	v_add_f64 v[6:7], v[6:7], -v[27:28]
	v_fma_f64 v[21:22], -v[16:17], v[18:19], 1.0
	v_add_f64 v[6:7], v[23:24], v[6:7]
	v_fma_f64 v[18:19], v[21:22], v[18:19], v[18:19]
	v_mul_f64 v[21:22], v[6:7], v[18:19]
	v_fma_f64 v[6:7], -v[16:17], v[21:22], v[6:7]
	v_fma_f64 v[6:7], v[6:7], v[18:19], v[21:22]
	v_cndmask_b32_e64 v7, v7, 0, s[0:1]
	v_cndmask_b32_e64 v6, v6, 0, s[0:1]
	v_add_f64 v[16:17], v[8:9], v[6:7]
	s_mov_b32 s0, 0x54442d18
	s_mov_b32 s1, 0x3fe921fb
	v_add_f64 v[8:9], v[16:17], -v[8:9]
	v_mul_f64 v[18:19], v[14:15], v[16:17]
	v_add_f64 v[6:7], v[6:7], -v[8:9]
	v_fma_f64 v[8:9], v[16:17], v[14:15], -v[18:19]
	v_fma_f64 v[8:9], v[6:7], v[14:15], v[8:9]
	v_add_f64 v[14:15], v[18:19], v[8:9]
	v_add_f64 v[21:22], v[16:17], v[14:15]
	v_add_f64 v[18:19], v[14:15], -v[18:19]
	v_add_f64 v[16:17], v[21:22], -v[16:17]
	;; [unrolled: 1-line block ×4, first 2 shown]
	v_add_f64 v[6:7], v[6:7], v[8:9]
	v_add_f64 v[6:7], v[6:7], v[14:15]
	;; [unrolled: 1-line block ×3, first 2 shown]
	v_add_f64 v[14:15], -v[8:9], s[0:1]
	v_add_f64 v[18:19], v[8:9], -v[21:22]
	v_add_f64 v[16:17], -v[14:15], s[0:1]
	s_mov_b32 s0, 0x33145c07
	s_mov_b32 s1, 0x3c81a626
	v_add_f64 v[6:7], v[18:19], -v[6:7]
	v_add_f64 v[8:9], v[16:17], -v[8:9]
	v_add_f64 v[8:9], v[8:9], s[0:1]
	v_cmp_neq_f64_e64 s[0:1], |v[2:3]|, 1.0
	v_mov_b32_e32 v2, 0x54442d18
	v_add_f64 v[6:7], v[6:7], v[8:9]
	v_mov_b32_e32 v8, 0x3ff921fb
	v_add_f64 v[6:7], v[14:15], v[6:7]
	v_add_f64 v[6:7], v[6:7], v[6:7]
	v_cndmask_b32_e64 v9, v8, v7, s[0:1]
	v_cndmask_b32_e64 v8, v2, v6, s[0:1]
.LBB36_40:
	s_or_b64 exec, exec, s[6:7]
	s_brev_b32 s0, -2
	v_bfi_b32 v9, s0, v9, v3
	s_or_b64 exec, exec, s[4:5]
	s_and_saveexec_b64 s[0:1], vcc
	s_xor_b64 s[0:1], exec, s[0:1]
	s_cbranch_execz .LBB36_33
.LBB36_41:
	v_mov_b32_e32 v2, 0
	v_lshlrev_b64 v[0:1], 3, v[1:2]
	v_mov_b32_e32 v2, s9
	v_add_co_u32_e32 v0, vcc, s8, v0
	v_addc_co_u32_e32 v1, vcc, v2, v1, vcc
	global_store_dwordx2 v[0:1], v[4:5], off
	v_mov_b32_e32 v0, v20
	s_or_b64 exec, exec, s[0:1]
	v_cmp_gt_i32_e32 vcc, s33, v0
	s_and_saveexec_b64 s[0:1], vcc
	s_cbranch_execz .LBB36_34
.LBB36_42:
	v_add_u32_e32 v1, s2, v0
	v_mov_b32_e32 v2, 0
	v_lshlrev_b64 v[1:2], 3, v[1:2]
	v_mov_b32_e32 v3, s9
	v_add_co_u32_e32 v1, vcc, s8, v1
	v_addc_co_u32_e32 v2, vcc, v3, v2, vcc
	v_add_u32_e32 v0, 0x100, v0
	global_store_dwordx2 v[1:2], v[12:13], off
	s_or_b64 exec, exec, s[0:1]
	v_cmp_gt_i32_e32 vcc, s33, v0
	s_and_saveexec_b64 s[0:1], vcc
	s_cbranch_execz .LBB36_35
.LBB36_43:
	v_add_u32_e32 v1, s2, v0
	v_mov_b32_e32 v2, 0
	v_lshlrev_b64 v[1:2], 3, v[1:2]
	v_mov_b32_e32 v3, s9
	v_add_co_u32_e32 v1, vcc, s8, v1
	v_addc_co_u32_e32 v2, vcc, v3, v2, vcc
	v_add_u32_e32 v0, 0x100, v0
	global_store_dwordx2 v[1:2], v[10:11], off
	s_or_b64 exec, exec, s[0:1]
	v_cmp_gt_i32_e32 vcc, s33, v0
	s_and_saveexec_b64 s[0:1], vcc
	s_cbranch_execnz .LBB36_36
	s_branch .LBB36_37
	.section	.rodata,"a",@progbits
	.p2align	6, 0x0
	.amdhsa_kernel _ZN2at6native29vectorized_elementwise_kernelILi2EZZZNS0_16asin_kernel_cudaERNS_18TensorIteratorBaseEENKUlvE0_clEvENKUlvE_clEvEUldE_St5arrayIPcLm2EEEEviT0_T1_
		.amdhsa_group_segment_fixed_size 0
		.amdhsa_private_segment_fixed_size 0
		.amdhsa_kernarg_size 24
		.amdhsa_user_sgpr_count 6
		.amdhsa_user_sgpr_private_segment_buffer 1
		.amdhsa_user_sgpr_dispatch_ptr 0
		.amdhsa_user_sgpr_queue_ptr 0
		.amdhsa_user_sgpr_kernarg_segment_ptr 1
		.amdhsa_user_sgpr_dispatch_id 0
		.amdhsa_user_sgpr_flat_scratch_init 0
		.amdhsa_user_sgpr_private_segment_size 0
		.amdhsa_uses_dynamic_stack 0
		.amdhsa_system_sgpr_private_segment_wavefront_offset 0
		.amdhsa_system_sgpr_workgroup_id_x 1
		.amdhsa_system_sgpr_workgroup_id_y 0
		.amdhsa_system_sgpr_workgroup_id_z 0
		.amdhsa_system_sgpr_workgroup_info 0
		.amdhsa_system_vgpr_workitem_id 0
		.amdhsa_next_free_vgpr 34
		.amdhsa_next_free_sgpr 36
		.amdhsa_reserve_vcc 1
		.amdhsa_reserve_flat_scratch 0
		.amdhsa_float_round_mode_32 0
		.amdhsa_float_round_mode_16_64 0
		.amdhsa_float_denorm_mode_32 3
		.amdhsa_float_denorm_mode_16_64 3
		.amdhsa_dx10_clamp 1
		.amdhsa_ieee_mode 1
		.amdhsa_fp16_overflow 0
		.amdhsa_exception_fp_ieee_invalid_op 0
		.amdhsa_exception_fp_denorm_src 0
		.amdhsa_exception_fp_ieee_div_zero 0
		.amdhsa_exception_fp_ieee_overflow 0
		.amdhsa_exception_fp_ieee_underflow 0
		.amdhsa_exception_fp_ieee_inexact 0
		.amdhsa_exception_int_div_zero 0
	.end_amdhsa_kernel
	.section	.text._ZN2at6native29vectorized_elementwise_kernelILi2EZZZNS0_16asin_kernel_cudaERNS_18TensorIteratorBaseEENKUlvE0_clEvENKUlvE_clEvEUldE_St5arrayIPcLm2EEEEviT0_T1_,"axG",@progbits,_ZN2at6native29vectorized_elementwise_kernelILi2EZZZNS0_16asin_kernel_cudaERNS_18TensorIteratorBaseEENKUlvE0_clEvENKUlvE_clEvEUldE_St5arrayIPcLm2EEEEviT0_T1_,comdat
.Lfunc_end36:
	.size	_ZN2at6native29vectorized_elementwise_kernelILi2EZZZNS0_16asin_kernel_cudaERNS_18TensorIteratorBaseEENKUlvE0_clEvENKUlvE_clEvEUldE_St5arrayIPcLm2EEEEviT0_T1_, .Lfunc_end36-_ZN2at6native29vectorized_elementwise_kernelILi2EZZZNS0_16asin_kernel_cudaERNS_18TensorIteratorBaseEENKUlvE0_clEvENKUlvE_clEvEUldE_St5arrayIPcLm2EEEEviT0_T1_
                                        ; -- End function
	.set _ZN2at6native29vectorized_elementwise_kernelILi2EZZZNS0_16asin_kernel_cudaERNS_18TensorIteratorBaseEENKUlvE0_clEvENKUlvE_clEvEUldE_St5arrayIPcLm2EEEEviT0_T1_.num_vgpr, 34
	.set _ZN2at6native29vectorized_elementwise_kernelILi2EZZZNS0_16asin_kernel_cudaERNS_18TensorIteratorBaseEENKUlvE0_clEvENKUlvE_clEvEUldE_St5arrayIPcLm2EEEEviT0_T1_.num_agpr, 0
	.set _ZN2at6native29vectorized_elementwise_kernelILi2EZZZNS0_16asin_kernel_cudaERNS_18TensorIteratorBaseEENKUlvE0_clEvENKUlvE_clEvEUldE_St5arrayIPcLm2EEEEviT0_T1_.numbered_sgpr, 36
	.set _ZN2at6native29vectorized_elementwise_kernelILi2EZZZNS0_16asin_kernel_cudaERNS_18TensorIteratorBaseEENKUlvE0_clEvENKUlvE_clEvEUldE_St5arrayIPcLm2EEEEviT0_T1_.num_named_barrier, 0
	.set _ZN2at6native29vectorized_elementwise_kernelILi2EZZZNS0_16asin_kernel_cudaERNS_18TensorIteratorBaseEENKUlvE0_clEvENKUlvE_clEvEUldE_St5arrayIPcLm2EEEEviT0_T1_.private_seg_size, 0
	.set _ZN2at6native29vectorized_elementwise_kernelILi2EZZZNS0_16asin_kernel_cudaERNS_18TensorIteratorBaseEENKUlvE0_clEvENKUlvE_clEvEUldE_St5arrayIPcLm2EEEEviT0_T1_.uses_vcc, 1
	.set _ZN2at6native29vectorized_elementwise_kernelILi2EZZZNS0_16asin_kernel_cudaERNS_18TensorIteratorBaseEENKUlvE0_clEvENKUlvE_clEvEUldE_St5arrayIPcLm2EEEEviT0_T1_.uses_flat_scratch, 0
	.set _ZN2at6native29vectorized_elementwise_kernelILi2EZZZNS0_16asin_kernel_cudaERNS_18TensorIteratorBaseEENKUlvE0_clEvENKUlvE_clEvEUldE_St5arrayIPcLm2EEEEviT0_T1_.has_dyn_sized_stack, 0
	.set _ZN2at6native29vectorized_elementwise_kernelILi2EZZZNS0_16asin_kernel_cudaERNS_18TensorIteratorBaseEENKUlvE0_clEvENKUlvE_clEvEUldE_St5arrayIPcLm2EEEEviT0_T1_.has_recursion, 0
	.set _ZN2at6native29vectorized_elementwise_kernelILi2EZZZNS0_16asin_kernel_cudaERNS_18TensorIteratorBaseEENKUlvE0_clEvENKUlvE_clEvEUldE_St5arrayIPcLm2EEEEviT0_T1_.has_indirect_call, 0
	.section	.AMDGPU.csdata,"",@progbits
; Kernel info:
; codeLenInByte = 7068
; TotalNumSgprs: 40
; NumVgprs: 34
; ScratchSize: 0
; MemoryBound: 0
; FloatMode: 240
; IeeeMode: 1
; LDSByteSize: 0 bytes/workgroup (compile time only)
; SGPRBlocks: 4
; VGPRBlocks: 8
; NumSGPRsForWavesPerEU: 40
; NumVGPRsForWavesPerEU: 34
; Occupancy: 7
; WaveLimiterHint : 1
; COMPUTE_PGM_RSRC2:SCRATCH_EN: 0
; COMPUTE_PGM_RSRC2:USER_SGPR: 6
; COMPUTE_PGM_RSRC2:TRAP_HANDLER: 0
; COMPUTE_PGM_RSRC2:TGID_X_EN: 1
; COMPUTE_PGM_RSRC2:TGID_Y_EN: 0
; COMPUTE_PGM_RSRC2:TGID_Z_EN: 0
; COMPUTE_PGM_RSRC2:TIDIG_COMP_CNT: 0
	.section	.text._ZN2at6native27unrolled_elementwise_kernelIZZZNS0_16asin_kernel_cudaERNS_18TensorIteratorBaseEENKUlvE0_clEvENKUlvE_clEvEUldE_St5arrayIPcLm2EELi4E23TrivialOffsetCalculatorILi1EjESB_NS0_6memory15LoadWithoutCastENSC_16StoreWithoutCastEEEviT_T0_T2_T3_T4_T5_,"axG",@progbits,_ZN2at6native27unrolled_elementwise_kernelIZZZNS0_16asin_kernel_cudaERNS_18TensorIteratorBaseEENKUlvE0_clEvENKUlvE_clEvEUldE_St5arrayIPcLm2EELi4E23TrivialOffsetCalculatorILi1EjESB_NS0_6memory15LoadWithoutCastENSC_16StoreWithoutCastEEEviT_T0_T2_T3_T4_T5_,comdat
	.globl	_ZN2at6native27unrolled_elementwise_kernelIZZZNS0_16asin_kernel_cudaERNS_18TensorIteratorBaseEENKUlvE0_clEvENKUlvE_clEvEUldE_St5arrayIPcLm2EELi4E23TrivialOffsetCalculatorILi1EjESB_NS0_6memory15LoadWithoutCastENSC_16StoreWithoutCastEEEviT_T0_T2_T3_T4_T5_ ; -- Begin function _ZN2at6native27unrolled_elementwise_kernelIZZZNS0_16asin_kernel_cudaERNS_18TensorIteratorBaseEENKUlvE0_clEvENKUlvE_clEvEUldE_St5arrayIPcLm2EELi4E23TrivialOffsetCalculatorILi1EjESB_NS0_6memory15LoadWithoutCastENSC_16StoreWithoutCastEEEviT_T0_T2_T3_T4_T5_
	.p2align	8
	.type	_ZN2at6native27unrolled_elementwise_kernelIZZZNS0_16asin_kernel_cudaERNS_18TensorIteratorBaseEENKUlvE0_clEvENKUlvE_clEvEUldE_St5arrayIPcLm2EELi4E23TrivialOffsetCalculatorILi1EjESB_NS0_6memory15LoadWithoutCastENSC_16StoreWithoutCastEEEviT_T0_T2_T3_T4_T5_,@function
_ZN2at6native27unrolled_elementwise_kernelIZZZNS0_16asin_kernel_cudaERNS_18TensorIteratorBaseEENKUlvE0_clEvENKUlvE_clEvEUldE_St5arrayIPcLm2EELi4E23TrivialOffsetCalculatorILi1EjESB_NS0_6memory15LoadWithoutCastENSC_16StoreWithoutCastEEEviT_T0_T2_T3_T4_T5_: ; @_ZN2at6native27unrolled_elementwise_kernelIZZZNS0_16asin_kernel_cudaERNS_18TensorIteratorBaseEENKUlvE0_clEvENKUlvE_clEvEUldE_St5arrayIPcLm2EELi4E23TrivialOffsetCalculatorILi1EjESB_NS0_6memory15LoadWithoutCastENSC_16StoreWithoutCastEEEviT_T0_T2_T3_T4_T5_
; %bb.0:
	s_load_dword s0, s[4:5], 0x0
	s_load_dwordx4 s[8:11], s[4:5], 0x8
	s_lshl_b32 s6, s6, 10
	v_mov_b32_e32 v14, 0
	v_mov_b32_e32 v16, 0
	s_waitcnt lgkmcnt(0)
	s_sub_i32 s7, s0, s6
	v_cmp_gt_i32_e32 vcc, s7, v0
	v_mov_b32_e32 v15, 0
	v_or_b32_e32 v1, s6, v0
	v_mov_b32_e32 v17, 0
	v_mov_b32_e32 v4, v0
	s_and_saveexec_b64 s[2:3], vcc
	s_cbranch_execz .LBB37_2
; %bb.1:
	v_mov_b32_e32 v2, 0
	v_lshlrev_b64 v[2:3], 3, v[1:2]
	v_mov_b32_e32 v4, s11
	v_add_co_u32_e64 v2, s[0:1], s10, v2
	v_addc_co_u32_e64 v3, s[0:1], v4, v3, s[0:1]
	global_load_dwordx2 v[16:17], v[2:3], off
	v_or_b32_e32 v4, 0x100, v0
.LBB37_2:
	s_or_b64 exec, exec, s[2:3]
	v_cmp_gt_i32_e64 s[0:1], s7, v4
	s_and_saveexec_b64 s[2:3], s[0:1]
	s_cbranch_execz .LBB37_4
; %bb.3:
	v_add_u32_e32 v2, s6, v4
	v_mov_b32_e32 v3, 0
	v_lshlrev_b64 v[2:3], 3, v[2:3]
	v_mov_b32_e32 v5, s11
	v_add_co_u32_e64 v2, s[0:1], s10, v2
	v_addc_co_u32_e64 v3, s[0:1], v5, v3, s[0:1]
	global_load_dwordx2 v[14:15], v[2:3], off
	v_add_u32_e32 v4, 0x100, v4
.LBB37_4:
	s_or_b64 exec, exec, s[2:3]
	v_mov_b32_e32 v2, 0
	v_mov_b32_e32 v6, 0
	;; [unrolled: 1-line block ×4, first 2 shown]
	v_cmp_gt_i32_e64 s[0:1], s7, v4
	s_and_saveexec_b64 s[2:3], s[0:1]
	s_cbranch_execz .LBB37_6
; %bb.5:
	v_add_u32_e32 v5, s6, v4
	v_mov_b32_e32 v6, 0
	v_lshlrev_b64 v[5:6], 3, v[5:6]
	v_mov_b32_e32 v7, s11
	v_add_co_u32_e64 v5, s[0:1], s10, v5
	v_addc_co_u32_e64 v6, s[0:1], v7, v6, s[0:1]
	global_load_dwordx2 v[6:7], v[5:6], off
	v_add_u32_e32 v4, 0x100, v4
.LBB37_6:
	s_or_b64 exec, exec, s[2:3]
	v_cmp_gt_i32_e64 s[0:1], s7, v4
	s_and_saveexec_b64 s[2:3], s[0:1]
	s_cbranch_execz .LBB37_8
; %bb.7:
	v_add_u32_e32 v2, s6, v4
	v_mov_b32_e32 v3, 0
	v_lshlrev_b64 v[2:3], 3, v[2:3]
	v_mov_b32_e32 v4, s11
	v_add_co_u32_e64 v2, s[0:1], s10, v2
	v_addc_co_u32_e64 v3, s[0:1], v4, v3, s[0:1]
	global_load_dwordx2 v[2:3], v[2:3], off
.LBB37_8:
	s_or_b64 exec, exec, s[2:3]
	v_mov_b32_e32 v4, 0
	v_mov_b32_e32 v5, v4
	;; [unrolled: 1-line block ×8, first 2 shown]
	s_and_saveexec_b64 s[2:3], vcc
	s_cbranch_execz .LBB37_12
; %bb.9:
	s_waitcnt vmcnt(0)
	v_fma_f64 v[8:9], |v[16:17]|, -0.5, 0.5
	v_mul_f64 v[4:5], v[16:17], v[16:17]
	v_cmp_ge_f64_e64 s[0:1], |v[16:17]|, 0.5
	s_mov_b32 s4, 0x9fea6a70
	v_mov_b32_e32 v10, 0x78a05eaf
	v_mov_b32_e32 v11, 0xbf90a5a3
	s_mov_b32 s5, 0x3fa05985
	v_cndmask_b32_e64 v5, v5, v9, s[0:1]
	v_cndmask_b32_e64 v4, v4, v8, s[0:1]
	v_fma_f64 v[10:11], v[4:5], s[4:5], v[10:11]
	s_mov_b32 s4, 0x37024d6a
	s_mov_b32 s5, 0x3f940521
	v_fma_f64 v[10:11], v[4:5], v[10:11], s[4:5]
	s_mov_b32 s4, 0x98a70509
	s_mov_b32 s5, 0x3f7ab3a0
	;; [unrolled: 3-line block ×10, first 2 shown]
	v_fma_f64 v[10:11], v[4:5], v[10:11], s[4:5]
	v_mul_f64 v[10:11], v[4:5], v[10:11]
	v_fma_f64 v[4:5], |v[16:17]|, v[10:11], |v[16:17]|
	s_and_saveexec_b64 s[4:5], s[0:1]
	s_cbranch_execz .LBB37_11
; %bb.10:
	v_rsq_f64_e32 v[4:5], v[8:9]
	v_cmp_eq_f64_e64 s[0:1], 0, v[8:9]
	v_mul_f64 v[12:13], v[8:9], v[4:5]
	v_mul_f64 v[4:5], v[4:5], 0.5
	v_fma_f64 v[18:19], -v[4:5], v[12:13], 0.5
	v_fma_f64 v[12:13], v[12:13], v[18:19], v[12:13]
	v_fma_f64 v[4:5], v[4:5], v[18:19], v[4:5]
	v_fma_f64 v[18:19], -v[12:13], v[12:13], v[8:9]
	v_fma_f64 v[4:5], v[18:19], v[4:5], v[12:13]
	v_cndmask_b32_e64 v5, v5, v9, s[0:1]
	v_cndmask_b32_e64 v4, v4, v8, s[0:1]
	v_mul_f64 v[12:13], v[4:5], v[4:5]
	v_add_f64 v[20:21], v[8:9], -v[12:13]
	v_fma_f64 v[18:19], v[4:5], v[4:5], -v[12:13]
	v_add_f64 v[8:9], v[8:9], -v[20:21]
	v_add_f64 v[8:9], v[8:9], -v[12:13]
	v_add_f64 v[12:13], v[4:5], v[4:5]
	v_add_f64 v[8:9], v[8:9], -v[18:19]
	v_rcp_f64_e32 v[18:19], v[12:13]
	v_add_f64 v[8:9], v[20:21], v[8:9]
	v_fma_f64 v[20:21], -v[12:13], v[18:19], 1.0
	v_fma_f64 v[18:19], v[20:21], v[18:19], v[18:19]
	v_fma_f64 v[20:21], -v[12:13], v[18:19], 1.0
	v_fma_f64 v[18:19], v[20:21], v[18:19], v[18:19]
	v_mul_f64 v[20:21], v[8:9], v[18:19]
	v_fma_f64 v[8:9], -v[12:13], v[20:21], v[8:9]
	v_fma_f64 v[8:9], v[8:9], v[18:19], v[20:21]
	v_cndmask_b32_e64 v9, v9, 0, s[0:1]
	v_cndmask_b32_e64 v8, v8, 0, s[0:1]
	v_add_f64 v[12:13], v[4:5], v[8:9]
	s_mov_b32 s0, 0x54442d18
	s_mov_b32 s1, 0x3fe921fb
	v_add_f64 v[4:5], v[12:13], -v[4:5]
	v_add_f64 v[4:5], v[8:9], -v[4:5]
	v_mul_f64 v[8:9], v[10:11], v[12:13]
	v_fma_f64 v[18:19], v[12:13], v[10:11], -v[8:9]
	v_fma_f64 v[10:11], v[4:5], v[10:11], v[18:19]
	v_add_f64 v[18:19], v[8:9], v[10:11]
	v_add_f64 v[8:9], v[18:19], -v[8:9]
	v_add_f64 v[8:9], v[10:11], -v[8:9]
	v_add_f64 v[10:11], v[12:13], v[18:19]
	v_add_f64 v[4:5], v[4:5], v[8:9]
	v_add_f64 v[12:13], v[10:11], -v[12:13]
	v_add_f64 v[12:13], v[18:19], -v[12:13]
	v_add_f64 v[4:5], v[4:5], v[12:13]
	v_add_f64 v[8:9], v[10:11], v[4:5]
	v_add_f64 v[12:13], -v[8:9], s[0:1]
	v_add_f64 v[10:11], v[8:9], -v[10:11]
	v_add_f64 v[18:19], -v[12:13], s[0:1]
	s_mov_b32 s0, 0x33145c07
	s_mov_b32 s1, 0x3c81a626
	v_add_f64 v[4:5], v[10:11], -v[4:5]
	v_add_f64 v[8:9], v[18:19], -v[8:9]
	v_add_f64 v[8:9], v[8:9], s[0:1]
	v_cmp_neq_f64_e64 s[0:1], |v[16:17]|, 1.0
	v_add_f64 v[4:5], v[4:5], v[8:9]
	v_mov_b32_e32 v8, 0x3ff921fb
	v_add_f64 v[4:5], v[12:13], v[4:5]
	v_add_f64 v[4:5], v[4:5], v[4:5]
	v_cndmask_b32_e64 v5, v8, v5, s[0:1]
	v_mov_b32_e32 v8, 0x54442d18
	v_cndmask_b32_e64 v4, v8, v4, s[0:1]
.LBB37_11:
	s_or_b64 exec, exec, s[4:5]
	s_brev_b32 s0, -2
	v_mov_b32_e32 v12, 0
	v_bfi_b32 v5, s0, v5, v17
	v_mov_b32_e32 v13, v12
	v_mov_b32_e32 v10, v12
	;; [unrolled: 1-line block ×5, first 2 shown]
.LBB37_12:
	s_or_b64 exec, exec, s[2:3]
	v_or_b32_e32 v20, 0x100, v0
	v_cmp_gt_i32_e64 s[0:1], s7, v20
	s_and_saveexec_b64 s[2:3], s[0:1]
	s_cbranch_execz .LBB37_16
; %bb.13:
	s_waitcnt vmcnt(0)
	v_fma_f64 v[16:17], |v[14:15]|, -0.5, 0.5
	v_mul_f64 v[12:13], v[14:15], v[14:15]
	v_cmp_ge_f64_e64 s[0:1], |v[14:15]|, 0.5
	s_mov_b32 s4, 0x9fea6a70
	v_mov_b32_e32 v18, 0x78a05eaf
	v_mov_b32_e32 v19, 0xbf90a5a3
	s_mov_b32 s5, 0x3fa05985
	v_cndmask_b32_e64 v13, v13, v17, s[0:1]
	v_cndmask_b32_e64 v12, v12, v16, s[0:1]
	v_fma_f64 v[18:19], v[12:13], s[4:5], v[18:19]
	s_mov_b32 s4, 0x37024d6a
	s_mov_b32 s5, 0x3f940521
	v_fma_f64 v[18:19], v[12:13], v[18:19], s[4:5]
	s_mov_b32 s4, 0x98a70509
	s_mov_b32 s5, 0x3f7ab3a0
	;; [unrolled: 3-line block ×10, first 2 shown]
	v_fma_f64 v[18:19], v[12:13], v[18:19], s[4:5]
	v_mul_f64 v[18:19], v[12:13], v[18:19]
	v_fma_f64 v[12:13], |v[14:15]|, v[18:19], |v[14:15]|
	s_and_saveexec_b64 s[4:5], s[0:1]
	s_cbranch_execz .LBB37_15
; %bb.14:
	v_rsq_f64_e32 v[12:13], v[16:17]
	v_cmp_eq_f64_e64 s[0:1], 0, v[16:17]
	v_mul_f64 v[21:22], v[16:17], v[12:13]
	v_mul_f64 v[12:13], v[12:13], 0.5
	v_fma_f64 v[23:24], -v[12:13], v[21:22], 0.5
	v_fma_f64 v[21:22], v[21:22], v[23:24], v[21:22]
	v_fma_f64 v[12:13], v[12:13], v[23:24], v[12:13]
	v_fma_f64 v[23:24], -v[21:22], v[21:22], v[16:17]
	v_fma_f64 v[12:13], v[23:24], v[12:13], v[21:22]
	v_cndmask_b32_e64 v13, v13, v17, s[0:1]
	v_cndmask_b32_e64 v12, v12, v16, s[0:1]
	v_mul_f64 v[21:22], v[12:13], v[12:13]
	v_add_f64 v[25:26], v[16:17], -v[21:22]
	v_fma_f64 v[23:24], v[12:13], v[12:13], -v[21:22]
	v_add_f64 v[16:17], v[16:17], -v[25:26]
	v_add_f64 v[16:17], v[16:17], -v[21:22]
	v_add_f64 v[21:22], v[12:13], v[12:13]
	v_add_f64 v[16:17], v[16:17], -v[23:24]
	v_rcp_f64_e32 v[23:24], v[21:22]
	v_add_f64 v[16:17], v[25:26], v[16:17]
	v_fma_f64 v[25:26], -v[21:22], v[23:24], 1.0
	v_fma_f64 v[23:24], v[25:26], v[23:24], v[23:24]
	v_fma_f64 v[25:26], -v[21:22], v[23:24], 1.0
	v_fma_f64 v[23:24], v[25:26], v[23:24], v[23:24]
	v_mul_f64 v[25:26], v[16:17], v[23:24]
	v_fma_f64 v[16:17], -v[21:22], v[25:26], v[16:17]
	v_fma_f64 v[16:17], v[16:17], v[23:24], v[25:26]
	v_cndmask_b32_e64 v17, v17, 0, s[0:1]
	v_cndmask_b32_e64 v16, v16, 0, s[0:1]
	v_add_f64 v[21:22], v[12:13], v[16:17]
	s_mov_b32 s0, 0x54442d18
	s_mov_b32 s1, 0x3fe921fb
	v_add_f64 v[12:13], v[21:22], -v[12:13]
	v_add_f64 v[12:13], v[16:17], -v[12:13]
	v_mul_f64 v[16:17], v[18:19], v[21:22]
	v_fma_f64 v[23:24], v[21:22], v[18:19], -v[16:17]
	v_fma_f64 v[18:19], v[12:13], v[18:19], v[23:24]
	v_add_f64 v[23:24], v[16:17], v[18:19]
	v_add_f64 v[16:17], v[23:24], -v[16:17]
	v_add_f64 v[16:17], v[18:19], -v[16:17]
	v_add_f64 v[18:19], v[21:22], v[23:24]
	v_add_f64 v[12:13], v[12:13], v[16:17]
	v_add_f64 v[21:22], v[18:19], -v[21:22]
	v_add_f64 v[21:22], v[23:24], -v[21:22]
	v_add_f64 v[12:13], v[12:13], v[21:22]
	v_add_f64 v[16:17], v[18:19], v[12:13]
	v_add_f64 v[21:22], -v[16:17], s[0:1]
	v_add_f64 v[18:19], v[16:17], -v[18:19]
	v_add_f64 v[23:24], -v[21:22], s[0:1]
	s_mov_b32 s0, 0x33145c07
	s_mov_b32 s1, 0x3c81a626
	v_add_f64 v[12:13], v[18:19], -v[12:13]
	v_add_f64 v[16:17], v[23:24], -v[16:17]
	v_add_f64 v[16:17], v[16:17], s[0:1]
	v_cmp_neq_f64_e64 s[0:1], |v[14:15]|, 1.0
	v_mov_b32_e32 v14, 0x3ff921fb
	v_add_f64 v[12:13], v[12:13], v[16:17]
	v_add_f64 v[12:13], v[21:22], v[12:13]
	;; [unrolled: 1-line block ×3, first 2 shown]
	v_cndmask_b32_e64 v13, v14, v13, s[0:1]
	v_mov_b32_e32 v14, 0x54442d18
	v_cndmask_b32_e64 v12, v14, v12, s[0:1]
.LBB37_15:
	s_or_b64 exec, exec, s[4:5]
	s_brev_b32 s0, -2
	v_bfi_b32 v13, s0, v13, v15
.LBB37_16:
	s_or_b64 exec, exec, s[2:3]
	s_waitcnt vmcnt(0)
	v_or_b32_e32 v14, 0x200, v0
	v_cmp_gt_i32_e64 s[0:1], s7, v14
	s_and_saveexec_b64 s[2:3], s[0:1]
	s_cbranch_execz .LBB37_20
; %bb.17:
	v_fma_f64 v[14:15], |v[6:7]|, -0.5, 0.5
	v_mul_f64 v[10:11], v[6:7], v[6:7]
	v_cmp_ge_f64_e64 s[0:1], |v[6:7]|, 0.5
	s_mov_b32 s4, 0x9fea6a70
	v_mov_b32_e32 v16, 0x78a05eaf
	v_mov_b32_e32 v17, 0xbf90a5a3
	s_mov_b32 s5, 0x3fa05985
	v_cndmask_b32_e64 v11, v11, v15, s[0:1]
	v_cndmask_b32_e64 v10, v10, v14, s[0:1]
	v_fma_f64 v[16:17], v[10:11], s[4:5], v[16:17]
	s_mov_b32 s4, 0x37024d6a
	s_mov_b32 s5, 0x3f940521
	v_fma_f64 v[16:17], v[10:11], v[16:17], s[4:5]
	s_mov_b32 s4, 0x98a70509
	s_mov_b32 s5, 0x3f7ab3a0
	;; [unrolled: 3-line block ×10, first 2 shown]
	v_fma_f64 v[16:17], v[10:11], v[16:17], s[4:5]
	v_mul_f64 v[16:17], v[10:11], v[16:17]
	v_fma_f64 v[10:11], |v[6:7]|, v[16:17], |v[6:7]|
	s_and_saveexec_b64 s[4:5], s[0:1]
	s_cbranch_execz .LBB37_19
; %bb.18:
	v_rsq_f64_e32 v[10:11], v[14:15]
	v_cmp_eq_f64_e64 s[0:1], 0, v[14:15]
	v_mul_f64 v[18:19], v[14:15], v[10:11]
	v_mul_f64 v[10:11], v[10:11], 0.5
	v_fma_f64 v[21:22], -v[10:11], v[18:19], 0.5
	v_fma_f64 v[18:19], v[18:19], v[21:22], v[18:19]
	v_fma_f64 v[10:11], v[10:11], v[21:22], v[10:11]
	v_fma_f64 v[21:22], -v[18:19], v[18:19], v[14:15]
	v_fma_f64 v[10:11], v[21:22], v[10:11], v[18:19]
	v_cndmask_b32_e64 v11, v11, v15, s[0:1]
	v_cndmask_b32_e64 v10, v10, v14, s[0:1]
	v_mul_f64 v[18:19], v[10:11], v[10:11]
	v_add_f64 v[23:24], v[14:15], -v[18:19]
	v_fma_f64 v[21:22], v[10:11], v[10:11], -v[18:19]
	v_add_f64 v[14:15], v[14:15], -v[23:24]
	v_add_f64 v[14:15], v[14:15], -v[18:19]
	v_add_f64 v[18:19], v[10:11], v[10:11]
	v_add_f64 v[14:15], v[14:15], -v[21:22]
	v_rcp_f64_e32 v[21:22], v[18:19]
	v_add_f64 v[14:15], v[23:24], v[14:15]
	v_fma_f64 v[23:24], -v[18:19], v[21:22], 1.0
	v_fma_f64 v[21:22], v[23:24], v[21:22], v[21:22]
	v_fma_f64 v[23:24], -v[18:19], v[21:22], 1.0
	v_fma_f64 v[21:22], v[23:24], v[21:22], v[21:22]
	v_mul_f64 v[23:24], v[14:15], v[21:22]
	v_fma_f64 v[14:15], -v[18:19], v[23:24], v[14:15]
	v_fma_f64 v[14:15], v[14:15], v[21:22], v[23:24]
	v_cndmask_b32_e64 v15, v15, 0, s[0:1]
	v_cndmask_b32_e64 v14, v14, 0, s[0:1]
	v_add_f64 v[18:19], v[10:11], v[14:15]
	s_mov_b32 s0, 0x54442d18
	s_mov_b32 s1, 0x3fe921fb
	v_add_f64 v[10:11], v[18:19], -v[10:11]
	v_add_f64 v[10:11], v[14:15], -v[10:11]
	v_mul_f64 v[14:15], v[16:17], v[18:19]
	v_fma_f64 v[21:22], v[18:19], v[16:17], -v[14:15]
	v_fma_f64 v[16:17], v[10:11], v[16:17], v[21:22]
	v_add_f64 v[21:22], v[14:15], v[16:17]
	v_add_f64 v[14:15], v[21:22], -v[14:15]
	v_add_f64 v[14:15], v[16:17], -v[14:15]
	v_add_f64 v[16:17], v[18:19], v[21:22]
	v_add_f64 v[10:11], v[10:11], v[14:15]
	v_add_f64 v[18:19], v[16:17], -v[18:19]
	v_add_f64 v[18:19], v[21:22], -v[18:19]
	v_add_f64 v[10:11], v[10:11], v[18:19]
	v_add_f64 v[14:15], v[16:17], v[10:11]
	v_add_f64 v[18:19], -v[14:15], s[0:1]
	v_add_f64 v[16:17], v[14:15], -v[16:17]
	v_add_f64 v[21:22], -v[18:19], s[0:1]
	s_mov_b32 s0, 0x33145c07
	s_mov_b32 s1, 0x3c81a626
	v_add_f64 v[10:11], v[16:17], -v[10:11]
	v_add_f64 v[14:15], v[21:22], -v[14:15]
	v_add_f64 v[14:15], v[14:15], s[0:1]
	v_cmp_neq_f64_e64 s[0:1], |v[6:7]|, 1.0
	v_mov_b32_e32 v6, 0x3ff921fb
	v_add_f64 v[10:11], v[10:11], v[14:15]
	v_add_f64 v[10:11], v[18:19], v[10:11]
	;; [unrolled: 1-line block ×3, first 2 shown]
	v_cndmask_b32_e64 v11, v6, v11, s[0:1]
	v_mov_b32_e32 v6, 0x54442d18
	v_cndmask_b32_e64 v10, v6, v10, s[0:1]
.LBB37_19:
	s_or_b64 exec, exec, s[4:5]
	s_brev_b32 s0, -2
	v_bfi_b32 v11, s0, v11, v7
.LBB37_20:
	s_or_b64 exec, exec, s[2:3]
	v_or_b32_e32 v6, 0x300, v0
	v_cmp_gt_i32_e64 s[0:1], s7, v6
	s_and_saveexec_b64 s[2:3], s[0:1]
	s_cbranch_execnz .LBB37_26
; %bb.21:
	s_or_b64 exec, exec, s[2:3]
	s_and_saveexec_b64 s[0:1], vcc
	s_xor_b64 s[0:1], exec, s[0:1]
	s_cbranch_execnz .LBB37_29
.LBB37_22:
	s_or_b64 exec, exec, s[0:1]
	v_cmp_gt_i32_e32 vcc, s7, v0
	s_and_saveexec_b64 s[0:1], vcc
	s_cbranch_execnz .LBB37_30
.LBB37_23:
	s_or_b64 exec, exec, s[0:1]
	v_cmp_gt_i32_e32 vcc, s7, v0
	s_and_saveexec_b64 s[0:1], vcc
	s_cbranch_execnz .LBB37_31
.LBB37_24:
	s_or_b64 exec, exec, s[0:1]
	v_cmp_gt_i32_e32 vcc, s7, v0
	s_and_saveexec_b64 s[0:1], vcc
	s_cbranch_execnz .LBB37_32
.LBB37_25:
	s_endpgm
.LBB37_26:
	v_fma_f64 v[6:7], |v[2:3]|, -0.5, 0.5
	v_mul_f64 v[8:9], v[2:3], v[2:3]
	v_cmp_ge_f64_e64 s[0:1], |v[2:3]|, 0.5
	s_mov_b32 s4, 0x9fea6a70
	v_mov_b32_e32 v14, 0x78a05eaf
	v_mov_b32_e32 v15, 0xbf90a5a3
	s_mov_b32 s5, 0x3fa05985
	v_cndmask_b32_e64 v9, v9, v7, s[0:1]
	v_cndmask_b32_e64 v8, v8, v6, s[0:1]
	v_fma_f64 v[14:15], v[8:9], s[4:5], v[14:15]
	s_mov_b32 s4, 0x37024d6a
	s_mov_b32 s5, 0x3f940521
	v_fma_f64 v[14:15], v[8:9], v[14:15], s[4:5]
	s_mov_b32 s4, 0x98a70509
	s_mov_b32 s5, 0x3f7ab3a0
	;; [unrolled: 3-line block ×10, first 2 shown]
	v_fma_f64 v[14:15], v[8:9], v[14:15], s[4:5]
	v_mul_f64 v[14:15], v[8:9], v[14:15]
	v_fma_f64 v[8:9], |v[2:3]|, v[14:15], |v[2:3]|
	s_and_saveexec_b64 s[4:5], s[0:1]
	s_cbranch_execz .LBB37_28
; %bb.27:
	v_rsq_f64_e32 v[8:9], v[6:7]
	v_cmp_eq_f64_e64 s[0:1], 0, v[6:7]
	v_mul_f64 v[16:17], v[6:7], v[8:9]
	v_mul_f64 v[8:9], v[8:9], 0.5
	v_fma_f64 v[18:19], -v[8:9], v[16:17], 0.5
	v_fma_f64 v[16:17], v[16:17], v[18:19], v[16:17]
	v_fma_f64 v[8:9], v[8:9], v[18:19], v[8:9]
	v_fma_f64 v[18:19], -v[16:17], v[16:17], v[6:7]
	v_fma_f64 v[8:9], v[18:19], v[8:9], v[16:17]
	v_cndmask_b32_e64 v9, v9, v7, s[0:1]
	v_cndmask_b32_e64 v8, v8, v6, s[0:1]
	v_add_f64 v[16:17], v[8:9], v[8:9]
	v_mul_f64 v[18:19], v[8:9], v[8:9]
	v_rcp_f64_e32 v[21:22], v[16:17]
	v_add_f64 v[23:24], v[6:7], -v[18:19]
	v_fma_f64 v[27:28], v[8:9], v[8:9], -v[18:19]
	v_add_f64 v[6:7], v[6:7], -v[23:24]
	v_fma_f64 v[25:26], -v[16:17], v[21:22], 1.0
	v_add_f64 v[6:7], v[6:7], -v[18:19]
	v_fma_f64 v[18:19], v[25:26], v[21:22], v[21:22]
	v_add_f64 v[6:7], v[6:7], -v[27:28]
	v_fma_f64 v[21:22], -v[16:17], v[18:19], 1.0
	v_add_f64 v[6:7], v[23:24], v[6:7]
	v_fma_f64 v[18:19], v[21:22], v[18:19], v[18:19]
	v_mul_f64 v[21:22], v[6:7], v[18:19]
	v_fma_f64 v[6:7], -v[16:17], v[21:22], v[6:7]
	v_fma_f64 v[6:7], v[6:7], v[18:19], v[21:22]
	v_cndmask_b32_e64 v7, v7, 0, s[0:1]
	v_cndmask_b32_e64 v6, v6, 0, s[0:1]
	v_add_f64 v[16:17], v[8:9], v[6:7]
	s_mov_b32 s0, 0x54442d18
	s_mov_b32 s1, 0x3fe921fb
	v_add_f64 v[8:9], v[16:17], -v[8:9]
	v_mul_f64 v[18:19], v[14:15], v[16:17]
	v_add_f64 v[6:7], v[6:7], -v[8:9]
	v_fma_f64 v[8:9], v[16:17], v[14:15], -v[18:19]
	v_fma_f64 v[8:9], v[6:7], v[14:15], v[8:9]
	v_add_f64 v[14:15], v[18:19], v[8:9]
	v_add_f64 v[21:22], v[16:17], v[14:15]
	v_add_f64 v[18:19], v[14:15], -v[18:19]
	v_add_f64 v[16:17], v[21:22], -v[16:17]
	;; [unrolled: 1-line block ×4, first 2 shown]
	v_add_f64 v[6:7], v[6:7], v[8:9]
	v_add_f64 v[6:7], v[6:7], v[14:15]
	;; [unrolled: 1-line block ×3, first 2 shown]
	v_add_f64 v[14:15], -v[8:9], s[0:1]
	v_add_f64 v[18:19], v[8:9], -v[21:22]
	v_add_f64 v[16:17], -v[14:15], s[0:1]
	s_mov_b32 s0, 0x33145c07
	s_mov_b32 s1, 0x3c81a626
	v_add_f64 v[6:7], v[18:19], -v[6:7]
	v_add_f64 v[8:9], v[16:17], -v[8:9]
	v_add_f64 v[8:9], v[8:9], s[0:1]
	v_cmp_neq_f64_e64 s[0:1], |v[2:3]|, 1.0
	v_mov_b32_e32 v2, 0x54442d18
	v_add_f64 v[6:7], v[6:7], v[8:9]
	v_mov_b32_e32 v8, 0x3ff921fb
	v_add_f64 v[6:7], v[14:15], v[6:7]
	v_add_f64 v[6:7], v[6:7], v[6:7]
	v_cndmask_b32_e64 v9, v8, v7, s[0:1]
	v_cndmask_b32_e64 v8, v2, v6, s[0:1]
.LBB37_28:
	s_or_b64 exec, exec, s[4:5]
	s_brev_b32 s0, -2
	v_bfi_b32 v9, s0, v9, v3
	s_or_b64 exec, exec, s[2:3]
	s_and_saveexec_b64 s[0:1], vcc
	s_xor_b64 s[0:1], exec, s[0:1]
	s_cbranch_execz .LBB37_22
.LBB37_29:
	v_mov_b32_e32 v2, 0
	v_lshlrev_b64 v[0:1], 3, v[1:2]
	v_mov_b32_e32 v2, s9
	v_add_co_u32_e32 v0, vcc, s8, v0
	v_addc_co_u32_e32 v1, vcc, v2, v1, vcc
	global_store_dwordx2 v[0:1], v[4:5], off
	v_mov_b32_e32 v0, v20
	s_or_b64 exec, exec, s[0:1]
	v_cmp_gt_i32_e32 vcc, s7, v0
	s_and_saveexec_b64 s[0:1], vcc
	s_cbranch_execz .LBB37_23
.LBB37_30:
	v_add_u32_e32 v2, 0x100, v0
	v_add_u32_e32 v0, s6, v0
	v_mov_b32_e32 v1, 0
	v_lshlrev_b64 v[0:1], 3, v[0:1]
	v_mov_b32_e32 v3, s9
	v_add_co_u32_e32 v0, vcc, s8, v0
	v_addc_co_u32_e32 v1, vcc, v3, v1, vcc
	global_store_dwordx2 v[0:1], v[12:13], off
	v_mov_b32_e32 v0, v2
	s_or_b64 exec, exec, s[0:1]
	v_cmp_gt_i32_e32 vcc, s7, v0
	s_and_saveexec_b64 s[0:1], vcc
	s_cbranch_execz .LBB37_24
.LBB37_31:
	v_add_u32_e32 v2, 0x100, v0
	v_add_u32_e32 v0, s6, v0
	v_mov_b32_e32 v1, 0
	v_lshlrev_b64 v[0:1], 3, v[0:1]
	v_mov_b32_e32 v3, s9
	v_add_co_u32_e32 v0, vcc, s8, v0
	v_addc_co_u32_e32 v1, vcc, v3, v1, vcc
	global_store_dwordx2 v[0:1], v[10:11], off
	v_mov_b32_e32 v0, v2
	s_or_b64 exec, exec, s[0:1]
	v_cmp_gt_i32_e32 vcc, s7, v0
	s_and_saveexec_b64 s[0:1], vcc
	s_cbranch_execz .LBB37_25
.LBB37_32:
	v_add_u32_e32 v0, s6, v0
	v_mov_b32_e32 v1, 0
	v_lshlrev_b64 v[0:1], 3, v[0:1]
	v_mov_b32_e32 v2, s9
	v_add_co_u32_e32 v0, vcc, s8, v0
	v_addc_co_u32_e32 v1, vcc, v2, v1, vcc
	global_store_dwordx2 v[0:1], v[8:9], off
	s_endpgm
	.section	.rodata,"a",@progbits
	.p2align	6, 0x0
	.amdhsa_kernel _ZN2at6native27unrolled_elementwise_kernelIZZZNS0_16asin_kernel_cudaERNS_18TensorIteratorBaseEENKUlvE0_clEvENKUlvE_clEvEUldE_St5arrayIPcLm2EELi4E23TrivialOffsetCalculatorILi1EjESB_NS0_6memory15LoadWithoutCastENSC_16StoreWithoutCastEEEviT_T0_T2_T3_T4_T5_
		.amdhsa_group_segment_fixed_size 0
		.amdhsa_private_segment_fixed_size 0
		.amdhsa_kernarg_size 28
		.amdhsa_user_sgpr_count 6
		.amdhsa_user_sgpr_private_segment_buffer 1
		.amdhsa_user_sgpr_dispatch_ptr 0
		.amdhsa_user_sgpr_queue_ptr 0
		.amdhsa_user_sgpr_kernarg_segment_ptr 1
		.amdhsa_user_sgpr_dispatch_id 0
		.amdhsa_user_sgpr_flat_scratch_init 0
		.amdhsa_user_sgpr_private_segment_size 0
		.amdhsa_uses_dynamic_stack 0
		.amdhsa_system_sgpr_private_segment_wavefront_offset 0
		.amdhsa_system_sgpr_workgroup_id_x 1
		.amdhsa_system_sgpr_workgroup_id_y 0
		.amdhsa_system_sgpr_workgroup_id_z 0
		.amdhsa_system_sgpr_workgroup_info 0
		.amdhsa_system_vgpr_workitem_id 0
		.amdhsa_next_free_vgpr 29
		.amdhsa_next_free_sgpr 12
		.amdhsa_reserve_vcc 1
		.amdhsa_reserve_flat_scratch 0
		.amdhsa_float_round_mode_32 0
		.amdhsa_float_round_mode_16_64 0
		.amdhsa_float_denorm_mode_32 3
		.amdhsa_float_denorm_mode_16_64 3
		.amdhsa_dx10_clamp 1
		.amdhsa_ieee_mode 1
		.amdhsa_fp16_overflow 0
		.amdhsa_exception_fp_ieee_invalid_op 0
		.amdhsa_exception_fp_denorm_src 0
		.amdhsa_exception_fp_ieee_div_zero 0
		.amdhsa_exception_fp_ieee_overflow 0
		.amdhsa_exception_fp_ieee_underflow 0
		.amdhsa_exception_fp_ieee_inexact 0
		.amdhsa_exception_int_div_zero 0
	.end_amdhsa_kernel
	.section	.text._ZN2at6native27unrolled_elementwise_kernelIZZZNS0_16asin_kernel_cudaERNS_18TensorIteratorBaseEENKUlvE0_clEvENKUlvE_clEvEUldE_St5arrayIPcLm2EELi4E23TrivialOffsetCalculatorILi1EjESB_NS0_6memory15LoadWithoutCastENSC_16StoreWithoutCastEEEviT_T0_T2_T3_T4_T5_,"axG",@progbits,_ZN2at6native27unrolled_elementwise_kernelIZZZNS0_16asin_kernel_cudaERNS_18TensorIteratorBaseEENKUlvE0_clEvENKUlvE_clEvEUldE_St5arrayIPcLm2EELi4E23TrivialOffsetCalculatorILi1EjESB_NS0_6memory15LoadWithoutCastENSC_16StoreWithoutCastEEEviT_T0_T2_T3_T4_T5_,comdat
.Lfunc_end37:
	.size	_ZN2at6native27unrolled_elementwise_kernelIZZZNS0_16asin_kernel_cudaERNS_18TensorIteratorBaseEENKUlvE0_clEvENKUlvE_clEvEUldE_St5arrayIPcLm2EELi4E23TrivialOffsetCalculatorILi1EjESB_NS0_6memory15LoadWithoutCastENSC_16StoreWithoutCastEEEviT_T0_T2_T3_T4_T5_, .Lfunc_end37-_ZN2at6native27unrolled_elementwise_kernelIZZZNS0_16asin_kernel_cudaERNS_18TensorIteratorBaseEENKUlvE0_clEvENKUlvE_clEvEUldE_St5arrayIPcLm2EELi4E23TrivialOffsetCalculatorILi1EjESB_NS0_6memory15LoadWithoutCastENSC_16StoreWithoutCastEEEviT_T0_T2_T3_T4_T5_
                                        ; -- End function
	.set _ZN2at6native27unrolled_elementwise_kernelIZZZNS0_16asin_kernel_cudaERNS_18TensorIteratorBaseEENKUlvE0_clEvENKUlvE_clEvEUldE_St5arrayIPcLm2EELi4E23TrivialOffsetCalculatorILi1EjESB_NS0_6memory15LoadWithoutCastENSC_16StoreWithoutCastEEEviT_T0_T2_T3_T4_T5_.num_vgpr, 29
	.set _ZN2at6native27unrolled_elementwise_kernelIZZZNS0_16asin_kernel_cudaERNS_18TensorIteratorBaseEENKUlvE0_clEvENKUlvE_clEvEUldE_St5arrayIPcLm2EELi4E23TrivialOffsetCalculatorILi1EjESB_NS0_6memory15LoadWithoutCastENSC_16StoreWithoutCastEEEviT_T0_T2_T3_T4_T5_.num_agpr, 0
	.set _ZN2at6native27unrolled_elementwise_kernelIZZZNS0_16asin_kernel_cudaERNS_18TensorIteratorBaseEENKUlvE0_clEvENKUlvE_clEvEUldE_St5arrayIPcLm2EELi4E23TrivialOffsetCalculatorILi1EjESB_NS0_6memory15LoadWithoutCastENSC_16StoreWithoutCastEEEviT_T0_T2_T3_T4_T5_.numbered_sgpr, 12
	.set _ZN2at6native27unrolled_elementwise_kernelIZZZNS0_16asin_kernel_cudaERNS_18TensorIteratorBaseEENKUlvE0_clEvENKUlvE_clEvEUldE_St5arrayIPcLm2EELi4E23TrivialOffsetCalculatorILi1EjESB_NS0_6memory15LoadWithoutCastENSC_16StoreWithoutCastEEEviT_T0_T2_T3_T4_T5_.num_named_barrier, 0
	.set _ZN2at6native27unrolled_elementwise_kernelIZZZNS0_16asin_kernel_cudaERNS_18TensorIteratorBaseEENKUlvE0_clEvENKUlvE_clEvEUldE_St5arrayIPcLm2EELi4E23TrivialOffsetCalculatorILi1EjESB_NS0_6memory15LoadWithoutCastENSC_16StoreWithoutCastEEEviT_T0_T2_T3_T4_T5_.private_seg_size, 0
	.set _ZN2at6native27unrolled_elementwise_kernelIZZZNS0_16asin_kernel_cudaERNS_18TensorIteratorBaseEENKUlvE0_clEvENKUlvE_clEvEUldE_St5arrayIPcLm2EELi4E23TrivialOffsetCalculatorILi1EjESB_NS0_6memory15LoadWithoutCastENSC_16StoreWithoutCastEEEviT_T0_T2_T3_T4_T5_.uses_vcc, 1
	.set _ZN2at6native27unrolled_elementwise_kernelIZZZNS0_16asin_kernel_cudaERNS_18TensorIteratorBaseEENKUlvE0_clEvENKUlvE_clEvEUldE_St5arrayIPcLm2EELi4E23TrivialOffsetCalculatorILi1EjESB_NS0_6memory15LoadWithoutCastENSC_16StoreWithoutCastEEEviT_T0_T2_T3_T4_T5_.uses_flat_scratch, 0
	.set _ZN2at6native27unrolled_elementwise_kernelIZZZNS0_16asin_kernel_cudaERNS_18TensorIteratorBaseEENKUlvE0_clEvENKUlvE_clEvEUldE_St5arrayIPcLm2EELi4E23TrivialOffsetCalculatorILi1EjESB_NS0_6memory15LoadWithoutCastENSC_16StoreWithoutCastEEEviT_T0_T2_T3_T4_T5_.has_dyn_sized_stack, 0
	.set _ZN2at6native27unrolled_elementwise_kernelIZZZNS0_16asin_kernel_cudaERNS_18TensorIteratorBaseEENKUlvE0_clEvENKUlvE_clEvEUldE_St5arrayIPcLm2EELi4E23TrivialOffsetCalculatorILi1EjESB_NS0_6memory15LoadWithoutCastENSC_16StoreWithoutCastEEEviT_T0_T2_T3_T4_T5_.has_recursion, 0
	.set _ZN2at6native27unrolled_elementwise_kernelIZZZNS0_16asin_kernel_cudaERNS_18TensorIteratorBaseEENKUlvE0_clEvENKUlvE_clEvEUldE_St5arrayIPcLm2EELi4E23TrivialOffsetCalculatorILi1EjESB_NS0_6memory15LoadWithoutCastENSC_16StoreWithoutCastEEEviT_T0_T2_T3_T4_T5_.has_indirect_call, 0
	.section	.AMDGPU.csdata,"",@progbits
; Kernel info:
; codeLenInByte = 4196
; TotalNumSgprs: 16
; NumVgprs: 29
; ScratchSize: 0
; MemoryBound: 0
; FloatMode: 240
; IeeeMode: 1
; LDSByteSize: 0 bytes/workgroup (compile time only)
; SGPRBlocks: 1
; VGPRBlocks: 7
; NumSGPRsForWavesPerEU: 16
; NumVGPRsForWavesPerEU: 29
; Occupancy: 8
; WaveLimiterHint : 0
; COMPUTE_PGM_RSRC2:SCRATCH_EN: 0
; COMPUTE_PGM_RSRC2:USER_SGPR: 6
; COMPUTE_PGM_RSRC2:TRAP_HANDLER: 0
; COMPUTE_PGM_RSRC2:TGID_X_EN: 1
; COMPUTE_PGM_RSRC2:TGID_Y_EN: 0
; COMPUTE_PGM_RSRC2:TGID_Z_EN: 0
; COMPUTE_PGM_RSRC2:TIDIG_COMP_CNT: 0
	.section	.text._ZN2at6native32elementwise_kernel_manual_unrollILi128ELi4EZNS0_22gpu_kernel_impl_nocastIZZZNS0_16asin_kernel_cudaERNS_18TensorIteratorBaseEENKUlvE0_clEvENKUlvE_clEvEUldE_EEvS4_RKT_EUlibE_EEviT1_,"axG",@progbits,_ZN2at6native32elementwise_kernel_manual_unrollILi128ELi4EZNS0_22gpu_kernel_impl_nocastIZZZNS0_16asin_kernel_cudaERNS_18TensorIteratorBaseEENKUlvE0_clEvENKUlvE_clEvEUldE_EEvS4_RKT_EUlibE_EEviT1_,comdat
	.globl	_ZN2at6native32elementwise_kernel_manual_unrollILi128ELi4EZNS0_22gpu_kernel_impl_nocastIZZZNS0_16asin_kernel_cudaERNS_18TensorIteratorBaseEENKUlvE0_clEvENKUlvE_clEvEUldE_EEvS4_RKT_EUlibE_EEviT1_ ; -- Begin function _ZN2at6native32elementwise_kernel_manual_unrollILi128ELi4EZNS0_22gpu_kernel_impl_nocastIZZZNS0_16asin_kernel_cudaERNS_18TensorIteratorBaseEENKUlvE0_clEvENKUlvE_clEvEUldE_EEvS4_RKT_EUlibE_EEviT1_
	.p2align	8
	.type	_ZN2at6native32elementwise_kernel_manual_unrollILi128ELi4EZNS0_22gpu_kernel_impl_nocastIZZZNS0_16asin_kernel_cudaERNS_18TensorIteratorBaseEENKUlvE0_clEvENKUlvE_clEvEUldE_EEvS4_RKT_EUlibE_EEviT1_,@function
_ZN2at6native32elementwise_kernel_manual_unrollILi128ELi4EZNS0_22gpu_kernel_impl_nocastIZZZNS0_16asin_kernel_cudaERNS_18TensorIteratorBaseEENKUlvE0_clEvENKUlvE_clEvEUldE_EEvS4_RKT_EUlibE_EEviT1_: ; @_ZN2at6native32elementwise_kernel_manual_unrollILi128ELi4EZNS0_22gpu_kernel_impl_nocastIZZZNS0_16asin_kernel_cudaERNS_18TensorIteratorBaseEENKUlvE0_clEvENKUlvE_clEvEUldE_EEvS4_RKT_EUlibE_EEviT1_
; %bb.0:
	s_load_dword s55, s[4:5], 0x0
	s_load_dword s33, s[4:5], 0x8
	s_add_u32 s34, s4, 8
	s_addc_u32 s35, s5, 0
	v_lshl_or_b32 v9, s6, 9, v0
	v_or_b32_e32 v11, 0x180, v9
	s_waitcnt lgkmcnt(0)
	s_add_i32 s54, s33, -1
	s_cmp_gt_u32 s54, 1
	v_cmp_le_i32_e32 vcc, s55, v11
	s_cselect_b64 s[36:37], -1, 0
	s_and_saveexec_b64 s[0:1], vcc
	s_xor_b64 s[38:39], exec, s[0:1]
	s_cbranch_execz .LBB38_7
; %bb.1:
	s_load_dwordx4 s[24:27], s[34:35], 0x4
	s_load_dwordx2 s[40:41], s[34:35], 0x14
	s_load_dwordx4 s[20:23], s[34:35], 0xc4
	s_load_dwordx4 s[16:19], s[34:35], 0x148
	s_cmp_lg_u32 s33, 0
	s_cselect_b64 s[46:47], -1, 0
	s_add_u32 s44, s34, 0xc4
	s_addc_u32 s45, s35, 0
	s_min_u32 s56, s54, 15
	s_cmp_gt_u32 s33, 1
	s_cselect_b64 s[42:43], -1, 0
	v_cmp_gt_i32_e32 vcc, s55, v9
	s_and_saveexec_b64 s[48:49], vcc
	s_cbranch_execz .LBB38_14
; %bb.2:
	s_andn2_b64 vcc, exec, s[36:37]
	s_cbranch_vccnz .LBB38_21
; %bb.3:
	s_andn2_b64 vcc, exec, s[46:47]
	s_cbranch_vccnz .LBB38_81
; %bb.4:
	s_add_i32 s58, s56, 1
	s_cmp_eq_u32 s54, 2
	s_cbranch_scc1 .LBB38_83
; %bb.5:
	s_and_b32 s57, s58, 28
	v_mov_b32_e32 v2, 0
	s_mov_b32 s59, 0
	s_mov_b64 s[50:51], s[34:35]
	s_mov_b64 s[52:53], s[44:45]
	v_mov_b32_e32 v0, 0
	v_mov_b32_e32 v1, v9
.LBB38_6:                               ; =>This Inner Loop Header: Depth=1
	s_load_dwordx8 s[8:15], s[50:51], 0x4
	s_load_dwordx4 s[28:31], s[50:51], 0x24
	s_load_dwordx8 s[0:7], s[52:53], 0x0
	s_add_u32 s50, s50, 48
	s_addc_u32 s51, s51, 0
	s_waitcnt lgkmcnt(0)
	v_mul_hi_u32 v3, s9, v1
	s_add_i32 s59, s59, 4
	s_add_u32 s52, s52, 32
	s_addc_u32 s53, s53, 0
	v_add_u32_e32 v3, v1, v3
	v_lshrrev_b32_e32 v3, s10, v3
	v_mul_lo_u32 v4, v3, s8
	v_mul_hi_u32 v5, s12, v3
	s_cmp_lg_u32 s57, s59
	v_sub_u32_e32 v1, v1, v4
	v_add_u32_e32 v4, v3, v5
	v_mul_lo_u32 v5, v1, s0
	v_mul_lo_u32 v6, v1, s1
	v_lshrrev_b32_e32 v1, s13, v4
	v_mul_lo_u32 v4, v1, s11
	v_mul_hi_u32 v7, s15, v1
	v_sub_u32_e32 v3, v3, v4
	v_add_u32_e32 v4, v1, v7
	v_lshrrev_b32_e32 v4, s28, v4
	v_mul_hi_u32 v8, s30, v4
	v_mul_lo_u32 v10, v4, s14
	v_mul_lo_u32 v7, v3, s2
	;; [unrolled: 1-line block ×3, first 2 shown]
	v_sub_u32_e32 v10, v1, v10
	v_add_u32_e32 v1, v4, v8
	v_lshrrev_b32_e32 v1, s31, v1
	v_mul_lo_u32 v8, v1, s29
	v_mul_lo_u32 v11, v10, s4
	;; [unrolled: 1-line block ×3, first 2 shown]
	v_add3_u32 v0, v5, v0, v7
	v_sub_u32_e32 v4, v4, v8
	v_mul_lo_u32 v8, v4, s6
	v_mul_lo_u32 v4, v4, s7
	v_add3_u32 v2, v6, v2, v3
	v_add3_u32 v0, v11, v0, v8
	;; [unrolled: 1-line block ×3, first 2 shown]
	s_cbranch_scc1 .LBB38_6
	s_branch .LBB38_84
.LBB38_7:
	s_andn2_saveexec_b64 s[0:1], s[38:39]
	s_cbranch_execz .LBB38_113
.LBB38_8:
	v_cndmask_b32_e64 v0, 0, 1, s[36:37]
	v_cmp_ne_u32_e64 s[0:1], 1, v0
	s_andn2_b64 vcc, exec, s[36:37]
	s_cbranch_vccnz .LBB38_20
; %bb.9:
	s_cmp_lg_u32 s33, 0
	s_waitcnt lgkmcnt(0)
	s_mov_b32 s26, 0
	s_cbranch_scc0 .LBB38_23
; %bb.10:
	s_min_u32 s27, s54, 15
	s_add_i32 s27, s27, 1
	s_cmp_eq_u32 s54, 2
	s_cbranch_scc1 .LBB38_24
; %bb.11:
	s_and_b32 s26, s27, 28
	s_add_u32 s2, s34, 0xc4
	s_addc_u32 s3, s35, 0
	v_mov_b32_e32 v4, 0
	s_mov_b32 s28, 0
	s_mov_b64 s[24:25], s[34:35]
	v_mov_b32_e32 v0, 0
	v_mov_b32_e32 v1, v9
.LBB38_12:                              ; =>This Inner Loop Header: Depth=1
	s_load_dwordx8 s[12:19], s[24:25], 0x4
	s_load_dwordx4 s[20:23], s[24:25], 0x24
	s_load_dwordx8 s[4:11], s[2:3], 0x0
	s_add_u32 s24, s24, 48
	s_addc_u32 s25, s25, 0
	s_waitcnt lgkmcnt(0)
	v_mul_hi_u32 v2, s13, v1
	s_add_i32 s28, s28, 4
	s_add_u32 s2, s2, 32
	s_addc_u32 s3, s3, 0
	v_add_u32_e32 v2, v1, v2
	v_lshrrev_b32_e32 v2, s14, v2
	v_mul_lo_u32 v3, v2, s12
	v_mul_hi_u32 v5, s16, v2
	s_cmp_lg_u32 s26, s28
	v_sub_u32_e32 v1, v1, v3
	v_add_u32_e32 v3, v2, v5
	v_mul_lo_u32 v5, v1, s4
	v_mul_lo_u32 v6, v1, s5
	v_lshrrev_b32_e32 v1, s17, v3
	v_mul_lo_u32 v3, v1, s15
	v_mul_hi_u32 v7, s19, v1
	v_sub_u32_e32 v2, v2, v3
	v_add_u32_e32 v3, v1, v7
	v_lshrrev_b32_e32 v3, s20, v3
	v_mul_hi_u32 v8, s22, v3
	v_mul_lo_u32 v10, v3, s18
	v_mul_lo_u32 v7, v2, s6
	;; [unrolled: 1-line block ×3, first 2 shown]
	v_sub_u32_e32 v10, v1, v10
	v_add_u32_e32 v1, v3, v8
	v_lshrrev_b32_e32 v1, s23, v1
	v_mul_lo_u32 v8, v1, s21
	v_mul_lo_u32 v12, v10, s8
	;; [unrolled: 1-line block ×3, first 2 shown]
	v_add3_u32 v0, v5, v0, v7
	v_sub_u32_e32 v3, v3, v8
	v_mul_lo_u32 v8, v3, s10
	v_mul_lo_u32 v3, v3, s11
	v_add3_u32 v2, v6, v4, v2
	v_add3_u32 v0, v12, v0, v8
	;; [unrolled: 1-line block ×3, first 2 shown]
	s_cbranch_scc1 .LBB38_12
; %bb.13:
	s_and_b32 s6, s27, 3
	s_cmp_eq_u32 s6, 0
	s_cbranch_scc0 .LBB38_25
	s_branch .LBB38_27
.LBB38_14:
	s_or_b64 exec, exec, s[48:49]
	v_cmp_gt_i32_e32 vcc, s55, v9
	s_and_saveexec_b64 s[48:49], vcc
	s_cbranch_execz .LBB38_93
.LBB38_15:
	s_andn2_b64 vcc, exec, s[36:37]
	s_cbranch_vccnz .LBB38_22
; %bb.16:
	s_andn2_b64 vcc, exec, s[46:47]
	s_cbranch_vccnz .LBB38_82
; %bb.17:
	s_add_i32 s58, s56, 1
	s_cmp_eq_u32 s54, 2
	s_cbranch_scc1 .LBB38_101
; %bb.18:
	s_and_b32 s57, s58, 28
	v_mov_b32_e32 v2, 0
	s_mov_b32 s59, 0
	s_mov_b64 s[50:51], s[34:35]
	s_mov_b64 s[52:53], s[44:45]
	v_mov_b32_e32 v0, 0
	v_mov_b32_e32 v1, v9
.LBB38_19:                              ; =>This Inner Loop Header: Depth=1
	s_load_dwordx8 s[8:15], s[50:51], 0x4
	s_load_dwordx4 s[28:31], s[50:51], 0x24
	s_load_dwordx8 s[0:7], s[52:53], 0x0
	s_add_u32 s50, s50, 48
	s_addc_u32 s51, s51, 0
	s_waitcnt lgkmcnt(0)
	v_mul_hi_u32 v3, s9, v1
	s_add_i32 s59, s59, 4
	s_add_u32 s52, s52, 32
	s_addc_u32 s53, s53, 0
	v_add_u32_e32 v3, v1, v3
	v_lshrrev_b32_e32 v3, s10, v3
	v_mul_lo_u32 v4, v3, s8
	v_mul_hi_u32 v5, s12, v3
	s_cmp_eq_u32 s57, s59
	v_sub_u32_e32 v1, v1, v4
	v_add_u32_e32 v4, v3, v5
	v_mul_lo_u32 v5, v1, s0
	v_mul_lo_u32 v6, v1, s1
	v_lshrrev_b32_e32 v1, s13, v4
	v_mul_lo_u32 v4, v1, s11
	v_mul_hi_u32 v7, s15, v1
	v_sub_u32_e32 v3, v3, v4
	v_add_u32_e32 v4, v1, v7
	v_lshrrev_b32_e32 v4, s28, v4
	v_mul_hi_u32 v8, s30, v4
	v_mul_lo_u32 v10, v4, s14
	v_mul_lo_u32 v7, v3, s2
	;; [unrolled: 1-line block ×3, first 2 shown]
	v_sub_u32_e32 v10, v1, v10
	v_add_u32_e32 v1, v4, v8
	v_lshrrev_b32_e32 v1, s31, v1
	v_mul_lo_u32 v8, v1, s29
	v_mul_lo_u32 v11, v10, s4
	;; [unrolled: 1-line block ×3, first 2 shown]
	v_add3_u32 v0, v5, v0, v7
	v_sub_u32_e32 v4, v4, v8
	v_mul_lo_u32 v8, v4, s6
	v_mul_lo_u32 v4, v4, s7
	v_add3_u32 v2, v6, v2, v3
	v_add3_u32 v0, v11, v0, v8
	v_add3_u32 v2, v10, v2, v4
	s_cbranch_scc0 .LBB38_19
	s_branch .LBB38_102
.LBB38_20:
                                        ; implicit-def: $vgpr0
                                        ; implicit-def: $vgpr4
	s_branch .LBB38_28
.LBB38_21:
                                        ; implicit-def: $vgpr0
                                        ; implicit-def: $vgpr2
	s_branch .LBB38_88
.LBB38_22:
                                        ; implicit-def: $vgpr0
                                        ; implicit-def: $vgpr2
	s_branch .LBB38_106
.LBB38_23:
	v_mov_b32_e32 v0, 0
	v_mov_b32_e32 v4, 0
	s_branch .LBB38_27
.LBB38_24:
	v_mov_b32_e32 v0, 0
	v_mov_b32_e32 v4, 0
	v_mov_b32_e32 v1, v9
	s_and_b32 s6, s27, 3
	s_cmp_eq_u32 s6, 0
	s_cbranch_scc1 .LBB38_27
.LBB38_25:
	s_lshl_b32 s2, s26, 3
	s_add_u32 s2, s34, s2
	s_addc_u32 s3, s35, 0
	s_add_u32 s2, s2, 0xc4
	s_addc_u32 s3, s3, 0
	s_mul_i32 s4, s26, 12
	s_add_u32 s4, s34, s4
	s_addc_u32 s5, s35, 0
.LBB38_26:                              ; =>This Inner Loop Header: Depth=1
	s_load_dwordx2 s[8:9], s[4:5], 0x4
	s_load_dword s7, s[4:5], 0xc
	s_load_dwordx2 s[10:11], s[2:3], 0x0
	s_add_u32 s4, s4, 12
	s_addc_u32 s5, s5, 0
	s_waitcnt lgkmcnt(0)
	v_mul_hi_u32 v2, s9, v1
	s_add_u32 s2, s2, 8
	s_addc_u32 s3, s3, 0
	s_add_i32 s6, s6, -1
	v_add_u32_e32 v2, v1, v2
	v_lshrrev_b32_e32 v2, s7, v2
	v_mul_lo_u32 v3, v2, s8
	s_cmp_lg_u32 s6, 0
	v_sub_u32_e32 v3, v1, v3
	v_mad_u64_u32 v[0:1], s[8:9], v3, s10, v[0:1]
	v_mad_u64_u32 v[4:5], s[8:9], v3, s11, v[4:5]
	v_mov_b32_e32 v1, v2
	s_cbranch_scc1 .LBB38_26
.LBB38_27:
	s_cbranch_execnz .LBB38_30
.LBB38_28:
	s_load_dwordx4 s[4:7], s[34:35], 0x4
	s_load_dwordx2 s[2:3], s[34:35], 0xc4
	s_cmp_lt_u32 s33, 2
	s_waitcnt lgkmcnt(0)
	v_mul_hi_u32 v0, s5, v9
	v_add_u32_e32 v0, v9, v0
	v_lshrrev_b32_e32 v1, s6, v0
	v_mul_lo_u32 v0, v1, s4
	v_sub_u32_e32 v2, v9, v0
	v_mul_lo_u32 v0, v2, s2
	v_mul_lo_u32 v4, v2, s3
	s_cbranch_scc1 .LBB38_30
; %bb.29:
	s_load_dwordx4 s[4:7], s[34:35], 0x10
	s_load_dwordx2 s[2:3], s[34:35], 0xcc
	s_waitcnt lgkmcnt(0)
	v_mul_hi_u32 v2, s5, v1
	v_add_u32_e32 v2, v1, v2
	v_lshrrev_b32_e32 v2, s6, v2
	v_mul_lo_u32 v2, v2, s4
	v_sub_u32_e32 v2, v1, v2
	v_mad_u64_u32 v[0:1], s[4:5], v2, s2, v[0:1]
	v_mad_u64_u32 v[4:5], s[2:3], v2, s3, v[4:5]
.LBB38_30:
	s_and_b64 vcc, exec, s[0:1]
	v_add_u32_e32 v3, 0x80, v9
	s_cbranch_vccnz .LBB38_36
; %bb.31:
	s_cmp_lg_u32 s33, 0
	s_waitcnt lgkmcnt(0)
	s_mov_b32 s26, 0
	s_cbranch_scc0 .LBB38_37
; %bb.32:
	s_min_u32 s27, s54, 15
	s_add_i32 s27, s27, 1
	s_cmp_eq_u32 s54, 2
	s_cbranch_scc1 .LBB38_38
; %bb.33:
	s_and_b32 s26, s27, 28
	s_add_u32 s2, s34, 0xc4
	s_addc_u32 s3, s35, 0
	v_mov_b32_e32 v5, 0
	s_mov_b32 s28, 0
	s_mov_b64 s[24:25], s[34:35]
	v_mov_b32_e32 v1, 0
	v_mov_b32_e32 v2, v3
.LBB38_34:                              ; =>This Inner Loop Header: Depth=1
	s_load_dwordx8 s[12:19], s[24:25], 0x4
	s_load_dwordx4 s[20:23], s[24:25], 0x24
	s_load_dwordx8 s[4:11], s[2:3], 0x0
	s_add_u32 s24, s24, 48
	s_addc_u32 s25, s25, 0
	s_waitcnt lgkmcnt(0)
	v_mul_hi_u32 v6, s13, v2
	s_add_i32 s28, s28, 4
	s_add_u32 s2, s2, 32
	s_addc_u32 s3, s3, 0
	v_add_u32_e32 v6, v2, v6
	v_lshrrev_b32_e32 v6, s14, v6
	v_mul_lo_u32 v7, v6, s12
	v_mul_hi_u32 v8, s16, v6
	s_cmp_lg_u32 s26, s28
	v_sub_u32_e32 v2, v2, v7
	v_add_u32_e32 v7, v6, v8
	v_mul_lo_u32 v8, v2, s4
	v_mul_lo_u32 v10, v2, s5
	v_lshrrev_b32_e32 v2, s17, v7
	v_mul_lo_u32 v7, v2, s15
	v_mul_hi_u32 v12, s19, v2
	v_sub_u32_e32 v6, v6, v7
	v_add_u32_e32 v7, v2, v12
	v_lshrrev_b32_e32 v7, s20, v7
	v_mul_hi_u32 v13, s22, v7
	v_mul_lo_u32 v14, v7, s18
	v_mul_lo_u32 v12, v6, s6
	;; [unrolled: 1-line block ×3, first 2 shown]
	v_sub_u32_e32 v14, v2, v14
	v_add_u32_e32 v2, v7, v13
	v_lshrrev_b32_e32 v2, s23, v2
	v_mul_lo_u32 v13, v2, s21
	v_mul_lo_u32 v15, v14, s8
	;; [unrolled: 1-line block ×3, first 2 shown]
	v_add3_u32 v1, v8, v1, v12
	v_sub_u32_e32 v7, v7, v13
	v_mul_lo_u32 v13, v7, s10
	v_mul_lo_u32 v7, v7, s11
	v_add3_u32 v5, v10, v5, v6
	v_add3_u32 v1, v15, v1, v13
	;; [unrolled: 1-line block ×3, first 2 shown]
	s_cbranch_scc1 .LBB38_34
; %bb.35:
	s_and_b32 s6, s27, 3
	s_cmp_eq_u32 s6, 0
	s_cbranch_scc0 .LBB38_39
	s_branch .LBB38_41
.LBB38_36:
                                        ; implicit-def: $vgpr1
                                        ; implicit-def: $vgpr5
	s_branch .LBB38_42
.LBB38_37:
	v_mov_b32_e32 v1, 0
	v_mov_b32_e32 v5, 0
	s_branch .LBB38_41
.LBB38_38:
	v_mov_b32_e32 v1, 0
	v_mov_b32_e32 v5, 0
	;; [unrolled: 1-line block ×3, first 2 shown]
	s_and_b32 s6, s27, 3
	s_cmp_eq_u32 s6, 0
	s_cbranch_scc1 .LBB38_41
.LBB38_39:
	s_lshl_b32 s2, s26, 3
	s_add_u32 s2, s34, s2
	s_addc_u32 s3, s35, 0
	s_add_u32 s2, s2, 0xc4
	s_addc_u32 s3, s3, 0
	s_mul_i32 s4, s26, 12
	s_add_u32 s4, s34, s4
	s_addc_u32 s5, s35, 0
.LBB38_40:                              ; =>This Inner Loop Header: Depth=1
	s_load_dwordx2 s[8:9], s[4:5], 0x4
	s_load_dword s7, s[4:5], 0xc
	s_load_dwordx2 s[10:11], s[2:3], 0x0
	s_add_u32 s4, s4, 12
	s_addc_u32 s5, s5, 0
	s_waitcnt lgkmcnt(0)
	v_mul_hi_u32 v6, s9, v2
	s_add_u32 s2, s2, 8
	s_addc_u32 s3, s3, 0
	s_add_i32 s6, s6, -1
	v_add_u32_e32 v6, v2, v6
	v_lshrrev_b32_e32 v7, s7, v6
	v_mul_lo_u32 v6, v7, s8
	s_cmp_lg_u32 s6, 0
	v_sub_u32_e32 v6, v2, v6
	v_mad_u64_u32 v[1:2], s[8:9], v6, s10, v[1:2]
	v_mad_u64_u32 v[5:6], s[8:9], v6, s11, v[5:6]
	v_mov_b32_e32 v2, v7
	s_cbranch_scc1 .LBB38_40
.LBB38_41:
	s_cbranch_execnz .LBB38_44
.LBB38_42:
	s_load_dwordx4 s[4:7], s[34:35], 0x4
	s_load_dwordx2 s[2:3], s[34:35], 0xc4
	s_cmp_lt_u32 s33, 2
	s_waitcnt lgkmcnt(0)
	v_mul_hi_u32 v1, s5, v3
	v_add_u32_e32 v1, v3, v1
	v_lshrrev_b32_e32 v2, s6, v1
	v_mul_lo_u32 v1, v2, s4
	v_sub_u32_e32 v3, v3, v1
	v_mul_lo_u32 v1, v3, s2
	v_mul_lo_u32 v5, v3, s3
	s_cbranch_scc1 .LBB38_44
; %bb.43:
	s_load_dwordx4 s[4:7], s[34:35], 0x10
	s_load_dwordx2 s[2:3], s[34:35], 0xcc
	s_waitcnt lgkmcnt(0)
	v_mul_hi_u32 v3, s5, v2
	v_add_u32_e32 v3, v2, v3
	v_lshrrev_b32_e32 v3, s6, v3
	v_mul_lo_u32 v3, v3, s4
	v_sub_u32_e32 v3, v2, v3
	v_mad_u64_u32 v[1:2], s[4:5], v3, s2, v[1:2]
	v_mad_u64_u32 v[5:6], s[2:3], v3, s3, v[5:6]
.LBB38_44:
	s_and_b64 vcc, exec, s[0:1]
	v_add_u32_e32 v6, 0x100, v9
	s_cbranch_vccnz .LBB38_50
; %bb.45:
	s_cmp_lg_u32 s33, 0
	s_waitcnt lgkmcnt(0)
	s_mov_b32 s26, 0
	s_cbranch_scc0 .LBB38_51
; %bb.46:
	s_min_u32 s27, s54, 15
	s_add_i32 s27, s27, 1
	s_cmp_eq_u32 s54, 2
	s_cbranch_scc1 .LBB38_52
; %bb.47:
	s_and_b32 s26, s27, 28
	s_add_u32 s2, s34, 0xc4
	s_addc_u32 s3, s35, 0
	v_mov_b32_e32 v8, 0
	s_mov_b32 s28, 0
	s_mov_b64 s[24:25], s[34:35]
	v_mov_b32_e32 v2, 0
	v_mov_b32_e32 v3, v6
.LBB38_48:                              ; =>This Inner Loop Header: Depth=1
	s_load_dwordx8 s[12:19], s[24:25], 0x4
	s_load_dwordx4 s[20:23], s[24:25], 0x24
	s_load_dwordx8 s[4:11], s[2:3], 0x0
	s_add_u32 s24, s24, 48
	s_addc_u32 s25, s25, 0
	s_waitcnt lgkmcnt(0)
	v_mul_hi_u32 v7, s13, v3
	s_add_i32 s28, s28, 4
	s_add_u32 s2, s2, 32
	s_addc_u32 s3, s3, 0
	v_add_u32_e32 v7, v3, v7
	v_lshrrev_b32_e32 v7, s14, v7
	v_mul_lo_u32 v9, v7, s12
	v_mul_hi_u32 v10, s16, v7
	s_cmp_lg_u32 s26, s28
	v_sub_u32_e32 v3, v3, v9
	v_add_u32_e32 v9, v7, v10
	v_mul_lo_u32 v10, v3, s4
	v_mul_lo_u32 v12, v3, s5
	v_lshrrev_b32_e32 v3, s17, v9
	v_mul_lo_u32 v9, v3, s15
	v_mul_hi_u32 v13, s19, v3
	v_sub_u32_e32 v7, v7, v9
	v_add_u32_e32 v9, v3, v13
	v_lshrrev_b32_e32 v9, s20, v9
	v_mul_hi_u32 v14, s22, v9
	v_mul_lo_u32 v15, v9, s18
	v_mul_lo_u32 v13, v7, s6
	;; [unrolled: 1-line block ×3, first 2 shown]
	v_sub_u32_e32 v15, v3, v15
	v_add_u32_e32 v3, v9, v14
	v_lshrrev_b32_e32 v3, s23, v3
	v_mul_lo_u32 v14, v3, s21
	v_mul_lo_u32 v16, v15, s8
	;; [unrolled: 1-line block ×3, first 2 shown]
	v_add3_u32 v2, v10, v2, v13
	v_sub_u32_e32 v9, v9, v14
	v_mul_lo_u32 v14, v9, s10
	v_mul_lo_u32 v9, v9, s11
	v_add3_u32 v7, v12, v8, v7
	v_add3_u32 v2, v16, v2, v14
	;; [unrolled: 1-line block ×3, first 2 shown]
	s_cbranch_scc1 .LBB38_48
; %bb.49:
	s_and_b32 s6, s27, 3
	s_cmp_eq_u32 s6, 0
	s_cbranch_scc0 .LBB38_53
	s_branch .LBB38_55
.LBB38_50:
                                        ; implicit-def: $vgpr2
                                        ; implicit-def: $vgpr8
	s_branch .LBB38_56
.LBB38_51:
	v_mov_b32_e32 v2, 0
	v_mov_b32_e32 v8, 0
	s_branch .LBB38_55
.LBB38_52:
	v_mov_b32_e32 v2, 0
	v_mov_b32_e32 v8, 0
	;; [unrolled: 1-line block ×3, first 2 shown]
	s_and_b32 s6, s27, 3
	s_cmp_eq_u32 s6, 0
	s_cbranch_scc1 .LBB38_55
.LBB38_53:
	s_lshl_b32 s2, s26, 3
	s_add_u32 s2, s34, s2
	s_addc_u32 s3, s35, 0
	s_add_u32 s2, s2, 0xc4
	s_addc_u32 s3, s3, 0
	s_mul_i32 s4, s26, 12
	s_add_u32 s4, s34, s4
	s_addc_u32 s5, s35, 0
.LBB38_54:                              ; =>This Inner Loop Header: Depth=1
	s_load_dwordx2 s[8:9], s[4:5], 0x4
	s_load_dword s7, s[4:5], 0xc
	s_load_dwordx2 s[10:11], s[2:3], 0x0
	s_add_u32 s4, s4, 12
	s_addc_u32 s5, s5, 0
	s_waitcnt lgkmcnt(0)
	v_mul_hi_u32 v7, s9, v3
	s_add_u32 s2, s2, 8
	s_addc_u32 s3, s3, 0
	s_add_i32 s6, s6, -1
	v_add_u32_e32 v7, v3, v7
	v_lshrrev_b32_e32 v7, s7, v7
	v_mul_lo_u32 v9, v7, s8
	s_cmp_lg_u32 s6, 0
	v_sub_u32_e32 v9, v3, v9
	v_mad_u64_u32 v[2:3], s[8:9], v9, s10, v[2:3]
	v_mad_u64_u32 v[8:9], s[8:9], v9, s11, v[8:9]
	v_mov_b32_e32 v3, v7
	s_cbranch_scc1 .LBB38_54
.LBB38_55:
	s_cbranch_execnz .LBB38_58
.LBB38_56:
	s_load_dwordx4 s[4:7], s[34:35], 0x4
	s_load_dwordx2 s[2:3], s[34:35], 0xc4
	s_cmp_lt_u32 s33, 2
	s_waitcnt lgkmcnt(0)
	v_mul_hi_u32 v2, s5, v6
	v_add_u32_e32 v2, v6, v2
	v_lshrrev_b32_e32 v3, s6, v2
	v_mul_lo_u32 v2, v3, s4
	v_sub_u32_e32 v6, v6, v2
	v_mul_lo_u32 v2, v6, s2
	v_mul_lo_u32 v8, v6, s3
	s_cbranch_scc1 .LBB38_58
; %bb.57:
	s_load_dwordx4 s[4:7], s[34:35], 0x10
	s_load_dwordx2 s[2:3], s[34:35], 0xcc
	s_waitcnt lgkmcnt(0)
	v_mul_hi_u32 v6, s5, v3
	v_add_u32_e32 v6, v3, v6
	v_lshrrev_b32_e32 v6, s6, v6
	v_mul_lo_u32 v6, v6, s4
	v_sub_u32_e32 v6, v3, v6
	v_mad_u64_u32 v[2:3], s[4:5], v6, s2, v[2:3]
	v_mad_u64_u32 v[8:9], s[2:3], v6, s3, v[8:9]
.LBB38_58:
	s_and_b64 vcc, exec, s[0:1]
	s_cbranch_vccnz .LBB38_64
; %bb.59:
	s_cmp_lg_u32 s33, 0
	s_waitcnt lgkmcnt(0)
	s_mov_b32 s24, 0
	s_cbranch_scc0 .LBB38_65
; %bb.60:
	s_min_u32 s25, s54, 15
	s_add_i32 s25, s25, 1
	s_cmp_eq_u32 s54, 2
	s_cbranch_scc1 .LBB38_66
; %bb.61:
	s_and_b32 s24, s25, 28
	s_add_u32 s20, s34, 0xc4
	s_addc_u32 s21, s35, 0
	v_mov_b32_e32 v9, 0
	s_mov_b32 s26, 0
	s_mov_b64 s[22:23], s[34:35]
	v_mov_b32_e32 v6, 0
	v_mov_b32_e32 v3, v11
.LBB38_62:                              ; =>This Inner Loop Header: Depth=1
	s_load_dwordx8 s[8:15], s[22:23], 0x4
	s_load_dwordx4 s[16:19], s[22:23], 0x24
	s_load_dwordx8 s[0:7], s[20:21], 0x0
	s_add_u32 s22, s22, 48
	s_addc_u32 s23, s23, 0
	s_waitcnt lgkmcnt(0)
	v_mul_hi_u32 v7, s9, v3
	s_add_i32 s26, s26, 4
	s_add_u32 s20, s20, 32
	s_addc_u32 s21, s21, 0
	v_add_u32_e32 v7, v3, v7
	v_lshrrev_b32_e32 v7, s10, v7
	v_mul_lo_u32 v10, v7, s8
	v_mul_hi_u32 v12, s12, v7
	s_cmp_lg_u32 s24, s26
	v_sub_u32_e32 v3, v3, v10
	v_add_u32_e32 v10, v7, v12
	v_mul_lo_u32 v12, v3, s0
	v_mul_lo_u32 v13, v3, s1
	v_lshrrev_b32_e32 v3, s13, v10
	v_mul_lo_u32 v10, v3, s11
	v_mul_hi_u32 v14, s15, v3
	v_sub_u32_e32 v7, v7, v10
	v_add_u32_e32 v10, v3, v14
	v_lshrrev_b32_e32 v10, s16, v10
	v_mul_hi_u32 v15, s18, v10
	v_mul_lo_u32 v16, v10, s14
	v_mul_lo_u32 v14, v7, s2
	;; [unrolled: 1-line block ×3, first 2 shown]
	v_sub_u32_e32 v16, v3, v16
	v_add_u32_e32 v3, v10, v15
	v_lshrrev_b32_e32 v3, s19, v3
	v_mul_lo_u32 v15, v3, s17
	v_mul_lo_u32 v17, v16, s4
	;; [unrolled: 1-line block ×3, first 2 shown]
	v_add3_u32 v6, v12, v6, v14
	v_sub_u32_e32 v10, v10, v15
	v_mul_lo_u32 v15, v10, s6
	v_mul_lo_u32 v10, v10, s7
	v_add3_u32 v7, v13, v9, v7
	v_add3_u32 v6, v17, v6, v15
	v_add3_u32 v9, v16, v7, v10
	s_cbranch_scc1 .LBB38_62
; %bb.63:
	s_and_b32 s4, s25, 3
	s_cmp_eq_u32 s4, 0
	s_cbranch_scc0 .LBB38_67
	s_branch .LBB38_69
.LBB38_64:
                                        ; implicit-def: $vgpr6
                                        ; implicit-def: $vgpr9
	s_branch .LBB38_70
.LBB38_65:
	v_mov_b32_e32 v6, 0
	v_mov_b32_e32 v9, 0
	s_branch .LBB38_69
.LBB38_66:
	v_mov_b32_e32 v6, 0
	v_mov_b32_e32 v9, 0
	;; [unrolled: 1-line block ×3, first 2 shown]
	s_and_b32 s4, s25, 3
	s_cmp_eq_u32 s4, 0
	s_cbranch_scc1 .LBB38_69
.LBB38_67:
	s_lshl_b32 s0, s24, 3
	s_add_u32 s0, s34, s0
	s_addc_u32 s1, s35, 0
	s_add_u32 s0, s0, 0xc4
	s_addc_u32 s1, s1, 0
	s_mul_i32 s2, s24, 12
	s_add_u32 s2, s34, s2
	s_addc_u32 s3, s35, 0
.LBB38_68:                              ; =>This Inner Loop Header: Depth=1
	s_load_dwordx2 s[6:7], s[2:3], 0x4
	s_load_dword s5, s[2:3], 0xc
	s_load_dwordx2 s[8:9], s[0:1], 0x0
	s_add_u32 s2, s2, 12
	s_addc_u32 s3, s3, 0
	s_waitcnt lgkmcnt(0)
	v_mul_hi_u32 v7, s7, v3
	s_add_u32 s0, s0, 8
	s_addc_u32 s1, s1, 0
	s_add_i32 s4, s4, -1
	v_add_u32_e32 v7, v3, v7
	v_lshrrev_b32_e32 v12, s5, v7
	v_mul_lo_u32 v7, v12, s6
	s_cmp_lg_u32 s4, 0
	v_sub_u32_e32 v3, v3, v7
	v_mad_u64_u32 v[6:7], s[6:7], v3, s8, v[6:7]
	v_mad_u64_u32 v[9:10], s[6:7], v3, s9, v[9:10]
	v_mov_b32_e32 v3, v12
	s_cbranch_scc1 .LBB38_68
.LBB38_69:
	s_cbranch_execnz .LBB38_72
.LBB38_70:
	s_load_dwordx4 s[0:3], s[34:35], 0x4
	s_load_dwordx2 s[4:5], s[34:35], 0xc4
	s_cmp_lt_u32 s33, 2
	s_waitcnt lgkmcnt(0)
	v_mul_hi_u32 v3, s1, v11
	v_add_u32_e32 v3, v11, v3
	v_lshrrev_b32_e32 v3, s2, v3
	v_mul_lo_u32 v6, v3, s0
	v_sub_u32_e32 v7, v11, v6
	v_mul_lo_u32 v6, v7, s4
	v_mul_lo_u32 v9, v7, s5
	s_cbranch_scc1 .LBB38_72
; %bb.71:
	s_load_dwordx4 s[0:3], s[34:35], 0x10
	s_load_dwordx2 s[4:5], s[34:35], 0xcc
	s_waitcnt lgkmcnt(0)
	v_mul_hi_u32 v7, s1, v3
	v_add_u32_e32 v7, v3, v7
	v_lshrrev_b32_e32 v7, s2, v7
	v_mul_lo_u32 v7, v7, s0
	v_sub_u32_e32 v3, v3, v7
	v_mad_u64_u32 v[6:7], s[0:1], v3, s4, v[6:7]
	v_mad_u64_u32 v[9:10], s[0:1], v3, s5, v[9:10]
.LBB38_72:
	s_load_dwordx4 s[0:3], s[34:35], 0x148
	s_mov_b32 s4, 0x9fea6a70
	v_mov_b32_e32 v14, 0x78a05eaf
	v_mov_b32_e32 v15, 0xbf90a5a3
	s_mov_b32 s5, 0x3fa05985
	s_waitcnt lgkmcnt(0)
	global_load_dwordx2 v[3:4], v4, s[2:3]
	s_mov_b32 s6, 0x37024d6a
	s_mov_b32 s7, 0x3f940521
	;; [unrolled: 1-line block ×20, first 2 shown]
	s_waitcnt vmcnt(0)
	v_fma_f64 v[12:13], |v[3:4]|, -0.5, 0.5
	v_mul_f64 v[10:11], v[3:4], v[3:4]
	v_cmp_ge_f64_e64 vcc, |v[3:4]|, 0.5
	v_cndmask_b32_e32 v11, v11, v13, vcc
	v_cndmask_b32_e32 v10, v10, v12, vcc
	v_fma_f64 v[16:17], v[10:11], s[4:5], v[14:15]
	v_fma_f64 v[16:17], v[10:11], v[16:17], s[6:7]
	;; [unrolled: 1-line block ×11, first 2 shown]
	v_mul_f64 v[16:17], v[10:11], v[16:17]
	v_fma_f64 v[10:11], |v[3:4]|, v[16:17], |v[3:4]|
	s_and_saveexec_b64 s[26:27], vcc
	s_cbranch_execz .LBB38_74
; %bb.73:
	v_rsq_f64_e32 v[10:11], v[12:13]
	v_cmp_eq_f64_e32 vcc, 0, v[12:13]
	s_mov_b32 s28, 0x54442d18
	s_mov_b32 s29, 0x3fe921fb
	v_mov_b32_e32 v7, 0x3ff921fb
	v_mul_f64 v[18:19], v[12:13], v[10:11]
	v_mul_f64 v[10:11], v[10:11], 0.5
	v_fma_f64 v[20:21], -v[10:11], v[18:19], 0.5
	v_fma_f64 v[18:19], v[18:19], v[20:21], v[18:19]
	v_fma_f64 v[10:11], v[10:11], v[20:21], v[10:11]
	v_fma_f64 v[20:21], -v[18:19], v[18:19], v[12:13]
	v_fma_f64 v[10:11], v[20:21], v[10:11], v[18:19]
	v_cndmask_b32_e32 v11, v11, v13, vcc
	v_cndmask_b32_e32 v10, v10, v12, vcc
	v_add_f64 v[18:19], v[10:11], v[10:11]
	v_mul_f64 v[20:21], v[10:11], v[10:11]
	v_rcp_f64_e32 v[22:23], v[18:19]
	v_add_f64 v[24:25], v[12:13], -v[20:21]
	v_fma_f64 v[28:29], v[10:11], v[10:11], -v[20:21]
	v_add_f64 v[12:13], v[12:13], -v[24:25]
	v_fma_f64 v[26:27], -v[18:19], v[22:23], 1.0
	v_add_f64 v[12:13], v[12:13], -v[20:21]
	v_fma_f64 v[20:21], v[26:27], v[22:23], v[22:23]
	v_add_f64 v[12:13], v[12:13], -v[28:29]
	v_fma_f64 v[22:23], -v[18:19], v[20:21], 1.0
	v_add_f64 v[12:13], v[24:25], v[12:13]
	v_fma_f64 v[20:21], v[22:23], v[20:21], v[20:21]
	v_mul_f64 v[22:23], v[12:13], v[20:21]
	v_fma_f64 v[12:13], -v[18:19], v[22:23], v[12:13]
	v_fma_f64 v[12:13], v[12:13], v[20:21], v[22:23]
	v_cndmask_b32_e64 v13, v13, 0, vcc
	v_cndmask_b32_e64 v12, v12, 0, vcc
	v_add_f64 v[18:19], v[10:11], v[12:13]
	v_cmp_neq_f64_e64 vcc, |v[3:4]|, 1.0
	v_mov_b32_e32 v3, 0x54442d18
	v_add_f64 v[10:11], v[18:19], -v[10:11]
	v_mul_f64 v[20:21], v[16:17], v[18:19]
	v_add_f64 v[10:11], v[12:13], -v[10:11]
	v_fma_f64 v[12:13], v[18:19], v[16:17], -v[20:21]
	v_fma_f64 v[12:13], v[10:11], v[16:17], v[12:13]
	v_add_f64 v[16:17], v[20:21], v[12:13]
	v_add_f64 v[22:23], v[18:19], v[16:17]
	v_add_f64 v[20:21], v[16:17], -v[20:21]
	v_add_f64 v[18:19], v[22:23], -v[18:19]
	;; [unrolled: 1-line block ×4, first 2 shown]
	v_add_f64 v[10:11], v[10:11], v[12:13]
	v_add_f64 v[10:11], v[10:11], v[16:17]
	;; [unrolled: 1-line block ×3, first 2 shown]
	v_add_f64 v[16:17], -v[12:13], s[28:29]
	v_add_f64 v[20:21], v[12:13], -v[22:23]
	v_add_f64 v[18:19], -v[16:17], s[28:29]
	s_mov_b32 s28, 0x33145c07
	s_mov_b32 s29, 0x3c81a626
	v_add_f64 v[10:11], v[20:21], -v[10:11]
	v_add_f64 v[12:13], v[18:19], -v[12:13]
	v_add_f64 v[12:13], v[12:13], s[28:29]
	v_add_f64 v[10:11], v[10:11], v[12:13]
	;; [unrolled: 1-line block ×4, first 2 shown]
	v_cndmask_b32_e32 v11, v7, v11, vcc
	v_cndmask_b32_e32 v10, v3, v10, vcc
.LBB38_74:
	s_or_b64 exec, exec, s[26:27]
	global_load_dwordx2 v[12:13], v5, s[2:3]
	s_waitcnt vmcnt(0)
	v_fma_f64 v[18:19], |v[12:13]|, -0.5, 0.5
	v_mul_f64 v[16:17], v[12:13], v[12:13]
	v_cmp_ge_f64_e64 vcc, |v[12:13]|, 0.5
	v_cndmask_b32_e32 v17, v17, v19, vcc
	v_cndmask_b32_e32 v16, v16, v18, vcc
	v_fma_f64 v[14:15], v[16:17], s[4:5], v[14:15]
	v_fma_f64 v[14:15], v[16:17], v[14:15], s[6:7]
	v_fma_f64 v[14:15], v[16:17], v[14:15], s[8:9]
	v_fma_f64 v[14:15], v[16:17], v[14:15], s[10:11]
	v_fma_f64 v[14:15], v[16:17], v[14:15], s[12:13]
	v_fma_f64 v[14:15], v[16:17], v[14:15], s[14:15]
	v_fma_f64 v[14:15], v[16:17], v[14:15], s[16:17]
	v_fma_f64 v[14:15], v[16:17], v[14:15], s[18:19]
	v_fma_f64 v[14:15], v[16:17], v[14:15], s[20:21]
	v_fma_f64 v[14:15], v[16:17], v[14:15], s[22:23]
	v_fma_f64 v[14:15], v[16:17], v[14:15], s[24:25]
	v_mul_f64 v[16:17], v[16:17], v[14:15]
	v_fma_f64 v[14:15], |v[12:13]|, v[16:17], |v[12:13]|
	s_and_saveexec_b64 s[4:5], vcc
	s_cbranch_execz .LBB38_76
; %bb.75:
	v_rsq_f64_e32 v[14:15], v[18:19]
	v_cmp_eq_f64_e32 vcc, 0, v[18:19]
	s_mov_b32 s6, 0x54442d18
	s_mov_b32 s7, 0x3fe921fb
	v_mov_b32_e32 v3, 0x3ff921fb
	v_mov_b32_e32 v5, 0x54442d18
	v_mul_f64 v[20:21], v[18:19], v[14:15]
	v_mul_f64 v[14:15], v[14:15], 0.5
	v_fma_f64 v[22:23], -v[14:15], v[20:21], 0.5
	v_fma_f64 v[20:21], v[20:21], v[22:23], v[20:21]
	v_fma_f64 v[14:15], v[14:15], v[22:23], v[14:15]
	v_fma_f64 v[22:23], -v[20:21], v[20:21], v[18:19]
	v_fma_f64 v[14:15], v[22:23], v[14:15], v[20:21]
	v_cndmask_b32_e32 v15, v15, v19, vcc
	v_cndmask_b32_e32 v14, v14, v18, vcc
	v_add_f64 v[20:21], v[14:15], v[14:15]
	v_mul_f64 v[22:23], v[14:15], v[14:15]
	v_rcp_f64_e32 v[24:25], v[20:21]
	v_add_f64 v[26:27], v[18:19], -v[22:23]
	v_fma_f64 v[30:31], v[14:15], v[14:15], -v[22:23]
	v_add_f64 v[18:19], v[18:19], -v[26:27]
	v_fma_f64 v[28:29], -v[20:21], v[24:25], 1.0
	v_add_f64 v[18:19], v[18:19], -v[22:23]
	v_fma_f64 v[22:23], v[28:29], v[24:25], v[24:25]
	v_add_f64 v[18:19], v[18:19], -v[30:31]
	v_fma_f64 v[24:25], -v[20:21], v[22:23], 1.0
	v_add_f64 v[18:19], v[26:27], v[18:19]
	v_fma_f64 v[22:23], v[24:25], v[22:23], v[22:23]
	v_mul_f64 v[24:25], v[18:19], v[22:23]
	v_fma_f64 v[18:19], -v[20:21], v[24:25], v[18:19]
	v_fma_f64 v[18:19], v[18:19], v[22:23], v[24:25]
	v_cndmask_b32_e64 v19, v19, 0, vcc
	v_cndmask_b32_e64 v18, v18, 0, vcc
	v_add_f64 v[20:21], v[14:15], v[18:19]
	v_cmp_neq_f64_e64 vcc, |v[12:13]|, 1.0
	v_add_f64 v[14:15], v[20:21], -v[14:15]
	v_mul_f64 v[22:23], v[16:17], v[20:21]
	v_add_f64 v[14:15], v[18:19], -v[14:15]
	v_fma_f64 v[18:19], v[20:21], v[16:17], -v[22:23]
	v_fma_f64 v[16:17], v[14:15], v[16:17], v[18:19]
	v_add_f64 v[18:19], v[22:23], v[16:17]
	v_add_f64 v[24:25], v[20:21], v[18:19]
	v_add_f64 v[22:23], v[18:19], -v[22:23]
	v_add_f64 v[20:21], v[24:25], -v[20:21]
	;; [unrolled: 1-line block ×4, first 2 shown]
	v_add_f64 v[14:15], v[14:15], v[16:17]
	v_add_f64 v[14:15], v[14:15], v[18:19]
	v_add_f64 v[16:17], v[24:25], v[14:15]
	v_add_f64 v[18:19], -v[16:17], s[6:7]
	v_add_f64 v[22:23], v[16:17], -v[24:25]
	v_add_f64 v[20:21], -v[18:19], s[6:7]
	s_mov_b32 s6, 0x33145c07
	s_mov_b32 s7, 0x3c81a626
	v_add_f64 v[14:15], v[22:23], -v[14:15]
	v_add_f64 v[16:17], v[20:21], -v[16:17]
	v_add_f64 v[16:17], v[16:17], s[6:7]
	v_add_f64 v[14:15], v[14:15], v[16:17]
	v_add_f64 v[14:15], v[18:19], v[14:15]
	v_add_f64 v[14:15], v[14:15], v[14:15]
	v_cndmask_b32_e32 v15, v3, v15, vcc
	v_cndmask_b32_e32 v14, v5, v14, vcc
.LBB38_76:
	s_or_b64 exec, exec, s[4:5]
	global_load_dwordx2 v[7:8], v8, s[2:3]
	s_mov_b32 s4, 0x9fea6a70
	v_mov_b32_e32 v16, 0x78a05eaf
	v_mov_b32_e32 v17, 0xbf90a5a3
	s_mov_b32 s5, 0x3fa05985
	s_mov_b32 s6, 0x37024d6a
	;; [unrolled: 1-line block ×3, first 2 shown]
	s_waitcnt vmcnt(0)
	v_fma_f64 v[20:21], |v[7:8]|, -0.5, 0.5
	v_mul_f64 v[18:19], v[7:8], v[7:8]
	v_cmp_ge_f64_e64 vcc, |v[7:8]|, 0.5
	v_cndmask_b32_e32 v19, v19, v21, vcc
	v_cndmask_b32_e32 v18, v18, v20, vcc
	v_fma_f64 v[22:23], v[18:19], s[4:5], v[16:17]
	v_fma_f64 v[22:23], v[18:19], v[22:23], s[6:7]
	;; [unrolled: 1-line block ×11, first 2 shown]
	v_mul_f64 v[22:23], v[18:19], v[22:23]
	v_fma_f64 v[18:19], |v[7:8]|, v[22:23], |v[7:8]|
	s_and_saveexec_b64 s[26:27], vcc
	s_cbranch_execz .LBB38_78
; %bb.77:
	v_rsq_f64_e32 v[18:19], v[20:21]
	v_cmp_eq_f64_e32 vcc, 0, v[20:21]
	s_mov_b32 s28, 0x54442d18
	s_mov_b32 s29, 0x3fe921fb
	v_mov_b32_e32 v3, 0x3ff921fb
	v_mov_b32_e32 v5, 0x54442d18
	v_mul_f64 v[24:25], v[20:21], v[18:19]
	v_mul_f64 v[18:19], v[18:19], 0.5
	v_fma_f64 v[26:27], -v[18:19], v[24:25], 0.5
	v_fma_f64 v[24:25], v[24:25], v[26:27], v[24:25]
	v_fma_f64 v[18:19], v[18:19], v[26:27], v[18:19]
	v_fma_f64 v[26:27], -v[24:25], v[24:25], v[20:21]
	v_fma_f64 v[18:19], v[26:27], v[18:19], v[24:25]
	v_cndmask_b32_e32 v19, v19, v21, vcc
	v_cndmask_b32_e32 v18, v18, v20, vcc
	v_add_f64 v[24:25], v[18:19], v[18:19]
	v_mul_f64 v[26:27], v[18:19], v[18:19]
	v_rcp_f64_e32 v[28:29], v[24:25]
	v_add_f64 v[30:31], v[20:21], -v[26:27]
	v_fma_f64 v[34:35], v[18:19], v[18:19], -v[26:27]
	v_add_f64 v[20:21], v[20:21], -v[30:31]
	v_fma_f64 v[32:33], -v[24:25], v[28:29], 1.0
	v_add_f64 v[20:21], v[20:21], -v[26:27]
	v_fma_f64 v[26:27], v[32:33], v[28:29], v[28:29]
	v_add_f64 v[20:21], v[20:21], -v[34:35]
	v_fma_f64 v[28:29], -v[24:25], v[26:27], 1.0
	v_add_f64 v[20:21], v[30:31], v[20:21]
	v_fma_f64 v[26:27], v[28:29], v[26:27], v[26:27]
	v_mul_f64 v[28:29], v[20:21], v[26:27]
	v_fma_f64 v[20:21], -v[24:25], v[28:29], v[20:21]
	v_fma_f64 v[20:21], v[20:21], v[26:27], v[28:29]
	v_cndmask_b32_e64 v21, v21, 0, vcc
	v_cndmask_b32_e64 v20, v20, 0, vcc
	v_add_f64 v[24:25], v[18:19], v[20:21]
	v_cmp_neq_f64_e64 vcc, |v[7:8]|, 1.0
	v_add_f64 v[18:19], v[24:25], -v[18:19]
	v_mul_f64 v[26:27], v[22:23], v[24:25]
	v_add_f64 v[18:19], v[20:21], -v[18:19]
	v_fma_f64 v[20:21], v[24:25], v[22:23], -v[26:27]
	v_fma_f64 v[20:21], v[18:19], v[22:23], v[20:21]
	v_add_f64 v[22:23], v[26:27], v[20:21]
	v_add_f64 v[28:29], v[24:25], v[22:23]
	v_add_f64 v[26:27], v[22:23], -v[26:27]
	v_add_f64 v[24:25], v[28:29], -v[24:25]
	;; [unrolled: 1-line block ×4, first 2 shown]
	v_add_f64 v[18:19], v[18:19], v[20:21]
	v_add_f64 v[18:19], v[18:19], v[22:23]
	;; [unrolled: 1-line block ×3, first 2 shown]
	v_add_f64 v[22:23], -v[20:21], s[28:29]
	v_add_f64 v[26:27], v[20:21], -v[28:29]
	v_add_f64 v[24:25], -v[22:23], s[28:29]
	s_mov_b32 s28, 0x33145c07
	s_mov_b32 s29, 0x3c81a626
	v_add_f64 v[18:19], v[26:27], -v[18:19]
	v_add_f64 v[20:21], v[24:25], -v[20:21]
	v_add_f64 v[20:21], v[20:21], s[28:29]
	v_add_f64 v[18:19], v[18:19], v[20:21]
	;; [unrolled: 1-line block ×4, first 2 shown]
	v_cndmask_b32_e32 v19, v3, v19, vcc
	v_cndmask_b32_e32 v18, v5, v18, vcc
.LBB38_78:
	s_or_b64 exec, exec, s[26:27]
	global_load_dwordx2 v[20:21], v9, s[2:3]
	s_waitcnt vmcnt(0)
	v_fma_f64 v[22:23], |v[20:21]|, -0.5, 0.5
	v_mul_f64 v[24:25], v[20:21], v[20:21]
	v_cmp_ge_f64_e64 vcc, |v[20:21]|, 0.5
	v_cndmask_b32_e32 v25, v25, v23, vcc
	v_cndmask_b32_e32 v24, v24, v22, vcc
	v_fma_f64 v[16:17], v[24:25], s[4:5], v[16:17]
	v_fma_f64 v[16:17], v[24:25], v[16:17], s[6:7]
	;; [unrolled: 1-line block ×11, first 2 shown]
	v_mul_f64 v[16:17], v[24:25], v[16:17]
	v_fma_f64 v[24:25], |v[20:21]|, v[16:17], |v[20:21]|
	s_and_saveexec_b64 s[2:3], vcc
	s_cbranch_execz .LBB38_80
; %bb.79:
	v_rsq_f64_e32 v[24:25], v[22:23]
	v_cmp_eq_f64_e32 vcc, 0, v[22:23]
	s_mov_b32 s4, 0x54442d18
	s_mov_b32 s5, 0x3fe921fb
	v_mov_b32_e32 v3, 0x3ff921fb
	v_mov_b32_e32 v5, 0x54442d18
	v_mul_f64 v[26:27], v[22:23], v[24:25]
	v_mul_f64 v[24:25], v[24:25], 0.5
	v_fma_f64 v[28:29], -v[24:25], v[26:27], 0.5
	v_fma_f64 v[26:27], v[26:27], v[28:29], v[26:27]
	v_fma_f64 v[24:25], v[24:25], v[28:29], v[24:25]
	v_fma_f64 v[28:29], -v[26:27], v[26:27], v[22:23]
	v_fma_f64 v[24:25], v[28:29], v[24:25], v[26:27]
	v_cndmask_b32_e32 v25, v25, v23, vcc
	v_cndmask_b32_e32 v24, v24, v22, vcc
	v_add_f64 v[26:27], v[24:25], v[24:25]
	v_mul_f64 v[28:29], v[24:25], v[24:25]
	v_rcp_f64_e32 v[30:31], v[26:27]
	v_add_f64 v[32:33], v[22:23], -v[28:29]
	v_fma_f64 v[36:37], v[24:25], v[24:25], -v[28:29]
	v_add_f64 v[22:23], v[22:23], -v[32:33]
	v_fma_f64 v[34:35], -v[26:27], v[30:31], 1.0
	v_add_f64 v[22:23], v[22:23], -v[28:29]
	v_fma_f64 v[28:29], v[34:35], v[30:31], v[30:31]
	v_add_f64 v[22:23], v[22:23], -v[36:37]
	v_fma_f64 v[30:31], -v[26:27], v[28:29], 1.0
	v_add_f64 v[22:23], v[32:33], v[22:23]
	v_fma_f64 v[28:29], v[30:31], v[28:29], v[28:29]
	v_mul_f64 v[30:31], v[22:23], v[28:29]
	v_fma_f64 v[22:23], -v[26:27], v[30:31], v[22:23]
	v_fma_f64 v[22:23], v[22:23], v[28:29], v[30:31]
	v_cndmask_b32_e64 v23, v23, 0, vcc
	v_cndmask_b32_e64 v22, v22, 0, vcc
	v_add_f64 v[26:27], v[24:25], v[22:23]
	v_cmp_neq_f64_e64 vcc, |v[20:21]|, 1.0
	v_add_f64 v[24:25], v[26:27], -v[24:25]
	v_mul_f64 v[28:29], v[16:17], v[26:27]
	v_add_f64 v[22:23], v[22:23], -v[24:25]
	v_fma_f64 v[24:25], v[26:27], v[16:17], -v[28:29]
	v_fma_f64 v[16:17], v[22:23], v[16:17], v[24:25]
	v_add_f64 v[24:25], v[28:29], v[16:17]
	v_add_f64 v[30:31], v[26:27], v[24:25]
	v_add_f64 v[28:29], v[24:25], -v[28:29]
	v_add_f64 v[26:27], v[30:31], -v[26:27]
	;; [unrolled: 1-line block ×4, first 2 shown]
	v_add_f64 v[16:17], v[22:23], v[16:17]
	v_add_f64 v[16:17], v[16:17], v[24:25]
	;; [unrolled: 1-line block ×3, first 2 shown]
	v_add_f64 v[24:25], -v[22:23], s[4:5]
	v_add_f64 v[28:29], v[22:23], -v[30:31]
	v_add_f64 v[26:27], -v[24:25], s[4:5]
	s_mov_b32 s4, 0x33145c07
	s_mov_b32 s5, 0x3c81a626
	v_add_f64 v[16:17], v[28:29], -v[16:17]
	v_add_f64 v[22:23], v[26:27], -v[22:23]
	v_add_f64 v[22:23], v[22:23], s[4:5]
	v_add_f64 v[16:17], v[16:17], v[22:23]
	;; [unrolled: 1-line block ×4, first 2 shown]
	v_cndmask_b32_e32 v25, v3, v17, vcc
	v_cndmask_b32_e32 v24, v5, v16, vcc
.LBB38_80:
	s_or_b64 exec, exec, s[2:3]
	s_brev_b32 s2, -2
	v_bfi_b32 v11, s2, v11, v4
	v_bfi_b32 v19, s2, v19, v8
	;; [unrolled: 1-line block ×4, first 2 shown]
	global_store_dwordx2 v0, v[10:11], s[0:1]
	global_store_dwordx2 v1, v[14:15], s[0:1]
	;; [unrolled: 1-line block ×4, first 2 shown]
	s_endpgm
.LBB38_81:
	v_mov_b32_e32 v0, 0
	v_mov_b32_e32 v2, 0
	s_branch .LBB38_87
.LBB38_82:
	v_mov_b32_e32 v0, 0
	v_mov_b32_e32 v2, 0
	s_branch .LBB38_105
.LBB38_83:
	s_mov_b32 s57, 0
	v_mov_b32_e32 v0, 0
	v_mov_b32_e32 v2, 0
	;; [unrolled: 1-line block ×3, first 2 shown]
.LBB38_84:
	s_and_b32 s4, s58, 3
	s_cmp_eq_u32 s4, 0
	s_cbranch_scc1 .LBB38_87
; %bb.85:
	s_lshl_b32 s0, s57, 3
	s_add_u32 s0, s34, s0
	s_addc_u32 s1, s35, 0
	s_add_u32 s0, s0, 0xc4
	s_addc_u32 s1, s1, 0
	s_mul_i32 s2, s57, 12
	s_add_u32 s2, s34, s2
	s_addc_u32 s3, s35, 0
.LBB38_86:                              ; =>This Inner Loop Header: Depth=1
	s_load_dwordx2 s[6:7], s[2:3], 0x4
	s_load_dword s5, s[2:3], 0xc
	s_load_dwordx2 s[8:9], s[0:1], 0x0
	s_add_u32 s2, s2, 12
	s_addc_u32 s3, s3, 0
	s_waitcnt lgkmcnt(0)
	v_mul_hi_u32 v3, s7, v1
	s_add_u32 s0, s0, 8
	s_addc_u32 s1, s1, 0
	s_add_i32 s4, s4, -1
	v_add_u32_e32 v3, v1, v3
	v_lshrrev_b32_e32 v4, s5, v3
	v_mul_lo_u32 v3, v4, s6
	s_cmp_lg_u32 s4, 0
	v_sub_u32_e32 v3, v1, v3
	v_mad_u64_u32 v[0:1], s[6:7], v3, s8, v[0:1]
	v_mad_u64_u32 v[2:3], s[6:7], v3, s9, v[2:3]
	v_mov_b32_e32 v1, v4
	s_cbranch_scc1 .LBB38_86
.LBB38_87:
	s_cbranch_execnz .LBB38_90
.LBB38_88:
	s_waitcnt lgkmcnt(0)
	v_mul_hi_u32 v0, s25, v9
	s_andn2_b64 vcc, exec, s[42:43]
	v_add_u32_e32 v0, v9, v0
	v_lshrrev_b32_e32 v1, s26, v0
	v_mul_lo_u32 v0, v1, s24
	v_sub_u32_e32 v2, v9, v0
	v_mul_lo_u32 v0, v2, s20
	v_mul_lo_u32 v2, v2, s21
	s_cbranch_vccnz .LBB38_90
; %bb.89:
	v_mul_hi_u32 v3, s40, v1
	v_add_u32_e32 v3, v1, v3
	v_lshrrev_b32_e32 v3, s41, v3
	v_mul_lo_u32 v3, v3, s27
	v_sub_u32_e32 v3, v1, v3
	v_mad_u64_u32 v[0:1], s[0:1], v3, s22, v[0:1]
	v_mad_u64_u32 v[2:3], s[0:1], v3, s23, v[2:3]
.LBB38_90:
	s_waitcnt lgkmcnt(0)
	global_load_dwordx2 v[1:2], v2, s[18:19]
	s_mov_b32 s0, 0x9fea6a70
	v_mov_b32_e32 v7, 0x78a05eaf
	v_mov_b32_e32 v8, 0xbf90a5a3
	s_mov_b32 s1, 0x3fa05985
	s_waitcnt vmcnt(0)
	v_fma_f64 v[3:4], |v[1:2]|, -0.5, 0.5
	v_mul_f64 v[5:6], v[1:2], v[1:2]
	v_cmp_ge_f64_e64 vcc, |v[1:2]|, 0.5
	v_cndmask_b32_e32 v6, v6, v4, vcc
	v_cndmask_b32_e32 v5, v5, v3, vcc
	v_fma_f64 v[7:8], v[5:6], s[0:1], v[7:8]
	s_mov_b32 s0, 0x37024d6a
	s_mov_b32 s1, 0x3f940521
	v_fma_f64 v[7:8], v[5:6], v[7:8], s[0:1]
	s_mov_b32 s0, 0x98a70509
	s_mov_b32 s1, 0x3f7ab3a0
	;; [unrolled: 3-line block ×10, first 2 shown]
	v_fma_f64 v[7:8], v[5:6], v[7:8], s[0:1]
	v_mul_f64 v[5:6], v[5:6], v[7:8]
	v_fma_f64 v[7:8], |v[1:2]|, v[5:6], |v[1:2]|
	s_and_saveexec_b64 s[0:1], vcc
	s_cbranch_execz .LBB38_92
; %bb.91:
	v_rsq_f64_e32 v[7:8], v[3:4]
	v_cmp_eq_f64_e32 vcc, 0, v[3:4]
	s_mov_b32 s2, 0x54442d18
	s_mov_b32 s3, 0x3fe921fb
	v_mul_f64 v[10:11], v[3:4], v[7:8]
	v_mul_f64 v[7:8], v[7:8], 0.5
	v_fma_f64 v[12:13], -v[7:8], v[10:11], 0.5
	v_fma_f64 v[10:11], v[10:11], v[12:13], v[10:11]
	v_fma_f64 v[7:8], v[7:8], v[12:13], v[7:8]
	v_fma_f64 v[12:13], -v[10:11], v[10:11], v[3:4]
	v_fma_f64 v[7:8], v[12:13], v[7:8], v[10:11]
	v_cndmask_b32_e32 v8, v8, v4, vcc
	v_cndmask_b32_e32 v7, v7, v3, vcc
	v_add_f64 v[10:11], v[7:8], v[7:8]
	v_mul_f64 v[12:13], v[7:8], v[7:8]
	v_rcp_f64_e32 v[14:15], v[10:11]
	v_add_f64 v[16:17], v[3:4], -v[12:13]
	v_fma_f64 v[20:21], v[7:8], v[7:8], -v[12:13]
	v_add_f64 v[3:4], v[3:4], -v[16:17]
	v_fma_f64 v[18:19], -v[10:11], v[14:15], 1.0
	v_add_f64 v[3:4], v[3:4], -v[12:13]
	v_fma_f64 v[12:13], v[18:19], v[14:15], v[14:15]
	v_add_f64 v[3:4], v[3:4], -v[20:21]
	v_fma_f64 v[14:15], -v[10:11], v[12:13], 1.0
	v_add_f64 v[3:4], v[16:17], v[3:4]
	v_fma_f64 v[12:13], v[14:15], v[12:13], v[12:13]
	v_mul_f64 v[14:15], v[3:4], v[12:13]
	v_fma_f64 v[3:4], -v[10:11], v[14:15], v[3:4]
	v_fma_f64 v[3:4], v[3:4], v[12:13], v[14:15]
	v_cndmask_b32_e64 v4, v4, 0, vcc
	v_cndmask_b32_e64 v3, v3, 0, vcc
	v_add_f64 v[10:11], v[7:8], v[3:4]
	v_cmp_neq_f64_e64 vcc, |v[1:2]|, 1.0
	v_mov_b32_e32 v1, 0x54442d18
	v_add_f64 v[7:8], v[10:11], -v[7:8]
	v_mul_f64 v[12:13], v[5:6], v[10:11]
	v_add_f64 v[3:4], v[3:4], -v[7:8]
	v_fma_f64 v[7:8], v[10:11], v[5:6], -v[12:13]
	v_fma_f64 v[5:6], v[3:4], v[5:6], v[7:8]
	v_add_f64 v[7:8], v[12:13], v[5:6]
	v_add_f64 v[14:15], v[10:11], v[7:8]
	v_add_f64 v[12:13], v[7:8], -v[12:13]
	v_add_f64 v[10:11], v[14:15], -v[10:11]
	;; [unrolled: 1-line block ×4, first 2 shown]
	v_add_f64 v[3:4], v[3:4], v[5:6]
	v_add_f64 v[3:4], v[3:4], v[7:8]
	v_add_f64 v[5:6], v[14:15], v[3:4]
	v_add_f64 v[7:8], -v[5:6], s[2:3]
	v_add_f64 v[12:13], v[5:6], -v[14:15]
	v_add_f64 v[10:11], -v[7:8], s[2:3]
	s_mov_b32 s2, 0x33145c07
	s_mov_b32 s3, 0x3c81a626
	v_add_f64 v[3:4], v[12:13], -v[3:4]
	v_add_f64 v[5:6], v[10:11], -v[5:6]
	v_add_f64 v[5:6], v[5:6], s[2:3]
	v_add_f64 v[3:4], v[3:4], v[5:6]
	v_mov_b32_e32 v5, 0x3ff921fb
	v_add_f64 v[3:4], v[7:8], v[3:4]
	v_add_f64 v[3:4], v[3:4], v[3:4]
	v_cndmask_b32_e32 v8, v5, v4, vcc
	v_cndmask_b32_e32 v7, v1, v3, vcc
.LBB38_92:
	s_or_b64 exec, exec, s[0:1]
	s_brev_b32 s0, -2
	v_bfi_b32 v8, s0, v8, v2
	v_add_u32_e32 v9, 0x80, v9
	global_store_dwordx2 v0, v[7:8], s[16:17]
	s_or_b64 exec, exec, s[48:49]
	v_cmp_gt_i32_e32 vcc, s55, v9
	s_and_saveexec_b64 s[48:49], vcc
	s_cbranch_execnz .LBB38_15
.LBB38_93:
	s_or_b64 exec, exec, s[48:49]
	v_cmp_gt_i32_e32 vcc, s55, v9
	s_and_saveexec_b64 s[48:49], vcc
	s_cbranch_execz .LBB38_111
.LBB38_94:
	s_andn2_b64 vcc, exec, s[36:37]
	s_cbranch_vccnz .LBB38_99
; %bb.95:
	s_andn2_b64 vcc, exec, s[46:47]
	s_cbranch_vccnz .LBB38_100
; %bb.96:
	s_add_i32 s58, s56, 1
	s_cmp_eq_u32 s54, 2
	s_cbranch_scc1 .LBB38_114
; %bb.97:
	s_and_b32 s57, s58, 28
	v_mov_b32_e32 v2, 0
	s_mov_b32 s59, 0
	s_mov_b64 s[50:51], s[34:35]
	s_mov_b64 s[52:53], s[44:45]
	v_mov_b32_e32 v0, 0
	v_mov_b32_e32 v1, v9
.LBB38_98:                              ; =>This Inner Loop Header: Depth=1
	s_load_dwordx8 s[8:15], s[50:51], 0x4
	s_load_dwordx4 s[28:31], s[50:51], 0x24
	s_load_dwordx8 s[0:7], s[52:53], 0x0
	s_add_u32 s50, s50, 48
	s_addc_u32 s51, s51, 0
	s_waitcnt lgkmcnt(0)
	v_mul_hi_u32 v3, s9, v1
	s_add_i32 s59, s59, 4
	s_add_u32 s52, s52, 32
	s_addc_u32 s53, s53, 0
	v_add_u32_e32 v3, v1, v3
	v_lshrrev_b32_e32 v3, s10, v3
	v_mul_lo_u32 v4, v3, s8
	v_mul_hi_u32 v5, s12, v3
	s_cmp_eq_u32 s57, s59
	v_sub_u32_e32 v1, v1, v4
	v_add_u32_e32 v4, v3, v5
	v_mul_lo_u32 v5, v1, s0
	v_mul_lo_u32 v6, v1, s1
	v_lshrrev_b32_e32 v1, s13, v4
	v_mul_lo_u32 v4, v1, s11
	v_mul_hi_u32 v7, s15, v1
	v_sub_u32_e32 v3, v3, v4
	v_add_u32_e32 v4, v1, v7
	v_lshrrev_b32_e32 v4, s28, v4
	v_mul_hi_u32 v8, s30, v4
	v_mul_lo_u32 v10, v4, s14
	v_mul_lo_u32 v7, v3, s2
	;; [unrolled: 1-line block ×3, first 2 shown]
	v_sub_u32_e32 v10, v1, v10
	v_add_u32_e32 v1, v4, v8
	v_lshrrev_b32_e32 v1, s31, v1
	v_mul_lo_u32 v8, v1, s29
	v_mul_lo_u32 v11, v10, s4
	;; [unrolled: 1-line block ×3, first 2 shown]
	v_add3_u32 v0, v5, v0, v7
	v_sub_u32_e32 v4, v4, v8
	v_mul_lo_u32 v8, v4, s6
	v_mul_lo_u32 v4, v4, s7
	v_add3_u32 v2, v6, v2, v3
	v_add3_u32 v0, v11, v0, v8
	;; [unrolled: 1-line block ×3, first 2 shown]
	s_cbranch_scc0 .LBB38_98
	s_branch .LBB38_115
.LBB38_99:
                                        ; implicit-def: $vgpr0
                                        ; implicit-def: $vgpr2
	s_branch .LBB38_119
.LBB38_100:
	v_mov_b32_e32 v0, 0
	v_mov_b32_e32 v2, 0
	s_branch .LBB38_118
.LBB38_101:
	s_mov_b32 s57, 0
	v_mov_b32_e32 v0, 0
	v_mov_b32_e32 v2, 0
	;; [unrolled: 1-line block ×3, first 2 shown]
.LBB38_102:
	s_and_b32 s4, s58, 3
	s_cmp_eq_u32 s4, 0
	s_cbranch_scc1 .LBB38_105
; %bb.103:
	s_lshl_b32 s0, s57, 3
	s_add_u32 s0, s34, s0
	s_addc_u32 s1, s35, 0
	s_add_u32 s0, s0, 0xc4
	s_addc_u32 s1, s1, 0
	s_mul_i32 s2, s57, 12
	s_add_u32 s2, s34, s2
	s_addc_u32 s3, s35, 0
.LBB38_104:                             ; =>This Inner Loop Header: Depth=1
	s_load_dwordx2 s[6:7], s[2:3], 0x4
	s_load_dword s5, s[2:3], 0xc
	s_load_dwordx2 s[8:9], s[0:1], 0x0
	s_add_u32 s2, s2, 12
	s_addc_u32 s3, s3, 0
	s_waitcnt lgkmcnt(0)
	v_mul_hi_u32 v3, s7, v1
	s_add_u32 s0, s0, 8
	s_addc_u32 s1, s1, 0
	s_add_i32 s4, s4, -1
	v_add_u32_e32 v3, v1, v3
	v_lshrrev_b32_e32 v4, s5, v3
	v_mul_lo_u32 v3, v4, s6
	s_cmp_lg_u32 s4, 0
	v_sub_u32_e32 v3, v1, v3
	v_mad_u64_u32 v[0:1], s[6:7], v3, s8, v[0:1]
	v_mad_u64_u32 v[2:3], s[6:7], v3, s9, v[2:3]
	v_mov_b32_e32 v1, v4
	s_cbranch_scc1 .LBB38_104
.LBB38_105:
	s_cbranch_execnz .LBB38_108
.LBB38_106:
	s_waitcnt lgkmcnt(0)
	v_mul_hi_u32 v0, s25, v9
	s_andn2_b64 vcc, exec, s[42:43]
	v_add_u32_e32 v0, v9, v0
	v_lshrrev_b32_e32 v1, s26, v0
	v_mul_lo_u32 v0, v1, s24
	v_sub_u32_e32 v2, v9, v0
	v_mul_lo_u32 v0, v2, s20
	v_mul_lo_u32 v2, v2, s21
	s_cbranch_vccnz .LBB38_108
; %bb.107:
	v_mul_hi_u32 v3, s40, v1
	v_add_u32_e32 v3, v1, v3
	v_lshrrev_b32_e32 v3, s41, v3
	v_mul_lo_u32 v3, v3, s27
	v_sub_u32_e32 v3, v1, v3
	v_mad_u64_u32 v[0:1], s[0:1], v3, s22, v[0:1]
	v_mad_u64_u32 v[2:3], s[0:1], v3, s23, v[2:3]
.LBB38_108:
	s_waitcnt lgkmcnt(0)
	global_load_dwordx2 v[1:2], v2, s[18:19]
	s_mov_b32 s0, 0x9fea6a70
	v_mov_b32_e32 v7, 0x78a05eaf
	v_mov_b32_e32 v8, 0xbf90a5a3
	s_mov_b32 s1, 0x3fa05985
	s_waitcnt vmcnt(0)
	v_fma_f64 v[3:4], |v[1:2]|, -0.5, 0.5
	v_mul_f64 v[5:6], v[1:2], v[1:2]
	v_cmp_ge_f64_e64 vcc, |v[1:2]|, 0.5
	v_cndmask_b32_e32 v6, v6, v4, vcc
	v_cndmask_b32_e32 v5, v5, v3, vcc
	v_fma_f64 v[7:8], v[5:6], s[0:1], v[7:8]
	s_mov_b32 s0, 0x37024d6a
	s_mov_b32 s1, 0x3f940521
	v_fma_f64 v[7:8], v[5:6], v[7:8], s[0:1]
	s_mov_b32 s0, 0x98a70509
	s_mov_b32 s1, 0x3f7ab3a0
	v_fma_f64 v[7:8], v[5:6], v[7:8], s[0:1]
	s_mov_b32 s0, 0xa300c8d2
	s_mov_b32 s1, 0x3f88ed60
	v_fma_f64 v[7:8], v[5:6], v[7:8], s[0:1]
	s_mov_b32 s0, 0x4b77012b
	s_mov_b32 s1, 0x3f8c6fa8
	v_fma_f64 v[7:8], v[5:6], v[7:8], s[0:1]
	s_mov_b32 s0, 0x11dccb70
	s_mov_b32 s1, 0x3f91c6c1
	v_fma_f64 v[7:8], v[5:6], v[7:8], s[0:1]
	s_mov_b32 s0, 0xa0adacf
	s_mov_b32 s1, 0x3f96e89f
	v_fma_f64 v[7:8], v[5:6], v[7:8], s[0:1]
	s_mov_b32 s0, 0xc668963f
	s_mov_b32 s1, 0x3f9f1c72
	v_fma_f64 v[7:8], v[5:6], v[7:8], s[0:1]
	s_mov_b32 s0, 0xb41ce4bd
	s_mov_b32 s1, 0x3fa6db6d
	v_fma_f64 v[7:8], v[5:6], v[7:8], s[0:1]
	s_mov_b32 s0, 0x3336fd5b
	s_mov_b32 s1, 0x3fb33333
	v_fma_f64 v[7:8], v[5:6], v[7:8], s[0:1]
	s_mov_b32 s0, 0x55555380
	s_mov_b32 s1, 0x3fc55555
	v_fma_f64 v[7:8], v[5:6], v[7:8], s[0:1]
	v_mul_f64 v[5:6], v[5:6], v[7:8]
	v_fma_f64 v[7:8], |v[1:2]|, v[5:6], |v[1:2]|
	s_and_saveexec_b64 s[0:1], vcc
	s_cbranch_execz .LBB38_110
; %bb.109:
	v_rsq_f64_e32 v[7:8], v[3:4]
	v_cmp_eq_f64_e32 vcc, 0, v[3:4]
	s_mov_b32 s2, 0x54442d18
	s_mov_b32 s3, 0x3fe921fb
	v_mul_f64 v[10:11], v[3:4], v[7:8]
	v_mul_f64 v[7:8], v[7:8], 0.5
	v_fma_f64 v[12:13], -v[7:8], v[10:11], 0.5
	v_fma_f64 v[10:11], v[10:11], v[12:13], v[10:11]
	v_fma_f64 v[7:8], v[7:8], v[12:13], v[7:8]
	v_fma_f64 v[12:13], -v[10:11], v[10:11], v[3:4]
	v_fma_f64 v[7:8], v[12:13], v[7:8], v[10:11]
	v_cndmask_b32_e32 v8, v8, v4, vcc
	v_cndmask_b32_e32 v7, v7, v3, vcc
	v_add_f64 v[10:11], v[7:8], v[7:8]
	v_mul_f64 v[12:13], v[7:8], v[7:8]
	v_rcp_f64_e32 v[14:15], v[10:11]
	v_add_f64 v[16:17], v[3:4], -v[12:13]
	v_fma_f64 v[20:21], v[7:8], v[7:8], -v[12:13]
	v_add_f64 v[3:4], v[3:4], -v[16:17]
	v_fma_f64 v[18:19], -v[10:11], v[14:15], 1.0
	v_add_f64 v[3:4], v[3:4], -v[12:13]
	v_fma_f64 v[12:13], v[18:19], v[14:15], v[14:15]
	v_add_f64 v[3:4], v[3:4], -v[20:21]
	v_fma_f64 v[14:15], -v[10:11], v[12:13], 1.0
	v_add_f64 v[3:4], v[16:17], v[3:4]
	v_fma_f64 v[12:13], v[14:15], v[12:13], v[12:13]
	v_mul_f64 v[14:15], v[3:4], v[12:13]
	v_fma_f64 v[3:4], -v[10:11], v[14:15], v[3:4]
	v_fma_f64 v[3:4], v[3:4], v[12:13], v[14:15]
	v_cndmask_b32_e64 v4, v4, 0, vcc
	v_cndmask_b32_e64 v3, v3, 0, vcc
	v_add_f64 v[10:11], v[7:8], v[3:4]
	v_cmp_neq_f64_e64 vcc, |v[1:2]|, 1.0
	v_mov_b32_e32 v1, 0x54442d18
	v_add_f64 v[7:8], v[10:11], -v[7:8]
	v_mul_f64 v[12:13], v[5:6], v[10:11]
	v_add_f64 v[3:4], v[3:4], -v[7:8]
	v_fma_f64 v[7:8], v[10:11], v[5:6], -v[12:13]
	v_fma_f64 v[5:6], v[3:4], v[5:6], v[7:8]
	v_add_f64 v[7:8], v[12:13], v[5:6]
	v_add_f64 v[14:15], v[10:11], v[7:8]
	v_add_f64 v[12:13], v[7:8], -v[12:13]
	v_add_f64 v[10:11], v[14:15], -v[10:11]
	;; [unrolled: 1-line block ×4, first 2 shown]
	v_add_f64 v[3:4], v[3:4], v[5:6]
	v_add_f64 v[3:4], v[3:4], v[7:8]
	;; [unrolled: 1-line block ×3, first 2 shown]
	v_add_f64 v[7:8], -v[5:6], s[2:3]
	v_add_f64 v[12:13], v[5:6], -v[14:15]
	v_add_f64 v[10:11], -v[7:8], s[2:3]
	s_mov_b32 s2, 0x33145c07
	s_mov_b32 s3, 0x3c81a626
	v_add_f64 v[3:4], v[12:13], -v[3:4]
	v_add_f64 v[5:6], v[10:11], -v[5:6]
	v_add_f64 v[5:6], v[5:6], s[2:3]
	v_add_f64 v[3:4], v[3:4], v[5:6]
	v_mov_b32_e32 v5, 0x3ff921fb
	v_add_f64 v[3:4], v[7:8], v[3:4]
	v_add_f64 v[3:4], v[3:4], v[3:4]
	v_cndmask_b32_e32 v8, v5, v4, vcc
	v_cndmask_b32_e32 v7, v1, v3, vcc
.LBB38_110:
	s_or_b64 exec, exec, s[0:1]
	s_brev_b32 s0, -2
	v_bfi_b32 v8, s0, v8, v2
	v_add_u32_e32 v9, 0x80, v9
	global_store_dwordx2 v0, v[7:8], s[16:17]
	s_or_b64 exec, exec, s[48:49]
	v_cmp_gt_i32_e32 vcc, s55, v9
	s_and_saveexec_b64 s[48:49], vcc
	s_cbranch_execnz .LBB38_94
.LBB38_111:
	s_or_b64 exec, exec, s[48:49]
	v_cmp_gt_i32_e32 vcc, s55, v9
	s_and_saveexec_b64 s[48:49], vcc
	s_cbranch_execnz .LBB38_124
.LBB38_112:
	s_or_b64 exec, exec, s[48:49]
                                        ; implicit-def: $vgpr11
                                        ; implicit-def: $vgpr9
	s_andn2_saveexec_b64 s[0:1], s[38:39]
	s_cbranch_execnz .LBB38_8
.LBB38_113:
	s_endpgm
.LBB38_114:
	s_mov_b32 s57, 0
	v_mov_b32_e32 v0, 0
	v_mov_b32_e32 v2, 0
	;; [unrolled: 1-line block ×3, first 2 shown]
.LBB38_115:
	s_and_b32 s4, s58, 3
	s_cmp_eq_u32 s4, 0
	s_cbranch_scc1 .LBB38_118
; %bb.116:
	s_lshl_b32 s0, s57, 3
	s_add_u32 s0, s34, s0
	s_addc_u32 s1, s35, 0
	s_add_u32 s0, s0, 0xc4
	s_addc_u32 s1, s1, 0
	s_mul_i32 s2, s57, 12
	s_add_u32 s2, s34, s2
	s_addc_u32 s3, s35, 0
.LBB38_117:                             ; =>This Inner Loop Header: Depth=1
	s_load_dwordx2 s[6:7], s[2:3], 0x4
	s_load_dword s5, s[2:3], 0xc
	s_load_dwordx2 s[8:9], s[0:1], 0x0
	s_add_u32 s2, s2, 12
	s_addc_u32 s3, s3, 0
	s_waitcnt lgkmcnt(0)
	v_mul_hi_u32 v3, s7, v1
	s_add_u32 s0, s0, 8
	s_addc_u32 s1, s1, 0
	s_add_i32 s4, s4, -1
	v_add_u32_e32 v3, v1, v3
	v_lshrrev_b32_e32 v4, s5, v3
	v_mul_lo_u32 v3, v4, s6
	s_cmp_lg_u32 s4, 0
	v_sub_u32_e32 v3, v1, v3
	v_mad_u64_u32 v[0:1], s[6:7], v3, s8, v[0:1]
	v_mad_u64_u32 v[2:3], s[6:7], v3, s9, v[2:3]
	v_mov_b32_e32 v1, v4
	s_cbranch_scc1 .LBB38_117
.LBB38_118:
	s_cbranch_execnz .LBB38_121
.LBB38_119:
	s_waitcnt lgkmcnt(0)
	v_mul_hi_u32 v0, s25, v9
	s_andn2_b64 vcc, exec, s[42:43]
	v_add_u32_e32 v0, v9, v0
	v_lshrrev_b32_e32 v1, s26, v0
	v_mul_lo_u32 v0, v1, s24
	v_sub_u32_e32 v2, v9, v0
	v_mul_lo_u32 v0, v2, s20
	v_mul_lo_u32 v2, v2, s21
	s_cbranch_vccnz .LBB38_121
; %bb.120:
	v_mul_hi_u32 v3, s40, v1
	v_add_u32_e32 v3, v1, v3
	v_lshrrev_b32_e32 v3, s41, v3
	v_mul_lo_u32 v3, v3, s27
	v_sub_u32_e32 v3, v1, v3
	v_mad_u64_u32 v[0:1], s[0:1], v3, s22, v[0:1]
	v_mad_u64_u32 v[2:3], s[0:1], v3, s23, v[2:3]
.LBB38_121:
	s_waitcnt lgkmcnt(0)
	global_load_dwordx2 v[1:2], v2, s[18:19]
	s_mov_b32 s0, 0x9fea6a70
	v_mov_b32_e32 v7, 0x78a05eaf
	v_mov_b32_e32 v8, 0xbf90a5a3
	s_mov_b32 s1, 0x3fa05985
	s_waitcnt vmcnt(0)
	v_fma_f64 v[3:4], |v[1:2]|, -0.5, 0.5
	v_mul_f64 v[5:6], v[1:2], v[1:2]
	v_cmp_ge_f64_e64 vcc, |v[1:2]|, 0.5
	v_cndmask_b32_e32 v6, v6, v4, vcc
	v_cndmask_b32_e32 v5, v5, v3, vcc
	v_fma_f64 v[7:8], v[5:6], s[0:1], v[7:8]
	s_mov_b32 s0, 0x37024d6a
	s_mov_b32 s1, 0x3f940521
	v_fma_f64 v[7:8], v[5:6], v[7:8], s[0:1]
	s_mov_b32 s0, 0x98a70509
	s_mov_b32 s1, 0x3f7ab3a0
	;; [unrolled: 3-line block ×10, first 2 shown]
	v_fma_f64 v[7:8], v[5:6], v[7:8], s[0:1]
	v_mul_f64 v[5:6], v[5:6], v[7:8]
	v_fma_f64 v[7:8], |v[1:2]|, v[5:6], |v[1:2]|
	s_and_saveexec_b64 s[0:1], vcc
	s_cbranch_execz .LBB38_123
; %bb.122:
	v_rsq_f64_e32 v[7:8], v[3:4]
	v_cmp_eq_f64_e32 vcc, 0, v[3:4]
	s_mov_b32 s2, 0x54442d18
	s_mov_b32 s3, 0x3fe921fb
	v_mul_f64 v[10:11], v[3:4], v[7:8]
	v_mul_f64 v[7:8], v[7:8], 0.5
	v_fma_f64 v[12:13], -v[7:8], v[10:11], 0.5
	v_fma_f64 v[10:11], v[10:11], v[12:13], v[10:11]
	v_fma_f64 v[7:8], v[7:8], v[12:13], v[7:8]
	v_fma_f64 v[12:13], -v[10:11], v[10:11], v[3:4]
	v_fma_f64 v[7:8], v[12:13], v[7:8], v[10:11]
	v_cndmask_b32_e32 v8, v8, v4, vcc
	v_cndmask_b32_e32 v7, v7, v3, vcc
	v_add_f64 v[10:11], v[7:8], v[7:8]
	v_mul_f64 v[12:13], v[7:8], v[7:8]
	v_rcp_f64_e32 v[14:15], v[10:11]
	v_add_f64 v[16:17], v[3:4], -v[12:13]
	v_fma_f64 v[20:21], v[7:8], v[7:8], -v[12:13]
	v_add_f64 v[3:4], v[3:4], -v[16:17]
	v_fma_f64 v[18:19], -v[10:11], v[14:15], 1.0
	v_add_f64 v[3:4], v[3:4], -v[12:13]
	v_fma_f64 v[12:13], v[18:19], v[14:15], v[14:15]
	v_add_f64 v[3:4], v[3:4], -v[20:21]
	v_fma_f64 v[14:15], -v[10:11], v[12:13], 1.0
	v_add_f64 v[3:4], v[16:17], v[3:4]
	v_fma_f64 v[12:13], v[14:15], v[12:13], v[12:13]
	v_mul_f64 v[14:15], v[3:4], v[12:13]
	v_fma_f64 v[3:4], -v[10:11], v[14:15], v[3:4]
	v_fma_f64 v[3:4], v[3:4], v[12:13], v[14:15]
	v_cndmask_b32_e64 v4, v4, 0, vcc
	v_cndmask_b32_e64 v3, v3, 0, vcc
	v_add_f64 v[10:11], v[7:8], v[3:4]
	v_cmp_neq_f64_e64 vcc, |v[1:2]|, 1.0
	v_mov_b32_e32 v1, 0x54442d18
	v_add_f64 v[7:8], v[10:11], -v[7:8]
	v_mul_f64 v[12:13], v[5:6], v[10:11]
	v_add_f64 v[3:4], v[3:4], -v[7:8]
	v_fma_f64 v[7:8], v[10:11], v[5:6], -v[12:13]
	v_fma_f64 v[5:6], v[3:4], v[5:6], v[7:8]
	v_add_f64 v[7:8], v[12:13], v[5:6]
	v_add_f64 v[14:15], v[10:11], v[7:8]
	v_add_f64 v[12:13], v[7:8], -v[12:13]
	v_add_f64 v[10:11], v[14:15], -v[10:11]
	;; [unrolled: 1-line block ×4, first 2 shown]
	v_add_f64 v[3:4], v[3:4], v[5:6]
	v_add_f64 v[3:4], v[3:4], v[7:8]
	;; [unrolled: 1-line block ×3, first 2 shown]
	v_add_f64 v[7:8], -v[5:6], s[2:3]
	v_add_f64 v[12:13], v[5:6], -v[14:15]
	v_add_f64 v[10:11], -v[7:8], s[2:3]
	s_mov_b32 s2, 0x33145c07
	s_mov_b32 s3, 0x3c81a626
	v_add_f64 v[3:4], v[12:13], -v[3:4]
	v_add_f64 v[5:6], v[10:11], -v[5:6]
	v_add_f64 v[5:6], v[5:6], s[2:3]
	v_add_f64 v[3:4], v[3:4], v[5:6]
	v_mov_b32_e32 v5, 0x3ff921fb
	v_add_f64 v[3:4], v[7:8], v[3:4]
	v_add_f64 v[3:4], v[3:4], v[3:4]
	v_cndmask_b32_e32 v8, v5, v4, vcc
	v_cndmask_b32_e32 v7, v1, v3, vcc
.LBB38_123:
	s_or_b64 exec, exec, s[0:1]
	s_brev_b32 s0, -2
	v_bfi_b32 v8, s0, v8, v2
	v_add_u32_e32 v9, 0x80, v9
	global_store_dwordx2 v0, v[7:8], s[16:17]
	s_or_b64 exec, exec, s[48:49]
	v_cmp_gt_i32_e32 vcc, s55, v9
	s_and_saveexec_b64 s[48:49], vcc
	s_cbranch_execz .LBB38_112
.LBB38_124:
	s_andn2_b64 vcc, exec, s[36:37]
	s_cbranch_vccnz .LBB38_129
; %bb.125:
	s_andn2_b64 vcc, exec, s[46:47]
	s_cbranch_vccnz .LBB38_130
; %bb.126:
	s_add_i32 s56, s56, 1
	s_cmp_eq_u32 s54, 2
	s_cbranch_scc1 .LBB38_131
; %bb.127:
	s_and_b32 s50, s56, 28
	v_mov_b32_e32 v2, 0
	s_mov_b32 s51, 0
	s_mov_b64 s[46:47], s[34:35]
	v_mov_b32_e32 v0, 0
	v_mov_b32_e32 v1, v9
.LBB38_128:                             ; =>This Inner Loop Header: Depth=1
	s_load_dwordx8 s[8:15], s[46:47], 0x4
	s_load_dwordx4 s[28:31], s[46:47], 0x24
	s_load_dwordx8 s[0:7], s[44:45], 0x0
	s_add_u32 s46, s46, 48
	s_addc_u32 s47, s47, 0
	s_waitcnt lgkmcnt(0)
	v_mul_hi_u32 v3, s9, v1
	s_add_i32 s51, s51, 4
	s_add_u32 s44, s44, 32
	s_addc_u32 s45, s45, 0
	v_add_u32_e32 v3, v1, v3
	v_lshrrev_b32_e32 v3, s10, v3
	v_mul_lo_u32 v4, v3, s8
	v_mul_hi_u32 v5, s12, v3
	s_cmp_eq_u32 s50, s51
	v_sub_u32_e32 v1, v1, v4
	v_add_u32_e32 v4, v3, v5
	v_mul_lo_u32 v5, v1, s0
	v_mul_lo_u32 v6, v1, s1
	v_lshrrev_b32_e32 v1, s13, v4
	v_mul_lo_u32 v4, v1, s11
	v_mul_hi_u32 v7, s15, v1
	v_sub_u32_e32 v3, v3, v4
	v_add_u32_e32 v4, v1, v7
	v_lshrrev_b32_e32 v4, s28, v4
	v_mul_hi_u32 v8, s30, v4
	v_mul_lo_u32 v10, v4, s14
	v_mul_lo_u32 v7, v3, s2
	;; [unrolled: 1-line block ×3, first 2 shown]
	v_sub_u32_e32 v10, v1, v10
	v_add_u32_e32 v1, v4, v8
	v_lshrrev_b32_e32 v1, s31, v1
	v_mul_lo_u32 v8, v1, s29
	v_mul_lo_u32 v11, v10, s4
	;; [unrolled: 1-line block ×3, first 2 shown]
	v_add3_u32 v0, v5, v0, v7
	v_sub_u32_e32 v4, v4, v8
	v_mul_lo_u32 v8, v4, s6
	v_mul_lo_u32 v4, v4, s7
	v_add3_u32 v2, v6, v2, v3
	v_add3_u32 v0, v11, v0, v8
	;; [unrolled: 1-line block ×3, first 2 shown]
	s_cbranch_scc0 .LBB38_128
	s_branch .LBB38_132
.LBB38_129:
                                        ; implicit-def: $vgpr0
                                        ; implicit-def: $vgpr2
	s_branch .LBB38_136
.LBB38_130:
	v_mov_b32_e32 v0, 0
	v_mov_b32_e32 v2, 0
	s_branch .LBB38_135
.LBB38_131:
	s_mov_b32 s50, 0
	v_mov_b32_e32 v0, 0
	v_mov_b32_e32 v2, 0
	;; [unrolled: 1-line block ×3, first 2 shown]
.LBB38_132:
	s_and_b32 s4, s56, 3
	s_cmp_eq_u32 s4, 0
	s_cbranch_scc1 .LBB38_135
; %bb.133:
	s_lshl_b32 s0, s50, 3
	s_add_u32 s0, s34, s0
	s_addc_u32 s1, s35, 0
	s_add_u32 s0, s0, 0xc4
	s_addc_u32 s1, s1, 0
	s_mul_i32 s2, s50, 12
	s_add_u32 s2, s34, s2
	s_addc_u32 s3, s35, 0
.LBB38_134:                             ; =>This Inner Loop Header: Depth=1
	s_load_dwordx2 s[6:7], s[2:3], 0x4
	s_load_dword s5, s[2:3], 0xc
	s_load_dwordx2 s[8:9], s[0:1], 0x0
	s_add_u32 s2, s2, 12
	s_addc_u32 s3, s3, 0
	s_waitcnt lgkmcnt(0)
	v_mul_hi_u32 v3, s7, v1
	s_add_u32 s0, s0, 8
	s_addc_u32 s1, s1, 0
	s_add_i32 s4, s4, -1
	v_add_u32_e32 v3, v1, v3
	v_lshrrev_b32_e32 v4, s5, v3
	v_mul_lo_u32 v3, v4, s6
	s_cmp_lg_u32 s4, 0
	v_sub_u32_e32 v3, v1, v3
	v_mad_u64_u32 v[0:1], s[6:7], v3, s8, v[0:1]
	v_mad_u64_u32 v[2:3], s[6:7], v3, s9, v[2:3]
	v_mov_b32_e32 v1, v4
	s_cbranch_scc1 .LBB38_134
.LBB38_135:
	s_cbranch_execnz .LBB38_138
.LBB38_136:
	s_waitcnt lgkmcnt(0)
	v_mul_hi_u32 v0, s25, v9
	s_andn2_b64 vcc, exec, s[42:43]
	v_add_u32_e32 v0, v9, v0
	v_lshrrev_b32_e32 v1, s26, v0
	v_mul_lo_u32 v0, v1, s24
	v_sub_u32_e32 v2, v9, v0
	v_mul_lo_u32 v0, v2, s20
	v_mul_lo_u32 v2, v2, s21
	s_cbranch_vccnz .LBB38_138
; %bb.137:
	v_mul_hi_u32 v3, s40, v1
	v_add_u32_e32 v3, v1, v3
	v_lshrrev_b32_e32 v3, s41, v3
	v_mul_lo_u32 v3, v3, s27
	v_sub_u32_e32 v3, v1, v3
	v_mad_u64_u32 v[0:1], s[0:1], v3, s22, v[0:1]
	v_mad_u64_u32 v[2:3], s[0:1], v3, s23, v[2:3]
.LBB38_138:
	s_waitcnt lgkmcnt(0)
	global_load_dwordx2 v[1:2], v2, s[18:19]
	s_mov_b32 s0, 0x9fea6a70
	v_mov_b32_e32 v7, 0x78a05eaf
	v_mov_b32_e32 v8, 0xbf90a5a3
	s_mov_b32 s1, 0x3fa05985
	s_waitcnt vmcnt(0)
	v_fma_f64 v[3:4], |v[1:2]|, -0.5, 0.5
	v_mul_f64 v[5:6], v[1:2], v[1:2]
	v_cmp_ge_f64_e64 vcc, |v[1:2]|, 0.5
	v_cndmask_b32_e32 v6, v6, v4, vcc
	v_cndmask_b32_e32 v5, v5, v3, vcc
	v_fma_f64 v[7:8], v[5:6], s[0:1], v[7:8]
	s_mov_b32 s0, 0x37024d6a
	s_mov_b32 s1, 0x3f940521
	v_fma_f64 v[7:8], v[5:6], v[7:8], s[0:1]
	s_mov_b32 s0, 0x98a70509
	s_mov_b32 s1, 0x3f7ab3a0
	;; [unrolled: 3-line block ×10, first 2 shown]
	v_fma_f64 v[7:8], v[5:6], v[7:8], s[0:1]
	v_mul_f64 v[5:6], v[5:6], v[7:8]
	v_fma_f64 v[7:8], |v[1:2]|, v[5:6], |v[1:2]|
	s_and_saveexec_b64 s[0:1], vcc
	s_cbranch_execz .LBB38_140
; %bb.139:
	v_rsq_f64_e32 v[7:8], v[3:4]
	v_cmp_eq_f64_e32 vcc, 0, v[3:4]
	s_mov_b32 s2, 0x54442d18
	s_mov_b32 s3, 0x3fe921fb
	v_mul_f64 v[9:10], v[3:4], v[7:8]
	v_mul_f64 v[7:8], v[7:8], 0.5
	v_fma_f64 v[11:12], -v[7:8], v[9:10], 0.5
	v_fma_f64 v[9:10], v[9:10], v[11:12], v[9:10]
	v_fma_f64 v[7:8], v[7:8], v[11:12], v[7:8]
	v_fma_f64 v[11:12], -v[9:10], v[9:10], v[3:4]
	v_fma_f64 v[7:8], v[11:12], v[7:8], v[9:10]
	v_cndmask_b32_e32 v8, v8, v4, vcc
	v_cndmask_b32_e32 v7, v7, v3, vcc
	v_add_f64 v[9:10], v[7:8], v[7:8]
	v_mul_f64 v[11:12], v[7:8], v[7:8]
	v_rcp_f64_e32 v[13:14], v[9:10]
	v_add_f64 v[15:16], v[3:4], -v[11:12]
	v_fma_f64 v[19:20], v[7:8], v[7:8], -v[11:12]
	v_add_f64 v[3:4], v[3:4], -v[15:16]
	v_fma_f64 v[17:18], -v[9:10], v[13:14], 1.0
	v_add_f64 v[3:4], v[3:4], -v[11:12]
	v_fma_f64 v[11:12], v[17:18], v[13:14], v[13:14]
	v_add_f64 v[3:4], v[3:4], -v[19:20]
	v_fma_f64 v[13:14], -v[9:10], v[11:12], 1.0
	v_add_f64 v[3:4], v[15:16], v[3:4]
	v_fma_f64 v[11:12], v[13:14], v[11:12], v[11:12]
	v_mul_f64 v[13:14], v[3:4], v[11:12]
	v_fma_f64 v[3:4], -v[9:10], v[13:14], v[3:4]
	v_fma_f64 v[3:4], v[3:4], v[11:12], v[13:14]
	v_cndmask_b32_e64 v4, v4, 0, vcc
	v_cndmask_b32_e64 v3, v3, 0, vcc
	v_add_f64 v[9:10], v[7:8], v[3:4]
	v_cmp_neq_f64_e64 vcc, |v[1:2]|, 1.0
	v_mov_b32_e32 v1, 0x54442d18
	v_add_f64 v[7:8], v[9:10], -v[7:8]
	v_mul_f64 v[11:12], v[5:6], v[9:10]
	v_add_f64 v[3:4], v[3:4], -v[7:8]
	v_fma_f64 v[7:8], v[9:10], v[5:6], -v[11:12]
	v_fma_f64 v[5:6], v[3:4], v[5:6], v[7:8]
	v_add_f64 v[7:8], v[11:12], v[5:6]
	v_add_f64 v[13:14], v[9:10], v[7:8]
	v_add_f64 v[11:12], v[7:8], -v[11:12]
	v_add_f64 v[9:10], v[13:14], -v[9:10]
	;; [unrolled: 1-line block ×4, first 2 shown]
	v_add_f64 v[3:4], v[3:4], v[5:6]
	v_add_f64 v[3:4], v[3:4], v[7:8]
	;; [unrolled: 1-line block ×3, first 2 shown]
	v_add_f64 v[7:8], -v[5:6], s[2:3]
	v_add_f64 v[11:12], v[5:6], -v[13:14]
	v_add_f64 v[9:10], -v[7:8], s[2:3]
	s_mov_b32 s2, 0x33145c07
	s_mov_b32 s3, 0x3c81a626
	v_add_f64 v[3:4], v[11:12], -v[3:4]
	v_add_f64 v[5:6], v[9:10], -v[5:6]
	v_add_f64 v[5:6], v[5:6], s[2:3]
	v_add_f64 v[3:4], v[3:4], v[5:6]
	v_mov_b32_e32 v5, 0x3ff921fb
	v_add_f64 v[3:4], v[7:8], v[3:4]
	v_add_f64 v[3:4], v[3:4], v[3:4]
	v_cndmask_b32_e32 v8, v5, v4, vcc
	v_cndmask_b32_e32 v7, v1, v3, vcc
.LBB38_140:
	s_or_b64 exec, exec, s[0:1]
	s_brev_b32 s0, -2
	v_bfi_b32 v8, s0, v8, v2
	global_store_dwordx2 v0, v[7:8], s[16:17]
	s_or_b64 exec, exec, s[48:49]
                                        ; implicit-def: $vgpr11
                                        ; implicit-def: $vgpr9
	s_andn2_saveexec_b64 s[0:1], s[38:39]
	s_cbranch_execz .LBB38_113
	s_branch .LBB38_8
	.section	.rodata,"a",@progbits
	.p2align	6, 0x0
	.amdhsa_kernel _ZN2at6native32elementwise_kernel_manual_unrollILi128ELi4EZNS0_22gpu_kernel_impl_nocastIZZZNS0_16asin_kernel_cudaERNS_18TensorIteratorBaseEENKUlvE0_clEvENKUlvE_clEvEUldE_EEvS4_RKT_EUlibE_EEviT1_
		.amdhsa_group_segment_fixed_size 0
		.amdhsa_private_segment_fixed_size 0
		.amdhsa_kernarg_size 360
		.amdhsa_user_sgpr_count 6
		.amdhsa_user_sgpr_private_segment_buffer 1
		.amdhsa_user_sgpr_dispatch_ptr 0
		.amdhsa_user_sgpr_queue_ptr 0
		.amdhsa_user_sgpr_kernarg_segment_ptr 1
		.amdhsa_user_sgpr_dispatch_id 0
		.amdhsa_user_sgpr_flat_scratch_init 0
		.amdhsa_user_sgpr_private_segment_size 0
		.amdhsa_uses_dynamic_stack 0
		.amdhsa_system_sgpr_private_segment_wavefront_offset 0
		.amdhsa_system_sgpr_workgroup_id_x 1
		.amdhsa_system_sgpr_workgroup_id_y 0
		.amdhsa_system_sgpr_workgroup_id_z 0
		.amdhsa_system_sgpr_workgroup_info 0
		.amdhsa_system_vgpr_workitem_id 0
		.amdhsa_next_free_vgpr 38
		.amdhsa_next_free_sgpr 60
		.amdhsa_reserve_vcc 1
		.amdhsa_reserve_flat_scratch 0
		.amdhsa_float_round_mode_32 0
		.amdhsa_float_round_mode_16_64 0
		.amdhsa_float_denorm_mode_32 3
		.amdhsa_float_denorm_mode_16_64 3
		.amdhsa_dx10_clamp 1
		.amdhsa_ieee_mode 1
		.amdhsa_fp16_overflow 0
		.amdhsa_exception_fp_ieee_invalid_op 0
		.amdhsa_exception_fp_denorm_src 0
		.amdhsa_exception_fp_ieee_div_zero 0
		.amdhsa_exception_fp_ieee_overflow 0
		.amdhsa_exception_fp_ieee_underflow 0
		.amdhsa_exception_fp_ieee_inexact 0
		.amdhsa_exception_int_div_zero 0
	.end_amdhsa_kernel
	.section	.text._ZN2at6native32elementwise_kernel_manual_unrollILi128ELi4EZNS0_22gpu_kernel_impl_nocastIZZZNS0_16asin_kernel_cudaERNS_18TensorIteratorBaseEENKUlvE0_clEvENKUlvE_clEvEUldE_EEvS4_RKT_EUlibE_EEviT1_,"axG",@progbits,_ZN2at6native32elementwise_kernel_manual_unrollILi128ELi4EZNS0_22gpu_kernel_impl_nocastIZZZNS0_16asin_kernel_cudaERNS_18TensorIteratorBaseEENKUlvE0_clEvENKUlvE_clEvEUldE_EEvS4_RKT_EUlibE_EEviT1_,comdat
.Lfunc_end38:
	.size	_ZN2at6native32elementwise_kernel_manual_unrollILi128ELi4EZNS0_22gpu_kernel_impl_nocastIZZZNS0_16asin_kernel_cudaERNS_18TensorIteratorBaseEENKUlvE0_clEvENKUlvE_clEvEUldE_EEvS4_RKT_EUlibE_EEviT1_, .Lfunc_end38-_ZN2at6native32elementwise_kernel_manual_unrollILi128ELi4EZNS0_22gpu_kernel_impl_nocastIZZZNS0_16asin_kernel_cudaERNS_18TensorIteratorBaseEENKUlvE0_clEvENKUlvE_clEvEUldE_EEvS4_RKT_EUlibE_EEviT1_
                                        ; -- End function
	.set _ZN2at6native32elementwise_kernel_manual_unrollILi128ELi4EZNS0_22gpu_kernel_impl_nocastIZZZNS0_16asin_kernel_cudaERNS_18TensorIteratorBaseEENKUlvE0_clEvENKUlvE_clEvEUldE_EEvS4_RKT_EUlibE_EEviT1_.num_vgpr, 38
	.set _ZN2at6native32elementwise_kernel_manual_unrollILi128ELi4EZNS0_22gpu_kernel_impl_nocastIZZZNS0_16asin_kernel_cudaERNS_18TensorIteratorBaseEENKUlvE0_clEvENKUlvE_clEvEUldE_EEvS4_RKT_EUlibE_EEviT1_.num_agpr, 0
	.set _ZN2at6native32elementwise_kernel_manual_unrollILi128ELi4EZNS0_22gpu_kernel_impl_nocastIZZZNS0_16asin_kernel_cudaERNS_18TensorIteratorBaseEENKUlvE0_clEvENKUlvE_clEvEUldE_EEvS4_RKT_EUlibE_EEviT1_.numbered_sgpr, 60
	.set _ZN2at6native32elementwise_kernel_manual_unrollILi128ELi4EZNS0_22gpu_kernel_impl_nocastIZZZNS0_16asin_kernel_cudaERNS_18TensorIteratorBaseEENKUlvE0_clEvENKUlvE_clEvEUldE_EEvS4_RKT_EUlibE_EEviT1_.num_named_barrier, 0
	.set _ZN2at6native32elementwise_kernel_manual_unrollILi128ELi4EZNS0_22gpu_kernel_impl_nocastIZZZNS0_16asin_kernel_cudaERNS_18TensorIteratorBaseEENKUlvE0_clEvENKUlvE_clEvEUldE_EEvS4_RKT_EUlibE_EEviT1_.private_seg_size, 0
	.set _ZN2at6native32elementwise_kernel_manual_unrollILi128ELi4EZNS0_22gpu_kernel_impl_nocastIZZZNS0_16asin_kernel_cudaERNS_18TensorIteratorBaseEENKUlvE0_clEvENKUlvE_clEvEUldE_EEvS4_RKT_EUlibE_EEviT1_.uses_vcc, 1
	.set _ZN2at6native32elementwise_kernel_manual_unrollILi128ELi4EZNS0_22gpu_kernel_impl_nocastIZZZNS0_16asin_kernel_cudaERNS_18TensorIteratorBaseEENKUlvE0_clEvENKUlvE_clEvEUldE_EEvS4_RKT_EUlibE_EEviT1_.uses_flat_scratch, 0
	.set _ZN2at6native32elementwise_kernel_manual_unrollILi128ELi4EZNS0_22gpu_kernel_impl_nocastIZZZNS0_16asin_kernel_cudaERNS_18TensorIteratorBaseEENKUlvE0_clEvENKUlvE_clEvEUldE_EEvS4_RKT_EUlibE_EEviT1_.has_dyn_sized_stack, 0
	.set _ZN2at6native32elementwise_kernel_manual_unrollILi128ELi4EZNS0_22gpu_kernel_impl_nocastIZZZNS0_16asin_kernel_cudaERNS_18TensorIteratorBaseEENKUlvE0_clEvENKUlvE_clEvEUldE_EEvS4_RKT_EUlibE_EEviT1_.has_recursion, 0
	.set _ZN2at6native32elementwise_kernel_manual_unrollILi128ELi4EZNS0_22gpu_kernel_impl_nocastIZZZNS0_16asin_kernel_cudaERNS_18TensorIteratorBaseEENKUlvE0_clEvENKUlvE_clEvEUldE_EEvS4_RKT_EUlibE_EEviT1_.has_indirect_call, 0
	.section	.AMDGPU.csdata,"",@progbits
; Kernel info:
; codeLenInByte = 11700
; TotalNumSgprs: 64
; NumVgprs: 38
; ScratchSize: 0
; MemoryBound: 0
; FloatMode: 240
; IeeeMode: 1
; LDSByteSize: 0 bytes/workgroup (compile time only)
; SGPRBlocks: 7
; VGPRBlocks: 9
; NumSGPRsForWavesPerEU: 64
; NumVGPRsForWavesPerEU: 38
; Occupancy: 6
; WaveLimiterHint : 1
; COMPUTE_PGM_RSRC2:SCRATCH_EN: 0
; COMPUTE_PGM_RSRC2:USER_SGPR: 6
; COMPUTE_PGM_RSRC2:TRAP_HANDLER: 0
; COMPUTE_PGM_RSRC2:TGID_X_EN: 1
; COMPUTE_PGM_RSRC2:TGID_Y_EN: 0
; COMPUTE_PGM_RSRC2:TGID_Z_EN: 0
; COMPUTE_PGM_RSRC2:TIDIG_COMP_CNT: 0
	.section	.text._ZN2at6native32elementwise_kernel_manual_unrollILi128ELi4EZNS0_15gpu_kernel_implIZZZNS0_16asin_kernel_cudaERNS_18TensorIteratorBaseEENKUlvE0_clEvENKUlvE_clEvEUldE_EEvS4_RKT_EUlibE_EEviT1_,"axG",@progbits,_ZN2at6native32elementwise_kernel_manual_unrollILi128ELi4EZNS0_15gpu_kernel_implIZZZNS0_16asin_kernel_cudaERNS_18TensorIteratorBaseEENKUlvE0_clEvENKUlvE_clEvEUldE_EEvS4_RKT_EUlibE_EEviT1_,comdat
	.globl	_ZN2at6native32elementwise_kernel_manual_unrollILi128ELi4EZNS0_15gpu_kernel_implIZZZNS0_16asin_kernel_cudaERNS_18TensorIteratorBaseEENKUlvE0_clEvENKUlvE_clEvEUldE_EEvS4_RKT_EUlibE_EEviT1_ ; -- Begin function _ZN2at6native32elementwise_kernel_manual_unrollILi128ELi4EZNS0_15gpu_kernel_implIZZZNS0_16asin_kernel_cudaERNS_18TensorIteratorBaseEENKUlvE0_clEvENKUlvE_clEvEUldE_EEvS4_RKT_EUlibE_EEviT1_
	.p2align	8
	.type	_ZN2at6native32elementwise_kernel_manual_unrollILi128ELi4EZNS0_15gpu_kernel_implIZZZNS0_16asin_kernel_cudaERNS_18TensorIteratorBaseEENKUlvE0_clEvENKUlvE_clEvEUldE_EEvS4_RKT_EUlibE_EEviT1_,@function
_ZN2at6native32elementwise_kernel_manual_unrollILi128ELi4EZNS0_15gpu_kernel_implIZZZNS0_16asin_kernel_cudaERNS_18TensorIteratorBaseEENKUlvE0_clEvENKUlvE_clEvEUldE_EEvS4_RKT_EUlibE_EEviT1_: ; @_ZN2at6native32elementwise_kernel_manual_unrollILi128ELi4EZNS0_15gpu_kernel_implIZZZNS0_16asin_kernel_cudaERNS_18TensorIteratorBaseEENKUlvE0_clEvENKUlvE_clEvEUldE_EEvS4_RKT_EUlibE_EEviT1_
; %bb.0:
	v_mov_b32_e32 v1, 0
	global_load_ushort v1, v1, s[4:5] offset:33
	s_load_dwordx4 s[8:11], s[4:5], 0x8
	s_load_dwordx2 s[2:3], s[4:5], 0x18
	s_load_dword s38, s[4:5], 0x0
	v_lshl_or_b32 v20, s6, 9, v0
	v_or_b32_e32 v0, 0x180, v20
	s_mov_b64 s[12:13], 0
	s_mov_b64 s[6:7], 0
	s_waitcnt lgkmcnt(0)
	v_cmp_le_i32_e32 vcc, s38, v0
	s_waitcnt vmcnt(0)
	v_readfirstlane_b32 s33, v1
	s_and_b32 s0, 0xffff, s33
	s_lshr_b32 s42, s0, 8
	s_and_saveexec_b64 s[0:1], vcc
	s_xor_b64 s[4:5], exec, s[0:1]
	s_cbranch_execz .LBB39_1035
; %bb.1:
	v_cmp_gt_i32_e32 vcc, s38, v20
	s_mov_b64 s[18:19], -1
	s_mov_b64 s[20:21], 0
	s_mov_b64 s[14:15], 0
	s_and_saveexec_b64 s[16:17], vcc
	s_cbranch_execz .LBB39_254
; %bb.2:
	v_mul_lo_u32 v0, v20, s3
	v_mov_b32_e32 v1, s11
	s_and_b32 s22, 0xffff, s42
	s_cmp_lt_i32 s22, 11
	v_ashrrev_i32_e32 v2, 31, v0
	v_add_co_u32_e32 v0, vcc, s10, v0
	v_addc_co_u32_e32 v1, vcc, v1, v2, vcc
	s_cbranch_scc1 .LBB39_9
; %bb.3:
	s_cmp_gt_i32 s22, 25
	s_cbranch_scc0 .LBB39_20
; %bb.4:
	s_cmp_gt_i32 s22, 28
	s_cbranch_scc0 .LBB39_24
	;; [unrolled: 3-line block ×4, first 2 shown]
; %bb.7:
	s_cmp_eq_u32 s22, 46
	s_cbranch_scc0 .LBB39_30
; %bb.8:
	global_load_dword v2, v[0:1], off
	s_mov_b64 s[0:1], -1
	s_waitcnt vmcnt(0)
	v_lshlrev_b32_e32 v2, 16, v2
	v_cvt_f64_f32_e32 v[2:3], v2
	s_branch .LBB39_32
.LBB39_9:
                                        ; implicit-def: $vgpr2_vgpr3
	s_mov_b64 s[0:1], 0
	s_cbranch_execnz .LBB39_205
.LBB39_10:
	s_andn2_b64 vcc, exec, s[0:1]
	s_cbranch_vccnz .LBB39_252
.LBB39_11:
	s_waitcnt vmcnt(0)
	v_fma_f64 v[4:5], |v[2:3]|, -0.5, 0.5
	v_mul_f64 v[0:1], v[2:3], v[2:3]
	v_cmp_ge_f64_e64 vcc, |v[2:3]|, 0.5
	s_mov_b32 s0, 0x9fea6a70
	v_mov_b32_e32 v6, 0x78a05eaf
	v_mov_b32_e32 v7, 0xbf90a5a3
	s_mov_b32 s1, 0x3fa05985
	v_cndmask_b32_e32 v1, v1, v5, vcc
	v_cndmask_b32_e32 v0, v0, v4, vcc
	v_fma_f64 v[6:7], v[0:1], s[0:1], v[6:7]
	s_mov_b32 s0, 0x37024d6a
	s_mov_b32 s1, 0x3f940521
	v_fma_f64 v[6:7], v[0:1], v[6:7], s[0:1]
	s_mov_b32 s0, 0x98a70509
	s_mov_b32 s1, 0x3f7ab3a0
	;; [unrolled: 3-line block ×10, first 2 shown]
	v_fma_f64 v[6:7], v[0:1], v[6:7], s[0:1]
	v_mul_f64 v[6:7], v[0:1], v[6:7]
	v_fma_f64 v[0:1], |v[2:3]|, v[6:7], |v[2:3]|
	s_and_saveexec_b64 s[0:1], vcc
	s_cbranch_execz .LBB39_13
; %bb.12:
	v_rsq_f64_e32 v[0:1], v[4:5]
	v_cmp_eq_f64_e32 vcc, 0, v[4:5]
	s_mov_b32 s6, 0x54442d18
	s_mov_b32 s7, 0x3fe921fb
	v_mul_f64 v[8:9], v[4:5], v[0:1]
	v_mul_f64 v[0:1], v[0:1], 0.5
	v_fma_f64 v[10:11], -v[0:1], v[8:9], 0.5
	v_fma_f64 v[8:9], v[8:9], v[10:11], v[8:9]
	v_fma_f64 v[0:1], v[0:1], v[10:11], v[0:1]
	v_fma_f64 v[10:11], -v[8:9], v[8:9], v[4:5]
	v_fma_f64 v[0:1], v[10:11], v[0:1], v[8:9]
	v_cndmask_b32_e32 v1, v1, v5, vcc
	v_cndmask_b32_e32 v0, v0, v4, vcc
	v_add_f64 v[8:9], v[0:1], v[0:1]
	v_mul_f64 v[10:11], v[0:1], v[0:1]
	v_rcp_f64_e32 v[12:13], v[8:9]
	v_add_f64 v[14:15], v[4:5], -v[10:11]
	v_fma_f64 v[18:19], v[0:1], v[0:1], -v[10:11]
	v_add_f64 v[4:5], v[4:5], -v[14:15]
	v_fma_f64 v[16:17], -v[8:9], v[12:13], 1.0
	v_add_f64 v[4:5], v[4:5], -v[10:11]
	v_fma_f64 v[10:11], v[16:17], v[12:13], v[12:13]
	v_add_f64 v[4:5], v[4:5], -v[18:19]
	v_fma_f64 v[12:13], -v[8:9], v[10:11], 1.0
	v_add_f64 v[4:5], v[14:15], v[4:5]
	v_fma_f64 v[10:11], v[12:13], v[10:11], v[10:11]
	v_mul_f64 v[12:13], v[4:5], v[10:11]
	v_fma_f64 v[4:5], -v[8:9], v[12:13], v[4:5]
	v_fma_f64 v[4:5], v[4:5], v[10:11], v[12:13]
	v_cndmask_b32_e64 v5, v5, 0, vcc
	v_cndmask_b32_e64 v4, v4, 0, vcc
	v_add_f64 v[8:9], v[0:1], v[4:5]
	v_cmp_neq_f64_e64 vcc, |v[2:3]|, 1.0
	v_mov_b32_e32 v2, 0x54442d18
	v_add_f64 v[0:1], v[8:9], -v[0:1]
	v_mul_f64 v[10:11], v[6:7], v[8:9]
	v_add_f64 v[0:1], v[4:5], -v[0:1]
	v_fma_f64 v[4:5], v[8:9], v[6:7], -v[10:11]
	v_fma_f64 v[4:5], v[0:1], v[6:7], v[4:5]
	v_add_f64 v[6:7], v[10:11], v[4:5]
	v_add_f64 v[12:13], v[8:9], v[6:7]
	v_add_f64 v[10:11], v[6:7], -v[10:11]
	v_add_f64 v[8:9], v[12:13], -v[8:9]
	;; [unrolled: 1-line block ×4, first 2 shown]
	v_add_f64 v[0:1], v[0:1], v[4:5]
	v_add_f64 v[0:1], v[0:1], v[6:7]
	;; [unrolled: 1-line block ×3, first 2 shown]
	v_add_f64 v[6:7], -v[4:5], s[6:7]
	v_add_f64 v[10:11], v[4:5], -v[12:13]
	v_add_f64 v[8:9], -v[6:7], s[6:7]
	s_mov_b32 s6, 0x33145c07
	s_mov_b32 s7, 0x3c81a626
	v_add_f64 v[0:1], v[10:11], -v[0:1]
	v_add_f64 v[4:5], v[8:9], -v[4:5]
	v_add_f64 v[4:5], v[4:5], s[6:7]
	v_add_f64 v[0:1], v[0:1], v[4:5]
	v_mov_b32_e32 v4, 0x3ff921fb
	v_add_f64 v[0:1], v[6:7], v[0:1]
	v_add_f64 v[0:1], v[0:1], v[0:1]
	v_cndmask_b32_e32 v1, v4, v1, vcc
	v_cndmask_b32_e32 v0, v2, v0, vcc
.LBB39_13:
	s_or_b64 exec, exec, s[0:1]
	v_mul_lo_u32 v2, v20, s2
	s_brev_b32 s0, -2
	v_mov_b32_e32 v5, s9
	v_bfi_b32 v1, s0, v1, v3
	v_ashrrev_i32_e32 v3, 31, v2
	s_and_b32 s24, s33, 0xff
	v_add_co_u32_e32 v4, vcc, s8, v2
	s_cmp_lt_i32 s24, 11
	v_addc_co_u32_e32 v5, vcc, v5, v3, vcc
	s_cbranch_scc1 .LBB39_21
; %bb.14:
	s_and_b32 s25, 0xffff, s24
	s_cmp_gt_i32 s25, 25
	s_cbranch_scc0 .LBB39_25
; %bb.15:
	s_cmp_gt_i32 s25, 28
	s_cbranch_scc0 .LBB39_27
; %bb.16:
	;; [unrolled: 3-line block ×4, first 2 shown]
	s_mov_b64 s[18:19], 0
	s_mov_b64 s[0:1], -1
	s_cmp_eq_u32 s25, 46
	s_mov_b64 s[6:7], 0
	s_cbranch_scc0 .LBB39_36
; %bb.19:
	v_cvt_f32_f64_e32 v2, v[0:1]
	s_movk_i32 s0, 0x7fff
	v_mov_b32_e32 v3, 0x7fc0
	s_mov_b64 s[6:7], -1
	v_bfe_u32 v6, v2, 16, 1
	v_cmp_o_f32_e32 vcc, v2, v2
	v_add3_u32 v2, v2, v6, s0
	v_cndmask_b32_sdwa v2, v3, v2, vcc dst_sel:DWORD dst_unused:UNUSED_PAD src0_sel:DWORD src1_sel:WORD_1
	global_store_dword v[4:5], v2, off
	s_mov_b64 s[0:1], 0
	s_branch .LBB39_36
.LBB39_20:
	s_mov_b64 s[0:1], 0
                                        ; implicit-def: $vgpr2_vgpr3
	s_cbranch_execnz .LBB39_172
	s_branch .LBB39_204
.LBB39_21:
	s_mov_b64 s[0:1], 0
	s_mov_b64 s[6:7], 0
	s_cbranch_execnz .LBB39_105
.LBB39_22:
	s_andn2_b64 vcc, exec, s[6:7]
	s_cbranch_vccnz .LBB39_143
.LBB39_23:
	v_add_u32_e32 v20, 0x80, v20
	s_mov_b64 s[18:19], -1
	s_branch .LBB39_253
.LBB39_24:
	s_mov_b64 s[6:7], -1
	s_mov_b64 s[0:1], 0
                                        ; implicit-def: $vgpr2_vgpr3
	s_branch .LBB39_151
.LBB39_25:
	s_mov_b64 s[18:19], -1
	s_mov_b64 s[0:1], 0
	s_mov_b64 s[6:7], 0
	s_branch .LBB39_63
.LBB39_26:
	s_mov_b64 s[6:7], -1
	s_mov_b64 s[0:1], 0
                                        ; implicit-def: $vgpr2_vgpr3
	s_branch .LBB39_146
.LBB39_27:
	s_mov_b64 s[18:19], -1
	s_mov_b64 s[0:1], 0
	s_mov_b64 s[6:7], 0
	s_branch .LBB39_46
.LBB39_28:
	s_mov_b64 s[6:7], -1
	s_branch .LBB39_31
.LBB39_29:
	s_mov_b64 s[18:19], -1
	s_mov_b64 s[0:1], 0
	s_mov_b64 s[6:7], 0
	s_branch .LBB39_42
.LBB39_30:
	s_mov_b64 s[14:15], -1
.LBB39_31:
	s_mov_b64 s[0:1], 0
                                        ; implicit-def: $vgpr2_vgpr3
.LBB39_32:
	s_and_b64 vcc, exec, s[6:7]
	s_cbranch_vccz .LBB39_145
; %bb.33:
	s_cmp_eq_u32 s22, 44
	s_cbranch_scc0 .LBB39_144
; %bb.34:
	global_load_ubyte v4, v[0:1], off
	s_movk_i32 s6, 0xff
	v_bfrev_b32_e32 v5, 4
	v_mov_b32_e32 v6, 0x7ff80000
	v_bfrev_b32_e32 v7, 28
	s_mov_b64 s[0:1], -1
	s_mov_b64 s[14:15], 0
	s_waitcnt vmcnt(0)
	v_lshlrev_b32_e32 v2, 23, v4
	v_cvt_f64_f32_e32 v[2:3], v2
	v_cmp_ne_u32_e32 vcc, s6, v4
	v_cndmask_b32_e32 v2, v5, v2, vcc
	v_cndmask_b32_e32 v3, v6, v3, vcc
	v_cmp_ne_u32_e32 vcc, 0, v4
	v_cndmask_b32_e32 v3, v7, v3, vcc
	v_cndmask_b32_e32 v2, 0, v2, vcc
	s_branch .LBB39_145
.LBB39_35:
	s_mov_b64 s[18:19], -1
	s_mov_b64 s[0:1], 0
	s_mov_b64 s[6:7], 0
.LBB39_36:
	s_and_b64 vcc, exec, s[18:19]
	s_cbranch_vccz .LBB39_41
; %bb.37:
	s_cmp_eq_u32 s25, 44
	s_mov_b64 s[0:1], -1
	s_cbranch_scc0 .LBB39_41
; %bb.38:
	v_cvt_f32_f64_e32 v2, v[0:1]
	s_movk_i32 s0, 0xff
	v_mov_b32_e32 v6, 0xff
	v_bfe_u32 v3, v2, 23, 8
	v_cmp_ne_u32_e32 vcc, s0, v3
	s_and_saveexec_b64 s[6:7], vcc
; %bb.39:
	s_mov_b32 s0, 0x3fffff
	v_lshrrev_b32_e32 v6, 23, v2
	v_and_b32_e32 v7, 0x400000, v2
	v_and_or_b32 v2, v2, s0, v3
	v_cmp_ne_u32_e32 vcc, 0, v7
	v_cmp_ne_u32_e64 s[0:1], 0, v2
	s_and_b64 s[0:1], vcc, s[0:1]
	v_cndmask_b32_e64 v2, 0, 1, s[0:1]
	v_add_u32_e32 v6, v6, v2
; %bb.40:
	s_or_b64 exec, exec, s[6:7]
	s_mov_b64 s[6:7], -1
	s_mov_b64 s[0:1], 0
	global_store_byte v[4:5], v6, off
.LBB39_41:
	s_mov_b64 s[18:19], 0
.LBB39_42:
	s_and_b64 vcc, exec, s[18:19]
	s_cbranch_vccz .LBB39_45
; %bb.43:
	s_cmp_eq_u32 s25, 29
	s_mov_b64 s[0:1], -1
	s_cbranch_scc0 .LBB39_45
; %bb.44:
	v_trunc_f64_e32 v[2:3], v[0:1]
	s_movk_i32 s0, 0xffe0
	s_mov_b64 s[6:7], -1
	s_mov_b64 s[18:19], 0
	v_ldexp_f64 v[6:7], v[2:3], s0
	s_mov_b32 s0, 0
	s_mov_b32 s1, 0xc1f00000
	v_floor_f64_e32 v[6:7], v[6:7]
	v_fma_f64 v[2:3], v[6:7], s[0:1], v[2:3]
	v_cvt_u32_f64_e32 v7, v[6:7]
	s_mov_b64 s[0:1], 0
	v_cvt_u32_f64_e32 v6, v[2:3]
	global_store_dwordx2 v[4:5], v[6:7], off
	s_branch .LBB39_46
.LBB39_45:
	s_mov_b64 s[18:19], 0
.LBB39_46:
	s_and_b64 vcc, exec, s[18:19]
	s_cbranch_vccz .LBB39_62
; %bb.47:
	s_cmp_lt_i32 s25, 27
	s_mov_b64 s[6:7], -1
	s_cbranch_scc1 .LBB39_53
; %bb.48:
	v_cvt_u32_f64_e32 v2, v[0:1]
	s_cmp_gt_i32 s25, 27
	s_cbranch_scc0 .LBB39_50
; %bb.49:
	s_mov_b64 s[6:7], 0
	global_store_dword v[4:5], v2, off
.LBB39_50:
	s_andn2_b64 vcc, exec, s[6:7]
	s_cbranch_vccnz .LBB39_52
; %bb.51:
	global_store_short v[4:5], v2, off
.LBB39_52:
	s_mov_b64 s[6:7], 0
.LBB39_53:
	s_andn2_b64 vcc, exec, s[6:7]
	s_cbranch_vccnz .LBB39_61
; %bb.54:
	v_cvt_f32_f64_e32 v2, v[0:1]
	s_mov_b32 s6, 0x43800000
	v_mov_b32_e32 v6, 0x80
	v_and_b32_e32 v3, 0x7fffffff, v2
	v_cmp_gt_u32_e32 vcc, s6, v3
	s_and_saveexec_b64 s[6:7], vcc
	s_cbranch_execz .LBB39_60
; %bb.55:
	s_mov_b32 s18, 0x3bffffff
	v_cmp_lt_u32_e32 vcc, s18, v3
	s_mov_b64 s[18:19], 0
                                        ; implicit-def: $vgpr3
	s_and_saveexec_b64 s[22:23], vcc
	s_xor_b64 s[22:23], exec, s[22:23]
	s_cbranch_execz .LBB39_283
; %bb.56:
	v_bfe_u32 v3, v2, 20, 1
	s_mov_b32 s26, 0x487ffff
	v_add3_u32 v3, v2, v3, s26
	s_mov_b64 s[18:19], exec
	v_lshrrev_b32_e32 v3, 20, v3
	s_andn2_saveexec_b64 s[22:23], s[22:23]
	s_cbranch_execnz .LBB39_284
.LBB39_57:
	s_or_b64 exec, exec, s[22:23]
	v_mov_b32_e32 v6, 0
	s_and_saveexec_b64 s[22:23], s[18:19]
.LBB39_58:
	v_lshrrev_b32_e32 v2, 24, v2
	s_movk_i32 s18, 0x80
	v_and_or_b32 v6, v2, s18, v3
.LBB39_59:
	s_or_b64 exec, exec, s[22:23]
.LBB39_60:
	s_or_b64 exec, exec, s[6:7]
	global_store_byte v[4:5], v6, off
.LBB39_61:
	s_mov_b64 s[6:7], -1
.LBB39_62:
	s_mov_b64 s[18:19], 0
.LBB39_63:
	s_and_b64 vcc, exec, s[18:19]
	s_cbranch_vccz .LBB39_104
; %bb.64:
	s_cmp_gt_i32 s25, 22
	s_mov_b64 s[18:19], -1
	s_cbranch_scc0 .LBB39_96
; %bb.65:
	s_cmp_lt_i32 s25, 24
	s_mov_b64 s[6:7], -1
	s_cbranch_scc1 .LBB39_85
; %bb.66:
	s_cmp_gt_i32 s25, 24
	s_cbranch_scc0 .LBB39_74
; %bb.67:
	v_cvt_f32_f64_e32 v2, v[0:1]
	s_mov_b32 s6, 0x47800000
	v_mov_b32_e32 v6, 0x80
	v_and_b32_e32 v3, 0x7fffffff, v2
	v_cmp_gt_u32_e32 vcc, s6, v3
	s_and_saveexec_b64 s[6:7], vcc
	s_cbranch_execz .LBB39_73
; %bb.68:
	s_mov_b32 s18, 0x37ffffff
	v_cmp_lt_u32_e32 vcc, s18, v3
	s_mov_b64 s[18:19], 0
                                        ; implicit-def: $vgpr3
	s_and_saveexec_b64 s[22:23], vcc
	s_xor_b64 s[22:23], exec, s[22:23]
	s_cbranch_execz .LBB39_287
; %bb.69:
	v_bfe_u32 v3, v2, 21, 1
	s_mov_b32 s26, 0x88fffff
	v_add3_u32 v3, v2, v3, s26
	s_mov_b64 s[18:19], exec
	v_lshrrev_b32_e32 v3, 21, v3
	s_andn2_saveexec_b64 s[22:23], s[22:23]
	s_cbranch_execnz .LBB39_288
.LBB39_70:
	s_or_b64 exec, exec, s[22:23]
	v_mov_b32_e32 v6, 0
	s_and_saveexec_b64 s[22:23], s[18:19]
.LBB39_71:
	v_lshrrev_b32_e32 v2, 24, v2
	s_movk_i32 s18, 0x80
	v_and_or_b32 v6, v2, s18, v3
.LBB39_72:
	s_or_b64 exec, exec, s[22:23]
.LBB39_73:
	s_or_b64 exec, exec, s[6:7]
	s_mov_b64 s[6:7], 0
	global_store_byte v[4:5], v6, off
.LBB39_74:
	s_and_b64 vcc, exec, s[6:7]
	s_cbranch_vccz .LBB39_84
; %bb.75:
	v_cvt_f32_f64_e32 v2, v[0:1]
	s_mov_b32 s6, 0x43f00000
                                        ; implicit-def: $vgpr3
	v_and_b32_e32 v6, 0x7fffffff, v2
	v_cmp_gt_u32_e32 vcc, s6, v6
	s_and_saveexec_b64 s[6:7], vcc
	s_xor_b64 s[6:7], exec, s[6:7]
	s_cbranch_execz .LBB39_81
; %bb.76:
	s_mov_b32 s18, 0x3c7fffff
	v_cmp_lt_u32_e32 vcc, s18, v6
                                        ; implicit-def: $vgpr3
	s_and_saveexec_b64 s[18:19], vcc
	s_xor_b64 s[18:19], exec, s[18:19]
; %bb.77:
	v_bfe_u32 v3, v2, 20, 1
	s_mov_b32 s22, 0x407ffff
	v_add3_u32 v3, v2, v3, s22
	v_lshrrev_b32_e32 v6, 20, v3
	v_and_b32_e32 v3, 0xff00000, v3
	s_mov_b32 s22, 0x7f00000
	v_mov_b32_e32 v7, 0x7e
	v_cmp_ne_u32_e32 vcc, s22, v3
	v_cndmask_b32_e32 v3, v7, v6, vcc
; %bb.78:
	s_andn2_saveexec_b64 s[18:19], s[18:19]
; %bb.79:
	s_mov_b32 s22, 0x46800000
	v_add_f32_e64 v3, |v2|, s22
; %bb.80:
	s_or_b64 exec, exec, s[18:19]
                                        ; implicit-def: $vgpr6
.LBB39_81:
	s_andn2_saveexec_b64 s[6:7], s[6:7]
; %bb.82:
	s_mov_b32 s18, 0x7f800000
	v_mov_b32_e32 v3, 0x7e
	v_mov_b32_e32 v7, 0x7f
	v_cmp_lt_u32_e32 vcc, s18, v6
	v_cndmask_b32_e32 v3, v3, v7, vcc
; %bb.83:
	s_or_b64 exec, exec, s[6:7]
	v_lshrrev_b32_e32 v2, 24, v2
	s_movk_i32 s6, 0x80
	v_and_or_b32 v2, v2, s6, v3
	global_store_byte v[4:5], v2, off
.LBB39_84:
	s_mov_b64 s[6:7], 0
.LBB39_85:
	s_andn2_b64 vcc, exec, s[6:7]
	s_cbranch_vccnz .LBB39_95
; %bb.86:
	v_cvt_f32_f64_e32 v2, v[0:1]
	s_mov_b32 s6, 0x47800000
                                        ; implicit-def: $vgpr3
	v_and_b32_e32 v6, 0x7fffffff, v2
	v_cmp_gt_u32_e32 vcc, s6, v6
	s_and_saveexec_b64 s[6:7], vcc
	s_xor_b64 s[6:7], exec, s[6:7]
	s_cbranch_execz .LBB39_92
; %bb.87:
	s_mov_b32 s18, 0x387fffff
	v_cmp_lt_u32_e32 vcc, s18, v6
                                        ; implicit-def: $vgpr3
	s_and_saveexec_b64 s[18:19], vcc
	s_xor_b64 s[18:19], exec, s[18:19]
; %bb.88:
	v_bfe_u32 v3, v2, 21, 1
	s_mov_b32 s22, 0x80fffff
	v_add3_u32 v3, v2, v3, s22
	v_lshrrev_b32_e32 v3, 21, v3
; %bb.89:
	s_andn2_saveexec_b64 s[18:19], s[18:19]
; %bb.90:
	s_mov_b32 s22, 0x43000000
	v_add_f32_e64 v3, |v2|, s22
; %bb.91:
	s_or_b64 exec, exec, s[18:19]
                                        ; implicit-def: $vgpr6
.LBB39_92:
	s_andn2_saveexec_b64 s[6:7], s[6:7]
; %bb.93:
	s_mov_b32 s18, 0x7f800000
	v_mov_b32_e32 v3, 0x7c
	v_mov_b32_e32 v7, 0x7f
	v_cmp_lt_u32_e32 vcc, s18, v6
	v_cndmask_b32_e32 v3, v3, v7, vcc
; %bb.94:
	s_or_b64 exec, exec, s[6:7]
	v_lshrrev_b32_e32 v2, 24, v2
	s_movk_i32 s6, 0x80
	v_and_or_b32 v2, v2, s6, v3
	global_store_byte v[4:5], v2, off
.LBB39_95:
	s_mov_b64 s[18:19], 0
	s_mov_b64 s[6:7], -1
.LBB39_96:
	s_andn2_b64 vcc, exec, s[18:19]
	s_cbranch_vccnz .LBB39_104
; %bb.97:
	s_cmp_gt_i32 s25, 14
	s_mov_b64 s[18:19], -1
	s_cbranch_scc0 .LBB39_101
; %bb.98:
	s_cmp_eq_u32 s25, 15
	s_mov_b64 s[0:1], -1
	s_cbranch_scc0 .LBB39_100
; %bb.99:
	v_cvt_f32_f64_e32 v2, v[0:1]
	s_movk_i32 s0, 0x7fff
	v_mov_b32_e32 v3, 0x7fc0
	s_mov_b64 s[6:7], -1
	v_bfe_u32 v6, v2, 16, 1
	v_cmp_o_f32_e32 vcc, v2, v2
	v_add3_u32 v2, v2, v6, s0
	v_cndmask_b32_sdwa v2, v3, v2, vcc dst_sel:DWORD dst_unused:UNUSED_PAD src0_sel:DWORD src1_sel:WORD_1
	global_store_short v[4:5], v2, off
	s_mov_b64 s[0:1], 0
.LBB39_100:
	s_mov_b64 s[18:19], 0
.LBB39_101:
	s_and_b64 vcc, exec, s[18:19]
	s_cbranch_vccz .LBB39_104
; %bb.102:
	s_cmp_eq_u32 s25, 11
	s_mov_b64 s[0:1], -1
	s_cbranch_scc0 .LBB39_104
; %bb.103:
	v_cmp_neq_f64_e32 vcc, 0, v[0:1]
	s_mov_b64 s[0:1], 0
	s_mov_b64 s[6:7], -1
	v_cndmask_b32_e64 v2, 0, 1, vcc
	global_store_byte v[4:5], v2, off
.LBB39_104:
	s_branch .LBB39_22
.LBB39_105:
	s_and_b32 s18, 0xffff, s24
	s_cmp_lt_i32 s18, 5
	s_mov_b64 s[6:7], -1
	s_cbranch_scc1 .LBB39_126
; %bb.106:
	s_cmp_lt_i32 s18, 8
	s_cbranch_scc1 .LBB39_116
; %bb.107:
	s_cmp_lt_i32 s18, 9
	s_cbranch_scc1 .LBB39_113
; %bb.108:
	s_cmp_gt_i32 s18, 9
	s_cbranch_scc0 .LBB39_110
; %bb.109:
	v_mov_b32_e32 v2, 0
	v_mov_b32_e32 v3, v2
	global_store_dwordx4 v[4:5], v[0:3], off
	s_mov_b64 s[6:7], 0
.LBB39_110:
	s_andn2_b64 vcc, exec, s[6:7]
	s_cbranch_vccnz .LBB39_112
; %bb.111:
	v_cvt_f32_f64_e32 v2, v[0:1]
	v_mov_b32_e32 v3, 0
	global_store_dwordx2 v[4:5], v[2:3], off
.LBB39_112:
	s_mov_b64 s[6:7], 0
.LBB39_113:
	s_andn2_b64 vcc, exec, s[6:7]
	s_cbranch_vccnz .LBB39_115
; %bb.114:
	s_movk_i32 s6, 0x1ff
	v_and_or_b32 v2, v1, s6, v0
	v_cmp_ne_u32_e32 vcc, 0, v2
	v_cndmask_b32_e64 v2, 0, 1, vcc
	v_lshrrev_b32_e32 v3, 8, v1
	s_movk_i32 s6, 0xffe
	v_bfe_u32 v6, v1, 20, 11
	v_and_or_b32 v2, v3, s6, v2
	v_sub_u32_e32 v7, 0x3f1, v6
	v_or_b32_e32 v3, 0x1000, v2
	v_med3_i32 v7, v7, 0, 13
	v_lshrrev_b32_e32 v8, v7, v3
	v_lshlrev_b32_e32 v7, v7, v8
	v_cmp_ne_u32_e32 vcc, v7, v3
	v_cndmask_b32_e64 v3, 0, 1, vcc
	v_add_u32_e32 v6, 0xfffffc10, v6
	v_or_b32_e32 v3, v8, v3
	v_lshl_or_b32 v7, v6, 12, v2
	v_cmp_gt_i32_e32 vcc, 1, v6
	v_cndmask_b32_e32 v3, v7, v3, vcc
	v_and_b32_e32 v7, 7, v3
	v_cmp_lt_i32_e32 vcc, 5, v7
	v_cndmask_b32_e64 v8, 0, 1, vcc
	v_cmp_eq_u32_e32 vcc, 3, v7
	v_cndmask_b32_e64 v7, 0, 1, vcc
	v_or_b32_e32 v7, v7, v8
	v_lshrrev_b32_e32 v3, 2, v3
	v_add_u32_e32 v3, v3, v7
	v_mov_b32_e32 v7, 0x7c00
	v_cmp_gt_i32_e32 vcc, 31, v6
	v_cndmask_b32_e32 v3, v7, v3, vcc
	v_mov_b32_e32 v8, 0x7e00
	v_cmp_ne_u32_e32 vcc, 0, v2
	s_movk_i32 s6, 0x40f
	v_cndmask_b32_e32 v2, v7, v8, vcc
	v_cmp_eq_u32_e32 vcc, s6, v6
	v_cndmask_b32_e32 v2, v3, v2, vcc
	v_lshrrev_b32_e32 v3, 16, v1
	s_mov_b32 s6, 0x8000
	v_and_or_b32 v2, v3, s6, v2
	v_and_b32_e32 v2, 0xffff, v2
	global_store_dword v[4:5], v2, off
.LBB39_115:
	s_mov_b64 s[6:7], 0
.LBB39_116:
	s_andn2_b64 vcc, exec, s[6:7]
	s_cbranch_vccnz .LBB39_125
; %bb.117:
	s_cmp_lt_i32 s18, 6
	s_mov_b64 s[6:7], -1
	s_cbranch_scc1 .LBB39_123
; %bb.118:
	s_cmp_gt_i32 s18, 6
	s_cbranch_scc0 .LBB39_120
; %bb.119:
	global_store_dwordx2 v[4:5], v[0:1], off
	s_mov_b64 s[6:7], 0
.LBB39_120:
	s_andn2_b64 vcc, exec, s[6:7]
	s_cbranch_vccnz .LBB39_122
; %bb.121:
	v_cvt_f32_f64_e32 v2, v[0:1]
	global_store_dword v[4:5], v2, off
.LBB39_122:
	s_mov_b64 s[6:7], 0
.LBB39_123:
	s_andn2_b64 vcc, exec, s[6:7]
	s_cbranch_vccnz .LBB39_125
; %bb.124:
	s_movk_i32 s6, 0x1ff
	v_and_or_b32 v2, v1, s6, v0
	v_cmp_ne_u32_e32 vcc, 0, v2
	v_cndmask_b32_e64 v2, 0, 1, vcc
	v_lshrrev_b32_e32 v3, 8, v1
	s_movk_i32 s6, 0xffe
	v_bfe_u32 v6, v1, 20, 11
	v_and_or_b32 v2, v3, s6, v2
	v_sub_u32_e32 v7, 0x3f1, v6
	v_or_b32_e32 v3, 0x1000, v2
	v_med3_i32 v7, v7, 0, 13
	v_lshrrev_b32_e32 v8, v7, v3
	v_lshlrev_b32_e32 v7, v7, v8
	v_cmp_ne_u32_e32 vcc, v7, v3
	v_cndmask_b32_e64 v3, 0, 1, vcc
	v_add_u32_e32 v6, 0xfffffc10, v6
	v_or_b32_e32 v3, v8, v3
	v_lshl_or_b32 v7, v6, 12, v2
	v_cmp_gt_i32_e32 vcc, 1, v6
	v_cndmask_b32_e32 v3, v7, v3, vcc
	v_and_b32_e32 v7, 7, v3
	v_cmp_lt_i32_e32 vcc, 5, v7
	v_cndmask_b32_e64 v8, 0, 1, vcc
	v_cmp_eq_u32_e32 vcc, 3, v7
	v_cndmask_b32_e64 v7, 0, 1, vcc
	v_or_b32_e32 v7, v7, v8
	v_lshrrev_b32_e32 v3, 2, v3
	v_add_u32_e32 v3, v3, v7
	v_mov_b32_e32 v7, 0x7c00
	v_cmp_gt_i32_e32 vcc, 31, v6
	v_cndmask_b32_e32 v3, v7, v3, vcc
	v_mov_b32_e32 v8, 0x7e00
	v_cmp_ne_u32_e32 vcc, 0, v2
	s_movk_i32 s6, 0x40f
	v_cndmask_b32_e32 v2, v7, v8, vcc
	v_cmp_eq_u32_e32 vcc, s6, v6
	v_cndmask_b32_e32 v2, v3, v2, vcc
	v_lshrrev_b32_e32 v3, 16, v1
	s_mov_b32 s6, 0x8000
	v_and_or_b32 v2, v3, s6, v2
	global_store_short v[4:5], v2, off
.LBB39_125:
	s_mov_b64 s[6:7], 0
.LBB39_126:
	s_andn2_b64 vcc, exec, s[6:7]
	s_cbranch_vccnz .LBB39_142
; %bb.127:
	s_cmp_lt_i32 s18, 2
	s_mov_b64 s[6:7], -1
	s_cbranch_scc1 .LBB39_137
; %bb.128:
	s_cmp_lt_i32 s18, 3
	s_cbranch_scc1 .LBB39_134
; %bb.129:
	s_cmp_gt_i32 s18, 3
	s_cbranch_scc0 .LBB39_131
; %bb.130:
	v_trunc_f64_e32 v[2:3], v[0:1]
	s_movk_i32 s6, 0xffe0
	v_ldexp_f64 v[6:7], v[2:3], s6
	s_mov_b32 s6, 0
	s_mov_b32 s7, 0xc1f00000
	v_floor_f64_e32 v[6:7], v[6:7]
	v_fma_f64 v[2:3], v[6:7], s[6:7], v[2:3]
	v_cvt_i32_f64_e32 v7, v[6:7]
	s_mov_b64 s[6:7], 0
	v_cvt_u32_f64_e32 v6, v[2:3]
	global_store_dwordx2 v[4:5], v[6:7], off
.LBB39_131:
	s_andn2_b64 vcc, exec, s[6:7]
	s_cbranch_vccnz .LBB39_133
; %bb.132:
	v_cvt_i32_f64_e32 v2, v[0:1]
	global_store_dword v[4:5], v2, off
.LBB39_133:
	s_mov_b64 s[6:7], 0
.LBB39_134:
	s_andn2_b64 vcc, exec, s[6:7]
	s_cbranch_vccnz .LBB39_136
; %bb.135:
	v_cvt_i32_f64_e32 v2, v[0:1]
	global_store_short v[4:5], v2, off
.LBB39_136:
	s_mov_b64 s[6:7], 0
.LBB39_137:
	s_andn2_b64 vcc, exec, s[6:7]
	s_cbranch_vccnz .LBB39_142
; %bb.138:
	s_cmp_gt_i32 s18, 0
	s_mov_b64 s[6:7], -1
	s_cbranch_scc0 .LBB39_140
; %bb.139:
	v_cvt_i32_f64_e32 v2, v[0:1]
	s_mov_b64 s[6:7], 0
	global_store_byte v[4:5], v2, off
.LBB39_140:
	s_andn2_b64 vcc, exec, s[6:7]
	s_cbranch_vccnz .LBB39_142
; %bb.141:
	v_trunc_f64_e32 v[0:1], v[0:1]
	s_movk_i32 s6, 0xffe0
	v_ldexp_f64 v[2:3], v[0:1], s6
	s_mov_b32 s6, 0
	s_mov_b32 s7, 0xc1f00000
	v_floor_f64_e32 v[2:3], v[2:3]
	v_fma_f64 v[0:1], v[2:3], s[6:7], v[0:1]
	v_cvt_u32_f64_e32 v0, v[0:1]
	global_store_byte v[4:5], v0, off
.LBB39_142:
	s_branch .LBB39_23
.LBB39_143:
	s_mov_b64 s[18:19], 0
                                        ; implicit-def: $vgpr20
	s_branch .LBB39_253
.LBB39_144:
	s_mov_b64 s[14:15], -1
                                        ; implicit-def: $vgpr2_vgpr3
.LBB39_145:
	s_mov_b64 s[6:7], 0
.LBB39_146:
	s_and_b64 vcc, exec, s[6:7]
	s_cbranch_vccz .LBB39_150
; %bb.147:
	s_cmp_eq_u32 s22, 29
	s_cbranch_scc0 .LBB39_149
; %bb.148:
	global_load_dwordx2 v[2:3], v[0:1], off
	s_mov_b64 s[0:1], -1
	s_mov_b64 s[14:15], 0
	s_mov_b64 s[6:7], 0
	s_waitcnt vmcnt(0)
	v_cvt_f64_u32_e32 v[3:4], v3
	v_cvt_f64_u32_e32 v[5:6], v2
	v_ldexp_f64 v[3:4], v[3:4], 32
	v_add_f64 v[2:3], v[3:4], v[5:6]
	s_branch .LBB39_151
.LBB39_149:
	s_mov_b64 s[14:15], -1
                                        ; implicit-def: $vgpr2_vgpr3
.LBB39_150:
	s_mov_b64 s[6:7], 0
.LBB39_151:
	s_and_b64 vcc, exec, s[6:7]
	s_cbranch_vccz .LBB39_171
; %bb.152:
	s_cmp_lt_i32 s22, 27
	s_cbranch_scc1 .LBB39_155
; %bb.153:
	s_cmp_gt_i32 s22, 27
	s_cbranch_scc0 .LBB39_156
; %bb.154:
	global_load_dword v2, v[0:1], off
	s_mov_b64 s[0:1], 0
	s_waitcnt vmcnt(0)
	v_cvt_f64_u32_e32 v[2:3], v2
	s_branch .LBB39_157
.LBB39_155:
	s_mov_b64 s[0:1], -1
                                        ; implicit-def: $vgpr2_vgpr3
	s_branch .LBB39_160
.LBB39_156:
	s_mov_b64 s[0:1], -1
                                        ; implicit-def: $vgpr2_vgpr3
.LBB39_157:
	s_andn2_b64 vcc, exec, s[0:1]
	s_cbranch_vccnz .LBB39_159
; %bb.158:
	global_load_ushort v2, v[0:1], off
	s_waitcnt vmcnt(0)
	v_cvt_f64_u32_e32 v[2:3], v2
.LBB39_159:
	s_mov_b64 s[0:1], 0
.LBB39_160:
	s_andn2_b64 vcc, exec, s[0:1]
	s_cbranch_vccnz .LBB39_170
; %bb.161:
	global_load_ubyte v4, v[0:1], off
	s_movk_i32 s0, 0x7f
	s_waitcnt vmcnt(0)
	v_cmp_lt_i16_e32 vcc, s0, v4
	s_mov_b64 s[0:1], 0
	s_and_saveexec_b64 s[6:7], vcc
	s_xor_b64 s[6:7], exec, s[6:7]
	s_cbranch_execz .LBB39_165
; %bb.162:
	s_movk_i32 s0, 0x80
	v_cmp_eq_u16_e32 vcc, s0, v4
	s_mov_b64 s[0:1], -1
	s_and_saveexec_b64 s[18:19], vcc
; %bb.163:
	s_xor_b64 s[0:1], exec, -1
; %bb.164:
	s_or_b64 exec, exec, s[18:19]
	s_and_b64 s[0:1], s[0:1], exec
.LBB39_165:
	s_or_saveexec_b64 s[6:7], s[6:7]
	v_bfrev_b32_e32 v2, 4
	v_mov_b32_e32 v3, 0x7ff80000
	s_xor_b64 exec, exec, s[6:7]
; %bb.166:
	v_cmp_ne_u16_e32 vcc, 0, v4
	v_mov_b32_e32 v2, 0
	s_andn2_b64 s[0:1], s[0:1], exec
	s_and_b64 s[18:19], vcc, exec
	v_mov_b32_e32 v3, 0
	s_or_b64 s[0:1], s[0:1], s[18:19]
; %bb.167:
	s_or_b64 exec, exec, s[6:7]
	s_and_saveexec_b64 s[6:7], s[0:1]
	s_cbranch_execz .LBB39_169
; %bb.168:
	v_and_b32_e32 v3, 0xffff, v4
	v_lshlrev_b32_e32 v2, 24, v4
	v_and_b32_e32 v4, 7, v3
	v_ffbh_u32_e32 v6, v4
	v_min_u32_e32 v6, 32, v6
	v_subrev_u32_e32 v7, 28, v6
	v_bfe_u32 v5, v3, 3, 4
	v_lshlrev_b32_e32 v3, v7, v3
	v_sub_u32_e32 v6, 29, v6
	v_and_b32_e32 v3, 7, v3
	v_cmp_eq_u32_e32 vcc, 0, v5
	v_cndmask_b32_e32 v5, v5, v6, vcc
	v_cndmask_b32_e32 v3, v4, v3, vcc
	v_mov_b32_e32 v4, 0x3b800000
	v_lshlrev_b32_e32 v3, 20, v3
	v_and_b32_e32 v2, 0x80000000, v2
	v_lshl_add_u32 v4, v5, 23, v4
	v_or3_b32 v2, v2, v4, v3
	v_cvt_f64_f32_e32 v[2:3], v2
.LBB39_169:
	s_or_b64 exec, exec, s[6:7]
.LBB39_170:
	s_mov_b64 s[0:1], -1
.LBB39_171:
	s_branch .LBB39_204
.LBB39_172:
	s_cmp_gt_i32 s22, 22
	s_cbranch_scc0 .LBB39_184
; %bb.173:
	s_cmp_lt_i32 s22, 24
	s_cbranch_scc1 .LBB39_185
; %bb.174:
	s_cmp_gt_i32 s22, 24
	s_cbranch_scc0 .LBB39_186
; %bb.175:
	global_load_ubyte v4, v[0:1], off
	s_movk_i32 s0, 0x7f
	s_waitcnt vmcnt(0)
	v_cmp_lt_i16_e32 vcc, s0, v4
	s_mov_b64 s[0:1], 0
	s_and_saveexec_b64 s[6:7], vcc
	s_xor_b64 s[6:7], exec, s[6:7]
	s_cbranch_execz .LBB39_179
; %bb.176:
	s_movk_i32 s0, 0x80
	v_cmp_eq_u16_e32 vcc, s0, v4
	s_mov_b64 s[0:1], -1
	s_and_saveexec_b64 s[18:19], vcc
; %bb.177:
	s_xor_b64 s[0:1], exec, -1
; %bb.178:
	s_or_b64 exec, exec, s[18:19]
	s_and_b64 s[0:1], s[0:1], exec
.LBB39_179:
	s_or_saveexec_b64 s[6:7], s[6:7]
	v_bfrev_b32_e32 v2, 4
	v_mov_b32_e32 v3, 0x7ff80000
	s_xor_b64 exec, exec, s[6:7]
; %bb.180:
	v_cmp_ne_u16_e32 vcc, 0, v4
	v_mov_b32_e32 v2, 0
	s_andn2_b64 s[0:1], s[0:1], exec
	s_and_b64 s[18:19], vcc, exec
	v_mov_b32_e32 v3, 0
	s_or_b64 s[0:1], s[0:1], s[18:19]
; %bb.181:
	s_or_b64 exec, exec, s[6:7]
	s_and_saveexec_b64 s[6:7], s[0:1]
	s_cbranch_execz .LBB39_183
; %bb.182:
	v_and_b32_e32 v3, 0xffff, v4
	v_lshlrev_b32_e32 v2, 24, v4
	v_and_b32_e32 v4, 3, v3
	v_ffbh_u32_e32 v6, v4
	v_min_u32_e32 v6, 32, v6
	v_subrev_u32_e32 v7, 29, v6
	v_bfe_u32 v5, v3, 2, 5
	v_lshlrev_b32_e32 v3, v7, v3
	v_sub_u32_e32 v6, 30, v6
	v_and_b32_e32 v3, 3, v3
	v_cmp_eq_u32_e32 vcc, 0, v5
	v_cndmask_b32_e32 v5, v5, v6, vcc
	v_cndmask_b32_e32 v3, v4, v3, vcc
	v_mov_b32_e32 v4, 0x37800000
	v_lshlrev_b32_e32 v3, 21, v3
	v_and_b32_e32 v2, 0x80000000, v2
	v_lshl_add_u32 v4, v5, 23, v4
	v_or3_b32 v2, v2, v4, v3
	v_cvt_f64_f32_e32 v[2:3], v2
.LBB39_183:
	s_or_b64 exec, exec, s[6:7]
	s_mov_b64 s[0:1], 0
	s_branch .LBB39_187
.LBB39_184:
	s_mov_b64 s[6:7], -1
                                        ; implicit-def: $vgpr2_vgpr3
	s_branch .LBB39_193
.LBB39_185:
	s_mov_b64 s[0:1], -1
                                        ; implicit-def: $vgpr2_vgpr3
	s_branch .LBB39_190
.LBB39_186:
	s_mov_b64 s[0:1], -1
                                        ; implicit-def: $vgpr2_vgpr3
.LBB39_187:
	s_and_b64 vcc, exec, s[0:1]
	s_cbranch_vccz .LBB39_189
; %bb.188:
	global_load_ubyte v2, v[0:1], off
	s_mov_b32 s0, 0x7f800000
	s_waitcnt vmcnt(0)
	v_lshlrev_b32_e32 v2, 24, v2
	v_and_b32_e32 v3, 0x7f000000, v2
	v_ffbh_u32_e32 v4, v3
	v_min_u32_e32 v4, 32, v4
	v_sub_u32_e64 v4, v4, 4 clamp
	v_lshlrev_b32_e32 v6, v4, v3
	v_lshlrev_b32_e32 v4, 23, v4
	v_lshrrev_b32_e32 v6, 4, v6
	v_add_u32_e32 v5, 0x1000000, v3
	v_sub_u32_e32 v4, v6, v4
	v_ashrrev_i32_e32 v5, 8, v5
	v_add_u32_e32 v4, 0x3c000000, v4
	v_and_or_b32 v4, v5, s0, v4
	v_cmp_ne_u32_e32 vcc, 0, v3
	v_cndmask_b32_e32 v3, 0, v4, vcc
	s_brev_b32 s0, 1
	v_and_or_b32 v2, v2, s0, v3
	v_cvt_f64_f32_e32 v[2:3], v2
.LBB39_189:
	s_mov_b64 s[0:1], 0
.LBB39_190:
	s_andn2_b64 vcc, exec, s[0:1]
	s_cbranch_vccnz .LBB39_192
; %bb.191:
	global_load_ubyte v2, v[0:1], off
	s_movk_i32 s0, 0x7f00
	s_brev_b32 s1, 16
	s_waitcnt vmcnt(0)
	v_lshlrev_b16_e32 v3, 8, v2
	v_lshlrev_b32_e32 v2, 25, v2
	v_lshrrev_b32_e32 v4, 4, v2
	v_and_or_b32 v5, v3, s0, 0.5
	v_or_b32_e32 v4, 0x70000000, v4
	v_add_f32_e32 v5, -0.5, v5
	v_mul_f32_e32 v4, 0x7800000, v4
	v_cmp_gt_u32_e32 vcc, s1, v2
	v_bfe_i32 v3, v3, 0, 16
	v_cndmask_b32_e32 v2, v4, v5, vcc
	s_brev_b32 s0, 1
	v_and_or_b32 v2, v3, s0, v2
	v_cvt_f64_f32_e32 v[2:3], v2
.LBB39_192:
	s_mov_b64 s[6:7], 0
	s_mov_b64 s[0:1], -1
.LBB39_193:
	s_andn2_b64 vcc, exec, s[6:7]
	s_cbranch_vccnz .LBB39_204
; %bb.194:
	s_cmp_gt_i32 s22, 14
	s_cbranch_scc0 .LBB39_197
; %bb.195:
	s_cmp_eq_u32 s22, 15
	s_cbranch_scc0 .LBB39_198
; %bb.196:
	global_load_ushort v2, v[0:1], off
	s_mov_b64 s[0:1], -1
	s_mov_b64 s[14:15], 0
	s_waitcnt vmcnt(0)
	v_lshlrev_b32_e32 v2, 16, v2
	v_cvt_f64_f32_e32 v[2:3], v2
	s_branch .LBB39_199
.LBB39_197:
	s_mov_b64 s[6:7], -1
                                        ; implicit-def: $vgpr2_vgpr3
	s_branch .LBB39_200
.LBB39_198:
	s_mov_b64 s[14:15], -1
                                        ; implicit-def: $vgpr2_vgpr3
.LBB39_199:
	s_mov_b64 s[6:7], 0
.LBB39_200:
	s_and_b64 vcc, exec, s[6:7]
	s_cbranch_vccz .LBB39_204
; %bb.201:
	s_cmp_eq_u32 s22, 11
	s_cbranch_scc0 .LBB39_203
; %bb.202:
	global_load_ubyte v3, v[0:1], off
	v_mov_b32_e32 v4, 0x3ff00000
	v_mov_b32_e32 v2, 0
	s_mov_b64 s[0:1], -1
	s_mov_b64 s[14:15], 0
	s_waitcnt vmcnt(0)
	v_cmp_ne_u16_e32 vcc, 0, v3
	v_cndmask_b32_e32 v3, 0, v4, vcc
	s_branch .LBB39_204
.LBB39_203:
	s_mov_b64 s[14:15], -1
                                        ; implicit-def: $vgpr2_vgpr3
.LBB39_204:
	s_branch .LBB39_10
.LBB39_205:
	s_cmp_lt_i32 s22, 5
	s_cbranch_scc1 .LBB39_210
; %bb.206:
	s_cmp_lt_i32 s22, 8
	s_cbranch_scc1 .LBB39_211
; %bb.207:
	;; [unrolled: 3-line block ×3, first 2 shown]
	s_cmp_gt_i32 s22, 9
	s_cbranch_scc0 .LBB39_213
; %bb.209:
	global_load_dwordx2 v[2:3], v[0:1], off
	s_mov_b64 s[0:1], 0
	s_branch .LBB39_214
.LBB39_210:
                                        ; implicit-def: $vgpr2_vgpr3
	s_branch .LBB39_232
.LBB39_211:
	s_mov_b64 s[0:1], -1
                                        ; implicit-def: $vgpr2_vgpr3
	s_branch .LBB39_220
.LBB39_212:
	s_mov_b64 s[0:1], -1
                                        ; implicit-def: $vgpr2_vgpr3
	s_branch .LBB39_217
.LBB39_213:
	s_mov_b64 s[0:1], -1
                                        ; implicit-def: $vgpr2_vgpr3
.LBB39_214:
	s_andn2_b64 vcc, exec, s[0:1]
	s_cbranch_vccnz .LBB39_216
; %bb.215:
	global_load_dword v2, v[0:1], off
	s_waitcnt vmcnt(0)
	v_cvt_f64_f32_e32 v[2:3], v2
.LBB39_216:
	s_mov_b64 s[0:1], 0
.LBB39_217:
	s_andn2_b64 vcc, exec, s[0:1]
	s_cbranch_vccnz .LBB39_219
; %bb.218:
	global_load_dword v2, v[0:1], off
	s_waitcnt vmcnt(0)
	v_cvt_f32_f16_e32 v2, v2
	v_cvt_f64_f32_e32 v[2:3], v2
.LBB39_219:
	s_mov_b64 s[0:1], 0
.LBB39_220:
	s_andn2_b64 vcc, exec, s[0:1]
	s_cbranch_vccnz .LBB39_231
; %bb.221:
	s_cmp_lt_i32 s22, 6
	s_cbranch_scc1 .LBB39_224
; %bb.222:
	s_cmp_gt_i32 s22, 6
	s_cbranch_scc0 .LBB39_225
; %bb.223:
	global_load_dwordx2 v[2:3], v[0:1], off
	s_mov_b64 s[0:1], 0
	s_branch .LBB39_226
.LBB39_224:
	s_mov_b64 s[0:1], -1
                                        ; implicit-def: $vgpr2_vgpr3
	s_branch .LBB39_229
.LBB39_225:
	s_mov_b64 s[0:1], -1
                                        ; implicit-def: $vgpr2_vgpr3
.LBB39_226:
	s_andn2_b64 vcc, exec, s[0:1]
	s_cbranch_vccnz .LBB39_228
; %bb.227:
	global_load_dword v2, v[0:1], off
	s_waitcnt vmcnt(0)
	v_cvt_f64_f32_e32 v[2:3], v2
.LBB39_228:
	s_mov_b64 s[0:1], 0
.LBB39_229:
	s_andn2_b64 vcc, exec, s[0:1]
	s_cbranch_vccnz .LBB39_231
; %bb.230:
	global_load_ushort v2, v[0:1], off
	s_waitcnt vmcnt(0)
	v_cvt_f32_f16_e32 v2, v2
	v_cvt_f64_f32_e32 v[2:3], v2
.LBB39_231:
	s_cbranch_execnz .LBB39_251
.LBB39_232:
	s_cmp_lt_i32 s22, 2
	s_cbranch_scc1 .LBB39_236
; %bb.233:
	s_cmp_lt_i32 s22, 3
	s_cbranch_scc1 .LBB39_237
; %bb.234:
	s_cmp_gt_i32 s22, 3
	s_cbranch_scc0 .LBB39_238
; %bb.235:
	global_load_dwordx2 v[2:3], v[0:1], off
	s_mov_b64 s[0:1], 0
	s_waitcnt vmcnt(0)
	v_cvt_f64_i32_e32 v[3:4], v3
	v_cvt_f64_u32_e32 v[5:6], v2
	v_ldexp_f64 v[3:4], v[3:4], 32
	v_add_f64 v[2:3], v[3:4], v[5:6]
	s_branch .LBB39_239
.LBB39_236:
	s_mov_b64 s[0:1], -1
                                        ; implicit-def: $vgpr2_vgpr3
	s_branch .LBB39_245
.LBB39_237:
	s_mov_b64 s[0:1], -1
                                        ; implicit-def: $vgpr2_vgpr3
	s_branch .LBB39_242
.LBB39_238:
	s_mov_b64 s[0:1], -1
                                        ; implicit-def: $vgpr2_vgpr3
.LBB39_239:
	s_andn2_b64 vcc, exec, s[0:1]
	s_cbranch_vccnz .LBB39_241
; %bb.240:
	global_load_dword v2, v[0:1], off
	s_waitcnt vmcnt(0)
	v_cvt_f64_i32_e32 v[2:3], v2
.LBB39_241:
	s_mov_b64 s[0:1], 0
.LBB39_242:
	s_andn2_b64 vcc, exec, s[0:1]
	s_cbranch_vccnz .LBB39_244
; %bb.243:
	global_load_sshort v2, v[0:1], off
	s_waitcnt vmcnt(0)
	v_cvt_f64_i32_e32 v[2:3], v2
.LBB39_244:
	s_mov_b64 s[0:1], 0
.LBB39_245:
	s_andn2_b64 vcc, exec, s[0:1]
	s_cbranch_vccnz .LBB39_251
; %bb.246:
	s_cmp_gt_i32 s22, 0
	s_cbranch_scc0 .LBB39_248
; %bb.247:
	global_load_sbyte v2, v[0:1], off
	s_mov_b64 s[0:1], 0
	s_waitcnt vmcnt(0)
	v_cvt_f64_i32_e32 v[2:3], v2
	s_branch .LBB39_249
.LBB39_248:
	s_mov_b64 s[0:1], -1
                                        ; implicit-def: $vgpr2_vgpr3
.LBB39_249:
	s_andn2_b64 vcc, exec, s[0:1]
	s_cbranch_vccnz .LBB39_251
; %bb.250:
	global_load_ubyte v0, v[0:1], off
	s_waitcnt vmcnt(0)
	v_cvt_f64_u32_e32 v[2:3], v0
.LBB39_251:
	s_branch .LBB39_11
.LBB39_252:
	s_mov_b64 s[0:1], 0
                                        ; implicit-def: $vgpr20
	s_mov_b64 s[18:19], 0
.LBB39_253:
	s_and_b64 s[6:7], s[0:1], exec
	s_and_b64 s[14:15], s[14:15], exec
	s_orn2_b64 s[18:19], s[18:19], exec
.LBB39_254:
	s_or_b64 exec, exec, s[16:17]
	s_mov_b64 s[22:23], 0
	s_mov_b64 s[0:1], 0
                                        ; implicit-def: $vgpr0_vgpr1
                                        ; implicit-def: $vgpr2_vgpr3
	s_and_saveexec_b64 s[16:17], s[18:19]
	s_cbranch_execz .LBB39_263
; %bb.255:
	v_cmp_gt_i32_e32 vcc, s38, v20
	s_mov_b64 s[0:1], -1
	s_mov_b64 s[18:19], s[14:15]
	s_mov_b64 s[20:21], s[6:7]
	s_and_saveexec_b64 s[22:23], vcc
	s_cbranch_execz .LBB39_517
; %bb.256:
	v_mul_lo_u32 v0, v20, s3
	v_mov_b32_e32 v1, s11
	s_and_b32 s26, 0xffff, s42
	s_cmp_lt_i32 s26, 11
	s_waitcnt vmcnt(0)
	v_ashrrev_i32_e32 v2, 31, v0
	v_add_co_u32_e32 v0, vcc, s10, v0
	v_addc_co_u32_e32 v1, vcc, v1, v2, vcc
	s_cbranch_scc1 .LBB39_266
; %bb.257:
	s_cmp_gt_i32 s26, 25
	s_cbranch_scc0 .LBB39_277
; %bb.258:
	s_cmp_gt_i32 s26, 28
	s_cbranch_scc0 .LBB39_279
	;; [unrolled: 3-line block ×4, first 2 shown]
; %bb.261:
	s_cmp_eq_u32 s26, 46
	s_mov_b64 s[20:21], 0
	s_cbranch_scc0 .LBB39_289
; %bb.262:
	global_load_dword v2, v[0:1], off
	s_mov_b64 s[18:19], 0
	s_waitcnt vmcnt(0)
	v_lshlrev_b32_e32 v2, 16, v2
	v_cvt_f64_f32_e32 v[2:3], v2
	s_branch .LBB39_290
.LBB39_263:
	s_or_b64 exec, exec, s[16:17]
	s_mov_b64 s[16:17], 0
	s_and_saveexec_b64 s[18:19], s[14:15]
	s_cbranch_execnz .LBB39_865
.LBB39_264:
	s_or_b64 exec, exec, s[18:19]
	s_and_saveexec_b64 s[14:15], s[20:21]
	s_xor_b64 s[14:15], exec, s[14:15]
	s_cbranch_execz .LBB39_866
.LBB39_265:
	global_load_ubyte v3, v[0:1], off
	v_mov_b32_e32 v4, 0x3ff00000
	s_waitcnt vmcnt(1)
	v_mov_b32_e32 v2, 0
	s_or_b64 s[0:1], s[0:1], exec
	s_waitcnt vmcnt(0)
	v_cmp_ne_u16_e32 vcc, 0, v3
	v_cndmask_b32_e32 v3, 0, v4, vcc
	s_or_b64 exec, exec, s[14:15]
	s_and_saveexec_b64 s[14:15], s[22:23]
	s_cbranch_execz .LBB39_912
	s_branch .LBB39_867
.LBB39_266:
	s_mov_b64 s[0:1], 0
                                        ; implicit-def: $vgpr2_vgpr3
	s_mov_b64 s[18:19], s[14:15]
	s_cbranch_execnz .LBB39_467
.LBB39_267:
	s_andn2_b64 vcc, exec, s[0:1]
	s_cbranch_vccnz .LBB39_515
.LBB39_268:
	s_waitcnt vmcnt(0)
	v_fma_f64 v[4:5], |v[2:3]|, -0.5, 0.5
	v_mul_f64 v[0:1], v[2:3], v[2:3]
	v_cmp_ge_f64_e64 vcc, |v[2:3]|, 0.5
	s_mov_b32 s0, 0x9fea6a70
	v_mov_b32_e32 v6, 0x78a05eaf
	v_mov_b32_e32 v7, 0xbf90a5a3
	s_mov_b32 s1, 0x3fa05985
	v_cndmask_b32_e32 v1, v1, v5, vcc
	v_cndmask_b32_e32 v0, v0, v4, vcc
	v_fma_f64 v[6:7], v[0:1], s[0:1], v[6:7]
	s_mov_b32 s0, 0x37024d6a
	s_mov_b32 s1, 0x3f940521
	v_fma_f64 v[6:7], v[0:1], v[6:7], s[0:1]
	s_mov_b32 s0, 0x98a70509
	s_mov_b32 s1, 0x3f7ab3a0
	;; [unrolled: 3-line block ×10, first 2 shown]
	v_fma_f64 v[6:7], v[0:1], v[6:7], s[0:1]
	v_mul_f64 v[6:7], v[0:1], v[6:7]
	v_fma_f64 v[0:1], |v[2:3]|, v[6:7], |v[2:3]|
	s_and_saveexec_b64 s[0:1], vcc
	s_cbranch_execz .LBB39_270
; %bb.269:
	v_rsq_f64_e32 v[0:1], v[4:5]
	v_cmp_eq_f64_e32 vcc, 0, v[4:5]
	s_mov_b32 s20, 0x54442d18
	s_mov_b32 s21, 0x3fe921fb
	v_mul_f64 v[8:9], v[4:5], v[0:1]
	v_mul_f64 v[0:1], v[0:1], 0.5
	v_fma_f64 v[10:11], -v[0:1], v[8:9], 0.5
	v_fma_f64 v[8:9], v[8:9], v[10:11], v[8:9]
	v_fma_f64 v[0:1], v[0:1], v[10:11], v[0:1]
	v_fma_f64 v[10:11], -v[8:9], v[8:9], v[4:5]
	v_fma_f64 v[0:1], v[10:11], v[0:1], v[8:9]
	v_cndmask_b32_e32 v1, v1, v5, vcc
	v_cndmask_b32_e32 v0, v0, v4, vcc
	v_add_f64 v[8:9], v[0:1], v[0:1]
	v_mul_f64 v[10:11], v[0:1], v[0:1]
	v_rcp_f64_e32 v[12:13], v[8:9]
	v_add_f64 v[14:15], v[4:5], -v[10:11]
	v_fma_f64 v[18:19], v[0:1], v[0:1], -v[10:11]
	v_add_f64 v[4:5], v[4:5], -v[14:15]
	v_fma_f64 v[16:17], -v[8:9], v[12:13], 1.0
	v_add_f64 v[4:5], v[4:5], -v[10:11]
	v_fma_f64 v[10:11], v[16:17], v[12:13], v[12:13]
	v_add_f64 v[4:5], v[4:5], -v[18:19]
	v_fma_f64 v[12:13], -v[8:9], v[10:11], 1.0
	v_add_f64 v[4:5], v[14:15], v[4:5]
	v_fma_f64 v[10:11], v[12:13], v[10:11], v[10:11]
	v_mul_f64 v[12:13], v[4:5], v[10:11]
	v_fma_f64 v[4:5], -v[8:9], v[12:13], v[4:5]
	v_fma_f64 v[4:5], v[4:5], v[10:11], v[12:13]
	v_cndmask_b32_e64 v5, v5, 0, vcc
	v_cndmask_b32_e64 v4, v4, 0, vcc
	v_add_f64 v[8:9], v[0:1], v[4:5]
	v_cmp_neq_f64_e64 vcc, |v[2:3]|, 1.0
	v_mov_b32_e32 v2, 0x54442d18
	v_add_f64 v[0:1], v[8:9], -v[0:1]
	v_mul_f64 v[10:11], v[6:7], v[8:9]
	v_add_f64 v[0:1], v[4:5], -v[0:1]
	v_fma_f64 v[4:5], v[8:9], v[6:7], -v[10:11]
	v_fma_f64 v[4:5], v[0:1], v[6:7], v[4:5]
	v_add_f64 v[6:7], v[10:11], v[4:5]
	v_add_f64 v[12:13], v[8:9], v[6:7]
	v_add_f64 v[10:11], v[6:7], -v[10:11]
	v_add_f64 v[8:9], v[12:13], -v[8:9]
	;; [unrolled: 1-line block ×4, first 2 shown]
	v_add_f64 v[0:1], v[0:1], v[4:5]
	v_add_f64 v[0:1], v[0:1], v[6:7]
	;; [unrolled: 1-line block ×3, first 2 shown]
	v_add_f64 v[6:7], -v[4:5], s[20:21]
	v_add_f64 v[10:11], v[4:5], -v[12:13]
	v_add_f64 v[8:9], -v[6:7], s[20:21]
	s_mov_b32 s20, 0x33145c07
	s_mov_b32 s21, 0x3c81a626
	v_add_f64 v[0:1], v[10:11], -v[0:1]
	v_add_f64 v[4:5], v[8:9], -v[4:5]
	v_add_f64 v[4:5], v[4:5], s[20:21]
	v_add_f64 v[0:1], v[0:1], v[4:5]
	v_mov_b32_e32 v4, 0x3ff921fb
	v_add_f64 v[0:1], v[6:7], v[0:1]
	v_add_f64 v[0:1], v[0:1], v[0:1]
	v_cndmask_b32_e32 v1, v4, v1, vcc
	v_cndmask_b32_e32 v0, v2, v0, vcc
.LBB39_270:
	s_or_b64 exec, exec, s[0:1]
	v_mul_lo_u32 v2, v20, s2
	s_brev_b32 s0, -2
	v_mov_b32_e32 v5, s9
	v_bfi_b32 v1, s0, v1, v3
	v_ashrrev_i32_e32 v3, 31, v2
	s_and_b32 s28, s33, 0xff
	v_add_co_u32_e32 v4, vcc, s8, v2
	s_cmp_lt_i32 s28, 11
	v_addc_co_u32_e32 v5, vcc, v5, v3, vcc
	s_cbranch_scc1 .LBB39_278
; %bb.271:
	s_and_b32 s29, 0xffff, s28
	s_cmp_gt_i32 s29, 25
	s_cbranch_scc0 .LBB39_280
; %bb.272:
	s_cmp_gt_i32 s29, 28
	s_cbranch_scc0 .LBB39_282
; %bb.273:
	;; [unrolled: 3-line block ×4, first 2 shown]
	s_mov_b64 s[24:25], 0
	s_mov_b64 s[0:1], -1
	s_cmp_eq_u32 s29, 46
	s_mov_b64 s[20:21], 0
	s_cbranch_scc0 .LBB39_294
; %bb.276:
	v_cvt_f32_f64_e32 v2, v[0:1]
	s_movk_i32 s0, 0x7fff
	v_mov_b32_e32 v3, 0x7fc0
	s_mov_b64 s[20:21], -1
	v_bfe_u32 v6, v2, 16, 1
	v_cmp_o_f32_e32 vcc, v2, v2
	v_add3_u32 v2, v2, v6, s0
	v_cndmask_b32_sdwa v2, v3, v2, vcc dst_sel:DWORD dst_unused:UNUSED_PAD src0_sel:DWORD src1_sel:WORD_1
	global_store_dword v[4:5], v2, off
	s_mov_b64 s[0:1], 0
	s_branch .LBB39_294
.LBB39_277:
	s_mov_b64 s[20:21], -1
	s_mov_b64 s[0:1], 0
	s_mov_b64 s[18:19], s[14:15]
                                        ; implicit-def: $vgpr2_vgpr3
	s_branch .LBB39_433
.LBB39_278:
	s_mov_b64 s[24:25], -1
	s_mov_b64 s[20:21], 0
	s_mov_b64 s[0:1], s[6:7]
	s_branch .LBB39_363
.LBB39_279:
	s_mov_b64 s[20:21], -1
	s_mov_b64 s[0:1], 0
	s_mov_b64 s[18:19], s[14:15]
                                        ; implicit-def: $vgpr2_vgpr3
	s_branch .LBB39_412
.LBB39_280:
	s_mov_b64 s[24:25], -1
	s_mov_b64 s[20:21], 0
	s_mov_b64 s[0:1], s[6:7]
	s_branch .LBB39_321
.LBB39_281:
	s_mov_b64 s[20:21], -1
	s_mov_b64 s[0:1], 0
	s_mov_b64 s[18:19], s[14:15]
                                        ; implicit-def: $vgpr2_vgpr3
	s_branch .LBB39_407
.LBB39_282:
	s_mov_b64 s[24:25], -1
	s_mov_b64 s[20:21], 0
	s_mov_b64 s[0:1], s[6:7]
	s_branch .LBB39_304
.LBB39_283:
	s_andn2_saveexec_b64 s[22:23], s[22:23]
	s_cbranch_execz .LBB39_57
.LBB39_284:
	s_mov_b32 s26, 0x46000000
	v_add_f32_e64 v3, |v2|, s26
	v_and_b32_e32 v3, 0xff, v3
	v_cmp_ne_u32_e32 vcc, 0, v3
	s_andn2_b64 s[18:19], s[18:19], exec
	s_and_b64 s[26:27], vcc, exec
	s_or_b64 s[18:19], s[18:19], s[26:27]
	s_or_b64 exec, exec, s[22:23]
	v_mov_b32_e32 v6, 0
	s_and_saveexec_b64 s[22:23], s[18:19]
	s_cbranch_execnz .LBB39_58
	s_branch .LBB39_59
.LBB39_285:
	s_mov_b64 s[20:21], -1
	s_mov_b64 s[0:1], 0
	s_mov_b64 s[18:19], s[14:15]
                                        ; implicit-def: $vgpr2_vgpr3
	s_branch .LBB39_290
.LBB39_286:
	s_mov_b64 s[24:25], -1
	s_mov_b64 s[20:21], 0
	s_mov_b64 s[0:1], s[6:7]
	s_branch .LBB39_300
.LBB39_287:
	s_andn2_saveexec_b64 s[22:23], s[22:23]
	s_cbranch_execz .LBB39_70
.LBB39_288:
	s_mov_b32 s26, 0x42800000
	v_add_f32_e64 v3, |v2|, s26
	v_and_b32_e32 v3, 0xff, v3
	v_cmp_ne_u32_e32 vcc, 0, v3
	s_andn2_b64 s[18:19], s[18:19], exec
	s_and_b64 s[26:27], vcc, exec
	s_or_b64 s[18:19], s[18:19], s[26:27]
	s_or_b64 exec, exec, s[22:23]
	v_mov_b32_e32 v6, 0
	s_and_saveexec_b64 s[22:23], s[18:19]
	s_cbranch_execnz .LBB39_71
	s_branch .LBB39_72
.LBB39_289:
	s_mov_b64 s[18:19], -1
                                        ; implicit-def: $vgpr2_vgpr3
	s_mov_b64 s[0:1], 0
.LBB39_290:
	s_and_b64 vcc, exec, s[20:21]
	s_cbranch_vccz .LBB39_406
; %bb.291:
	s_cmp_eq_u32 s26, 44
	s_cbranch_scc0 .LBB39_405
; %bb.292:
	global_load_ubyte v4, v[0:1], off
	s_movk_i32 s18, 0xff
	v_bfrev_b32_e32 v5, 4
	v_mov_b32_e32 v6, 0x7ff80000
	v_bfrev_b32_e32 v7, 28
	s_mov_b64 s[0:1], -1
	s_waitcnt vmcnt(0)
	v_lshlrev_b32_e32 v2, 23, v4
	v_cvt_f64_f32_e32 v[2:3], v2
	v_cmp_ne_u32_e32 vcc, s18, v4
	s_mov_b64 s[18:19], 0
	v_cndmask_b32_e32 v2, v5, v2, vcc
	v_cndmask_b32_e32 v3, v6, v3, vcc
	v_cmp_ne_u32_e32 vcc, 0, v4
	v_cndmask_b32_e32 v3, v7, v3, vcc
	v_cndmask_b32_e32 v2, 0, v2, vcc
	s_branch .LBB39_406
.LBB39_293:
	s_mov_b64 s[24:25], -1
	s_mov_b64 s[20:21], 0
	s_mov_b64 s[0:1], s[6:7]
.LBB39_294:
	s_and_b64 vcc, exec, s[24:25]
	s_cbranch_vccz .LBB39_299
; %bb.295:
	s_cmp_eq_u32 s29, 44
	s_mov_b64 s[0:1], -1
	s_cbranch_scc0 .LBB39_299
; %bb.296:
	v_cvt_f32_f64_e32 v2, v[0:1]
	s_movk_i32 s0, 0xff
	v_mov_b32_e32 v6, 0xff
	v_bfe_u32 v3, v2, 23, 8
	v_cmp_ne_u32_e32 vcc, s0, v3
	s_and_saveexec_b64 s[20:21], vcc
; %bb.297:
	s_mov_b32 s0, 0x3fffff
	v_lshrrev_b32_e32 v6, 23, v2
	v_and_b32_e32 v7, 0x400000, v2
	v_and_or_b32 v2, v2, s0, v3
	v_cmp_ne_u32_e32 vcc, 0, v7
	v_cmp_ne_u32_e64 s[0:1], 0, v2
	s_and_b64 s[0:1], vcc, s[0:1]
	v_cndmask_b32_e64 v2, 0, 1, s[0:1]
	v_add_u32_e32 v6, v6, v2
; %bb.298:
	s_or_b64 exec, exec, s[20:21]
	s_mov_b64 s[20:21], -1
	s_mov_b64 s[0:1], 0
	global_store_byte v[4:5], v6, off
.LBB39_299:
	s_mov_b64 s[24:25], 0
.LBB39_300:
	s_and_b64 vcc, exec, s[24:25]
	s_cbranch_vccz .LBB39_303
; %bb.301:
	s_cmp_eq_u32 s29, 29
	s_mov_b64 s[0:1], -1
	s_cbranch_scc0 .LBB39_303
; %bb.302:
	v_trunc_f64_e32 v[2:3], v[0:1]
	s_movk_i32 s0, 0xffe0
	s_mov_b64 s[20:21], -1
	s_mov_b64 s[24:25], 0
	v_ldexp_f64 v[6:7], v[2:3], s0
	s_mov_b32 s0, 0
	s_mov_b32 s1, 0xc1f00000
	v_floor_f64_e32 v[6:7], v[6:7]
	v_fma_f64 v[2:3], v[6:7], s[0:1], v[2:3]
	v_cvt_u32_f64_e32 v7, v[6:7]
	s_mov_b64 s[0:1], 0
	v_cvt_u32_f64_e32 v6, v[2:3]
	global_store_dwordx2 v[4:5], v[6:7], off
	s_branch .LBB39_304
.LBB39_303:
	s_mov_b64 s[24:25], 0
.LBB39_304:
	s_and_b64 vcc, exec, s[24:25]
	s_cbranch_vccz .LBB39_320
; %bb.305:
	s_cmp_lt_i32 s29, 27
	s_mov_b64 s[20:21], -1
	s_cbranch_scc1 .LBB39_311
; %bb.306:
	v_cvt_u32_f64_e32 v2, v[0:1]
	s_cmp_gt_i32 s29, 27
	s_cbranch_scc0 .LBB39_308
; %bb.307:
	s_mov_b64 s[20:21], 0
	global_store_dword v[4:5], v2, off
.LBB39_308:
	s_andn2_b64 vcc, exec, s[20:21]
	s_cbranch_vccnz .LBB39_310
; %bb.309:
	global_store_short v[4:5], v2, off
.LBB39_310:
	s_mov_b64 s[20:21], 0
.LBB39_311:
	s_andn2_b64 vcc, exec, s[20:21]
	s_cbranch_vccnz .LBB39_319
; %bb.312:
	v_cvt_f32_f64_e32 v2, v[0:1]
	s_mov_b32 s20, 0x43800000
	v_mov_b32_e32 v6, 0x80
	v_and_b32_e32 v3, 0x7fffffff, v2
	v_cmp_gt_u32_e32 vcc, s20, v3
	s_and_saveexec_b64 s[20:21], vcc
	s_cbranch_execz .LBB39_318
; %bb.313:
	s_mov_b32 s24, 0x3bffffff
	v_cmp_lt_u32_e32 vcc, s24, v3
	s_mov_b64 s[24:25], 0
                                        ; implicit-def: $vgpr3
	s_and_saveexec_b64 s[26:27], vcc
	s_xor_b64 s[26:27], exec, s[26:27]
	s_cbranch_execz .LBB39_530
; %bb.314:
	v_bfe_u32 v3, v2, 20, 1
	s_mov_b32 s30, 0x487ffff
	v_add3_u32 v3, v2, v3, s30
	s_mov_b64 s[24:25], exec
	v_lshrrev_b32_e32 v3, 20, v3
	s_andn2_saveexec_b64 s[26:27], s[26:27]
	s_cbranch_execnz .LBB39_531
.LBB39_315:
	s_or_b64 exec, exec, s[26:27]
	v_mov_b32_e32 v6, 0
	s_and_saveexec_b64 s[26:27], s[24:25]
.LBB39_316:
	v_lshrrev_b32_e32 v2, 24, v2
	s_movk_i32 s24, 0x80
	v_and_or_b32 v6, v2, s24, v3
.LBB39_317:
	s_or_b64 exec, exec, s[26:27]
.LBB39_318:
	s_or_b64 exec, exec, s[20:21]
	global_store_byte v[4:5], v6, off
.LBB39_319:
	s_mov_b64 s[20:21], -1
.LBB39_320:
	s_mov_b64 s[24:25], 0
.LBB39_321:
	s_and_b64 vcc, exec, s[24:25]
	s_cbranch_vccz .LBB39_362
; %bb.322:
	s_cmp_gt_i32 s29, 22
	s_mov_b64 s[24:25], -1
	s_cbranch_scc0 .LBB39_354
; %bb.323:
	s_cmp_lt_i32 s29, 24
	s_mov_b64 s[20:21], -1
	s_cbranch_scc1 .LBB39_343
; %bb.324:
	s_cmp_gt_i32 s29, 24
	s_cbranch_scc0 .LBB39_332
; %bb.325:
	v_cvt_f32_f64_e32 v2, v[0:1]
	s_mov_b32 s20, 0x47800000
	v_mov_b32_e32 v6, 0x80
	v_and_b32_e32 v3, 0x7fffffff, v2
	v_cmp_gt_u32_e32 vcc, s20, v3
	s_and_saveexec_b64 s[20:21], vcc
	s_cbranch_execz .LBB39_331
; %bb.326:
	s_mov_b32 s24, 0x37ffffff
	v_cmp_lt_u32_e32 vcc, s24, v3
	s_mov_b64 s[24:25], 0
                                        ; implicit-def: $vgpr3
	s_and_saveexec_b64 s[26:27], vcc
	s_xor_b64 s[26:27], exec, s[26:27]
	s_cbranch_execz .LBB39_533
; %bb.327:
	v_bfe_u32 v3, v2, 21, 1
	s_mov_b32 s30, 0x88fffff
	v_add3_u32 v3, v2, v3, s30
	s_mov_b64 s[24:25], exec
	v_lshrrev_b32_e32 v3, 21, v3
	s_andn2_saveexec_b64 s[26:27], s[26:27]
	s_cbranch_execnz .LBB39_534
.LBB39_328:
	s_or_b64 exec, exec, s[26:27]
	v_mov_b32_e32 v6, 0
	s_and_saveexec_b64 s[26:27], s[24:25]
.LBB39_329:
	v_lshrrev_b32_e32 v2, 24, v2
	s_movk_i32 s24, 0x80
	v_and_or_b32 v6, v2, s24, v3
.LBB39_330:
	s_or_b64 exec, exec, s[26:27]
.LBB39_331:
	s_or_b64 exec, exec, s[20:21]
	s_mov_b64 s[20:21], 0
	global_store_byte v[4:5], v6, off
.LBB39_332:
	s_and_b64 vcc, exec, s[20:21]
	s_cbranch_vccz .LBB39_342
; %bb.333:
	v_cvt_f32_f64_e32 v2, v[0:1]
	s_mov_b32 s20, 0x43f00000
                                        ; implicit-def: $vgpr3
	v_and_b32_e32 v6, 0x7fffffff, v2
	v_cmp_gt_u32_e32 vcc, s20, v6
	s_and_saveexec_b64 s[20:21], vcc
	s_xor_b64 s[20:21], exec, s[20:21]
	s_cbranch_execz .LBB39_339
; %bb.334:
	s_mov_b32 s24, 0x3c7fffff
	v_cmp_lt_u32_e32 vcc, s24, v6
                                        ; implicit-def: $vgpr3
	s_and_saveexec_b64 s[24:25], vcc
	s_xor_b64 s[24:25], exec, s[24:25]
; %bb.335:
	v_bfe_u32 v3, v2, 20, 1
	s_mov_b32 s26, 0x407ffff
	v_add3_u32 v3, v2, v3, s26
	v_lshrrev_b32_e32 v6, 20, v3
	v_and_b32_e32 v3, 0xff00000, v3
	s_mov_b32 s26, 0x7f00000
	v_mov_b32_e32 v7, 0x7e
	v_cmp_ne_u32_e32 vcc, s26, v3
	v_cndmask_b32_e32 v3, v7, v6, vcc
; %bb.336:
	s_andn2_saveexec_b64 s[24:25], s[24:25]
; %bb.337:
	s_mov_b32 s26, 0x46800000
	v_add_f32_e64 v3, |v2|, s26
; %bb.338:
	s_or_b64 exec, exec, s[24:25]
                                        ; implicit-def: $vgpr6
.LBB39_339:
	s_andn2_saveexec_b64 s[20:21], s[20:21]
; %bb.340:
	s_mov_b32 s24, 0x7f800000
	v_mov_b32_e32 v3, 0x7e
	v_mov_b32_e32 v7, 0x7f
	v_cmp_lt_u32_e32 vcc, s24, v6
	v_cndmask_b32_e32 v3, v3, v7, vcc
; %bb.341:
	s_or_b64 exec, exec, s[20:21]
	v_lshrrev_b32_e32 v2, 24, v2
	s_movk_i32 s20, 0x80
	v_and_or_b32 v2, v2, s20, v3
	global_store_byte v[4:5], v2, off
.LBB39_342:
	s_mov_b64 s[20:21], 0
.LBB39_343:
	s_andn2_b64 vcc, exec, s[20:21]
	s_cbranch_vccnz .LBB39_353
; %bb.344:
	v_cvt_f32_f64_e32 v2, v[0:1]
	s_mov_b32 s20, 0x47800000
                                        ; implicit-def: $vgpr3
	v_and_b32_e32 v6, 0x7fffffff, v2
	v_cmp_gt_u32_e32 vcc, s20, v6
	s_and_saveexec_b64 s[20:21], vcc
	s_xor_b64 s[20:21], exec, s[20:21]
	s_cbranch_execz .LBB39_350
; %bb.345:
	s_mov_b32 s24, 0x387fffff
	v_cmp_lt_u32_e32 vcc, s24, v6
                                        ; implicit-def: $vgpr3
	s_and_saveexec_b64 s[24:25], vcc
	s_xor_b64 s[24:25], exec, s[24:25]
; %bb.346:
	v_bfe_u32 v3, v2, 21, 1
	s_mov_b32 s26, 0x80fffff
	v_add3_u32 v3, v2, v3, s26
	v_lshrrev_b32_e32 v3, 21, v3
; %bb.347:
	s_andn2_saveexec_b64 s[24:25], s[24:25]
; %bb.348:
	s_mov_b32 s26, 0x43000000
	v_add_f32_e64 v3, |v2|, s26
; %bb.349:
	s_or_b64 exec, exec, s[24:25]
                                        ; implicit-def: $vgpr6
.LBB39_350:
	s_andn2_saveexec_b64 s[20:21], s[20:21]
; %bb.351:
	s_mov_b32 s24, 0x7f800000
	v_mov_b32_e32 v3, 0x7c
	v_mov_b32_e32 v7, 0x7f
	v_cmp_lt_u32_e32 vcc, s24, v6
	v_cndmask_b32_e32 v3, v3, v7, vcc
; %bb.352:
	s_or_b64 exec, exec, s[20:21]
	v_lshrrev_b32_e32 v2, 24, v2
	s_movk_i32 s20, 0x80
	v_and_or_b32 v2, v2, s20, v3
	global_store_byte v[4:5], v2, off
.LBB39_353:
	s_mov_b64 s[24:25], 0
	s_mov_b64 s[20:21], -1
.LBB39_354:
	s_andn2_b64 vcc, exec, s[24:25]
	s_cbranch_vccnz .LBB39_362
; %bb.355:
	s_cmp_gt_i32 s29, 14
	s_mov_b64 s[24:25], -1
	s_cbranch_scc0 .LBB39_359
; %bb.356:
	s_cmp_eq_u32 s29, 15
	s_mov_b64 s[0:1], -1
	s_cbranch_scc0 .LBB39_358
; %bb.357:
	v_cvt_f32_f64_e32 v2, v[0:1]
	s_movk_i32 s0, 0x7fff
	v_mov_b32_e32 v3, 0x7fc0
	s_mov_b64 s[20:21], -1
	v_bfe_u32 v6, v2, 16, 1
	v_cmp_o_f32_e32 vcc, v2, v2
	v_add3_u32 v2, v2, v6, s0
	v_cndmask_b32_sdwa v2, v3, v2, vcc dst_sel:DWORD dst_unused:UNUSED_PAD src0_sel:DWORD src1_sel:WORD_1
	global_store_short v[4:5], v2, off
	s_mov_b64 s[0:1], 0
.LBB39_358:
	s_mov_b64 s[24:25], 0
.LBB39_359:
	s_and_b64 vcc, exec, s[24:25]
	s_cbranch_vccz .LBB39_362
; %bb.360:
	s_cmp_eq_u32 s29, 11
	s_mov_b64 s[0:1], -1
	s_cbranch_scc0 .LBB39_362
; %bb.361:
	v_cmp_neq_f64_e32 vcc, 0, v[0:1]
	s_mov_b64 s[0:1], 0
	s_mov_b64 s[20:21], -1
	v_cndmask_b32_e64 v2, 0, 1, vcc
	global_store_byte v[4:5], v2, off
.LBB39_362:
	s_mov_b64 s[24:25], 0
.LBB39_363:
	s_and_b64 vcc, exec, s[24:25]
	s_cbranch_vccz .LBB39_402
; %bb.364:
	s_and_b32 s24, 0xffff, s28
	s_cmp_lt_i32 s24, 5
	s_mov_b64 s[20:21], -1
	s_cbranch_scc1 .LBB39_385
; %bb.365:
	s_cmp_lt_i32 s24, 8
	s_cbranch_scc1 .LBB39_375
; %bb.366:
	s_cmp_lt_i32 s24, 9
	s_cbranch_scc1 .LBB39_372
; %bb.367:
	s_cmp_gt_i32 s24, 9
	s_cbranch_scc0 .LBB39_369
; %bb.368:
	v_mov_b32_e32 v2, 0
	v_mov_b32_e32 v3, v2
	s_mov_b64 s[20:21], 0
	global_store_dwordx4 v[4:5], v[0:3], off
.LBB39_369:
	s_andn2_b64 vcc, exec, s[20:21]
	s_cbranch_vccnz .LBB39_371
; %bb.370:
	v_cvt_f32_f64_e32 v2, v[0:1]
	v_mov_b32_e32 v3, 0
	global_store_dwordx2 v[4:5], v[2:3], off
.LBB39_371:
	s_mov_b64 s[20:21], 0
.LBB39_372:
	s_andn2_b64 vcc, exec, s[20:21]
	s_cbranch_vccnz .LBB39_374
; %bb.373:
	s_movk_i32 s20, 0x1ff
	v_and_or_b32 v2, v1, s20, v0
	v_cmp_ne_u32_e32 vcc, 0, v2
	v_cndmask_b32_e64 v2, 0, 1, vcc
	v_lshrrev_b32_e32 v3, 8, v1
	s_movk_i32 s20, 0xffe
	v_bfe_u32 v6, v1, 20, 11
	v_and_or_b32 v2, v3, s20, v2
	v_sub_u32_e32 v7, 0x3f1, v6
	v_or_b32_e32 v3, 0x1000, v2
	v_med3_i32 v7, v7, 0, 13
	v_lshrrev_b32_e32 v8, v7, v3
	v_lshlrev_b32_e32 v7, v7, v8
	v_cmp_ne_u32_e32 vcc, v7, v3
	v_cndmask_b32_e64 v3, 0, 1, vcc
	v_add_u32_e32 v6, 0xfffffc10, v6
	v_or_b32_e32 v3, v8, v3
	v_lshl_or_b32 v7, v6, 12, v2
	v_cmp_gt_i32_e32 vcc, 1, v6
	v_cndmask_b32_e32 v3, v7, v3, vcc
	v_and_b32_e32 v7, 7, v3
	v_cmp_lt_i32_e32 vcc, 5, v7
	v_cndmask_b32_e64 v8, 0, 1, vcc
	v_cmp_eq_u32_e32 vcc, 3, v7
	v_cndmask_b32_e64 v7, 0, 1, vcc
	v_or_b32_e32 v7, v7, v8
	v_lshrrev_b32_e32 v3, 2, v3
	v_add_u32_e32 v3, v3, v7
	v_mov_b32_e32 v7, 0x7c00
	v_cmp_gt_i32_e32 vcc, 31, v6
	v_cndmask_b32_e32 v3, v7, v3, vcc
	v_mov_b32_e32 v8, 0x7e00
	v_cmp_ne_u32_e32 vcc, 0, v2
	s_movk_i32 s20, 0x40f
	v_cndmask_b32_e32 v2, v7, v8, vcc
	v_cmp_eq_u32_e32 vcc, s20, v6
	v_cndmask_b32_e32 v2, v3, v2, vcc
	v_lshrrev_b32_e32 v3, 16, v1
	s_mov_b32 s20, 0x8000
	v_and_or_b32 v2, v3, s20, v2
	v_and_b32_e32 v2, 0xffff, v2
	global_store_dword v[4:5], v2, off
.LBB39_374:
	s_mov_b64 s[20:21], 0
.LBB39_375:
	s_andn2_b64 vcc, exec, s[20:21]
	s_cbranch_vccnz .LBB39_384
; %bb.376:
	s_cmp_lt_i32 s24, 6
	s_mov_b64 s[20:21], -1
	s_cbranch_scc1 .LBB39_382
; %bb.377:
	s_cmp_gt_i32 s24, 6
	s_cbranch_scc0 .LBB39_379
; %bb.378:
	s_mov_b64 s[20:21], 0
	global_store_dwordx2 v[4:5], v[0:1], off
.LBB39_379:
	s_andn2_b64 vcc, exec, s[20:21]
	s_cbranch_vccnz .LBB39_381
; %bb.380:
	v_cvt_f32_f64_e32 v2, v[0:1]
	global_store_dword v[4:5], v2, off
.LBB39_381:
	s_mov_b64 s[20:21], 0
.LBB39_382:
	s_andn2_b64 vcc, exec, s[20:21]
	s_cbranch_vccnz .LBB39_384
; %bb.383:
	s_movk_i32 s20, 0x1ff
	v_and_or_b32 v2, v1, s20, v0
	v_cmp_ne_u32_e32 vcc, 0, v2
	v_cndmask_b32_e64 v2, 0, 1, vcc
	v_lshrrev_b32_e32 v3, 8, v1
	s_movk_i32 s20, 0xffe
	v_bfe_u32 v6, v1, 20, 11
	v_and_or_b32 v2, v3, s20, v2
	v_sub_u32_e32 v7, 0x3f1, v6
	v_or_b32_e32 v3, 0x1000, v2
	v_med3_i32 v7, v7, 0, 13
	v_lshrrev_b32_e32 v8, v7, v3
	v_lshlrev_b32_e32 v7, v7, v8
	v_cmp_ne_u32_e32 vcc, v7, v3
	v_cndmask_b32_e64 v3, 0, 1, vcc
	v_add_u32_e32 v6, 0xfffffc10, v6
	v_or_b32_e32 v3, v8, v3
	v_lshl_or_b32 v7, v6, 12, v2
	v_cmp_gt_i32_e32 vcc, 1, v6
	v_cndmask_b32_e32 v3, v7, v3, vcc
	v_and_b32_e32 v7, 7, v3
	v_cmp_lt_i32_e32 vcc, 5, v7
	v_cndmask_b32_e64 v8, 0, 1, vcc
	v_cmp_eq_u32_e32 vcc, 3, v7
	v_cndmask_b32_e64 v7, 0, 1, vcc
	v_or_b32_e32 v7, v7, v8
	v_lshrrev_b32_e32 v3, 2, v3
	v_add_u32_e32 v3, v3, v7
	v_mov_b32_e32 v7, 0x7c00
	v_cmp_gt_i32_e32 vcc, 31, v6
	v_cndmask_b32_e32 v3, v7, v3, vcc
	v_mov_b32_e32 v8, 0x7e00
	v_cmp_ne_u32_e32 vcc, 0, v2
	s_movk_i32 s20, 0x40f
	v_cndmask_b32_e32 v2, v7, v8, vcc
	v_cmp_eq_u32_e32 vcc, s20, v6
	v_cndmask_b32_e32 v2, v3, v2, vcc
	v_lshrrev_b32_e32 v3, 16, v1
	s_mov_b32 s20, 0x8000
	v_and_or_b32 v2, v3, s20, v2
	global_store_short v[4:5], v2, off
.LBB39_384:
	s_mov_b64 s[20:21], 0
.LBB39_385:
	s_andn2_b64 vcc, exec, s[20:21]
	s_cbranch_vccnz .LBB39_401
; %bb.386:
	s_cmp_lt_i32 s24, 2
	s_mov_b64 s[20:21], -1
	s_cbranch_scc1 .LBB39_396
; %bb.387:
	s_cmp_lt_i32 s24, 3
	s_cbranch_scc1 .LBB39_393
; %bb.388:
	s_cmp_gt_i32 s24, 3
	s_cbranch_scc0 .LBB39_390
; %bb.389:
	v_trunc_f64_e32 v[2:3], v[0:1]
	s_movk_i32 s20, 0xffe0
	v_ldexp_f64 v[6:7], v[2:3], s20
	s_mov_b32 s20, 0
	s_mov_b32 s21, 0xc1f00000
	v_floor_f64_e32 v[6:7], v[6:7]
	v_fma_f64 v[2:3], v[6:7], s[20:21], v[2:3]
	v_cvt_i32_f64_e32 v7, v[6:7]
	s_mov_b64 s[20:21], 0
	v_cvt_u32_f64_e32 v6, v[2:3]
	global_store_dwordx2 v[4:5], v[6:7], off
.LBB39_390:
	s_andn2_b64 vcc, exec, s[20:21]
	s_cbranch_vccnz .LBB39_392
; %bb.391:
	v_cvt_i32_f64_e32 v2, v[0:1]
	global_store_dword v[4:5], v2, off
.LBB39_392:
	s_mov_b64 s[20:21], 0
.LBB39_393:
	s_andn2_b64 vcc, exec, s[20:21]
	s_cbranch_vccnz .LBB39_395
; %bb.394:
	v_cvt_i32_f64_e32 v2, v[0:1]
	global_store_short v[4:5], v2, off
.LBB39_395:
	s_mov_b64 s[20:21], 0
.LBB39_396:
	s_andn2_b64 vcc, exec, s[20:21]
	s_cbranch_vccnz .LBB39_401
; %bb.397:
	s_cmp_gt_i32 s24, 0
	s_mov_b64 s[20:21], -1
	s_cbranch_scc0 .LBB39_399
; %bb.398:
	v_cvt_i32_f64_e32 v2, v[0:1]
	s_mov_b64 s[20:21], 0
	global_store_byte v[4:5], v2, off
.LBB39_399:
	s_andn2_b64 vcc, exec, s[20:21]
	s_cbranch_vccnz .LBB39_401
; %bb.400:
	v_trunc_f64_e32 v[0:1], v[0:1]
	s_movk_i32 s20, 0xffe0
	v_ldexp_f64 v[2:3], v[0:1], s20
	s_mov_b32 s20, 0
	s_mov_b32 s21, 0xc1f00000
	v_floor_f64_e32 v[2:3], v[2:3]
	v_fma_f64 v[0:1], v[2:3], s[20:21], v[0:1]
	v_cvt_u32_f64_e32 v0, v[0:1]
	global_store_byte v[4:5], v0, off
.LBB39_401:
	s_mov_b64 s[20:21], -1
.LBB39_402:
	s_andn2_b64 vcc, exec, s[20:21]
	s_cbranch_vccnz .LBB39_404
; %bb.403:
	v_add_u32_e32 v20, 0x80, v20
	s_mov_b64 s[24:25], -1
	s_branch .LBB39_516
.LBB39_404:
	s_mov_b64 s[24:25], 0
                                        ; implicit-def: $vgpr20
	s_branch .LBB39_516
.LBB39_405:
	s_mov_b64 s[18:19], -1
                                        ; implicit-def: $vgpr2_vgpr3
.LBB39_406:
	s_mov_b64 s[20:21], 0
.LBB39_407:
	s_and_b64 vcc, exec, s[20:21]
	s_cbranch_vccz .LBB39_411
; %bb.408:
	s_cmp_eq_u32 s26, 29
	s_cbranch_scc0 .LBB39_410
; %bb.409:
	global_load_dwordx2 v[2:3], v[0:1], off
	s_mov_b64 s[0:1], -1
	s_mov_b64 s[18:19], 0
	s_mov_b64 s[20:21], 0
	s_waitcnt vmcnt(0)
	v_cvt_f64_u32_e32 v[3:4], v3
	v_cvt_f64_u32_e32 v[5:6], v2
	v_ldexp_f64 v[3:4], v[3:4], 32
	v_add_f64 v[2:3], v[3:4], v[5:6]
	s_branch .LBB39_412
.LBB39_410:
	s_mov_b64 s[18:19], -1
                                        ; implicit-def: $vgpr2_vgpr3
.LBB39_411:
	s_mov_b64 s[20:21], 0
.LBB39_412:
	s_and_b64 vcc, exec, s[20:21]
	s_cbranch_vccz .LBB39_432
; %bb.413:
	s_cmp_lt_i32 s26, 27
	s_cbranch_scc1 .LBB39_416
; %bb.414:
	s_cmp_gt_i32 s26, 27
	s_cbranch_scc0 .LBB39_417
; %bb.415:
	global_load_dword v2, v[0:1], off
	s_mov_b64 s[0:1], 0
	s_waitcnt vmcnt(0)
	v_cvt_f64_u32_e32 v[2:3], v2
	s_branch .LBB39_418
.LBB39_416:
	s_mov_b64 s[0:1], -1
                                        ; implicit-def: $vgpr2_vgpr3
	s_branch .LBB39_421
.LBB39_417:
	s_mov_b64 s[0:1], -1
                                        ; implicit-def: $vgpr2_vgpr3
.LBB39_418:
	s_andn2_b64 vcc, exec, s[0:1]
	s_cbranch_vccnz .LBB39_420
; %bb.419:
	global_load_ushort v2, v[0:1], off
	s_waitcnt vmcnt(0)
	v_cvt_f64_u32_e32 v[2:3], v2
.LBB39_420:
	s_mov_b64 s[0:1], 0
.LBB39_421:
	s_andn2_b64 vcc, exec, s[0:1]
	s_cbranch_vccnz .LBB39_431
; %bb.422:
	global_load_ubyte v4, v[0:1], off
	s_movk_i32 s0, 0x7f
	s_waitcnt vmcnt(0)
	v_cmp_lt_i16_e32 vcc, s0, v4
	s_mov_b64 s[0:1], 0
	s_and_saveexec_b64 s[20:21], vcc
	s_xor_b64 s[20:21], exec, s[20:21]
	s_cbranch_execz .LBB39_426
; %bb.423:
	s_movk_i32 s0, 0x80
	v_cmp_eq_u16_e32 vcc, s0, v4
	s_mov_b64 s[0:1], -1
	s_and_saveexec_b64 s[24:25], vcc
; %bb.424:
	s_xor_b64 s[0:1], exec, -1
; %bb.425:
	s_or_b64 exec, exec, s[24:25]
	s_and_b64 s[0:1], s[0:1], exec
.LBB39_426:
	s_or_saveexec_b64 s[20:21], s[20:21]
	v_bfrev_b32_e32 v2, 4
	v_mov_b32_e32 v3, 0x7ff80000
	s_xor_b64 exec, exec, s[20:21]
; %bb.427:
	v_cmp_ne_u16_e32 vcc, 0, v4
	v_mov_b32_e32 v2, 0
	s_andn2_b64 s[0:1], s[0:1], exec
	s_and_b64 s[24:25], vcc, exec
	v_mov_b32_e32 v3, 0
	s_or_b64 s[0:1], s[0:1], s[24:25]
; %bb.428:
	s_or_b64 exec, exec, s[20:21]
	s_and_saveexec_b64 s[20:21], s[0:1]
	s_cbranch_execz .LBB39_430
; %bb.429:
	v_and_b32_e32 v3, 0xffff, v4
	v_lshlrev_b32_e32 v2, 24, v4
	v_and_b32_e32 v4, 7, v3
	v_ffbh_u32_e32 v6, v4
	v_min_u32_e32 v6, 32, v6
	v_subrev_u32_e32 v7, 28, v6
	v_bfe_u32 v5, v3, 3, 4
	v_lshlrev_b32_e32 v3, v7, v3
	v_sub_u32_e32 v6, 29, v6
	v_and_b32_e32 v3, 7, v3
	v_cmp_eq_u32_e32 vcc, 0, v5
	v_cndmask_b32_e32 v5, v5, v6, vcc
	v_cndmask_b32_e32 v3, v4, v3, vcc
	v_mov_b32_e32 v4, 0x3b800000
	v_lshlrev_b32_e32 v3, 20, v3
	v_and_b32_e32 v2, 0x80000000, v2
	v_lshl_add_u32 v4, v5, 23, v4
	v_or3_b32 v2, v2, v4, v3
	v_cvt_f64_f32_e32 v[2:3], v2
.LBB39_430:
	s_or_b64 exec, exec, s[20:21]
.LBB39_431:
	s_mov_b64 s[0:1], -1
.LBB39_432:
	s_mov_b64 s[20:21], 0
.LBB39_433:
	s_and_b64 vcc, exec, s[20:21]
	s_cbranch_vccz .LBB39_466
; %bb.434:
	s_cmp_gt_i32 s26, 22
	s_cbranch_scc0 .LBB39_446
; %bb.435:
	s_cmp_lt_i32 s26, 24
	s_cbranch_scc1 .LBB39_447
; %bb.436:
	s_cmp_gt_i32 s26, 24
	s_cbranch_scc0 .LBB39_448
; %bb.437:
	global_load_ubyte v4, v[0:1], off
	s_movk_i32 s0, 0x7f
	s_waitcnt vmcnt(0)
	v_cmp_lt_i16_e32 vcc, s0, v4
	s_mov_b64 s[0:1], 0
	s_and_saveexec_b64 s[20:21], vcc
	s_xor_b64 s[20:21], exec, s[20:21]
	s_cbranch_execz .LBB39_441
; %bb.438:
	s_movk_i32 s0, 0x80
	v_cmp_eq_u16_e32 vcc, s0, v4
	s_mov_b64 s[0:1], -1
	s_and_saveexec_b64 s[24:25], vcc
; %bb.439:
	s_xor_b64 s[0:1], exec, -1
; %bb.440:
	s_or_b64 exec, exec, s[24:25]
	s_and_b64 s[0:1], s[0:1], exec
.LBB39_441:
	s_or_saveexec_b64 s[20:21], s[20:21]
	v_bfrev_b32_e32 v2, 4
	v_mov_b32_e32 v3, 0x7ff80000
	s_xor_b64 exec, exec, s[20:21]
; %bb.442:
	v_cmp_ne_u16_e32 vcc, 0, v4
	v_mov_b32_e32 v2, 0
	s_andn2_b64 s[0:1], s[0:1], exec
	s_and_b64 s[24:25], vcc, exec
	v_mov_b32_e32 v3, 0
	s_or_b64 s[0:1], s[0:1], s[24:25]
; %bb.443:
	s_or_b64 exec, exec, s[20:21]
	s_and_saveexec_b64 s[20:21], s[0:1]
	s_cbranch_execz .LBB39_445
; %bb.444:
	v_and_b32_e32 v3, 0xffff, v4
	v_lshlrev_b32_e32 v2, 24, v4
	v_and_b32_e32 v4, 3, v3
	v_ffbh_u32_e32 v6, v4
	v_min_u32_e32 v6, 32, v6
	v_subrev_u32_e32 v7, 29, v6
	v_bfe_u32 v5, v3, 2, 5
	v_lshlrev_b32_e32 v3, v7, v3
	v_sub_u32_e32 v6, 30, v6
	v_and_b32_e32 v3, 3, v3
	v_cmp_eq_u32_e32 vcc, 0, v5
	v_cndmask_b32_e32 v5, v5, v6, vcc
	v_cndmask_b32_e32 v3, v4, v3, vcc
	v_mov_b32_e32 v4, 0x37800000
	v_lshlrev_b32_e32 v3, 21, v3
	v_and_b32_e32 v2, 0x80000000, v2
	v_lshl_add_u32 v4, v5, 23, v4
	v_or3_b32 v2, v2, v4, v3
	v_cvt_f64_f32_e32 v[2:3], v2
.LBB39_445:
	s_or_b64 exec, exec, s[20:21]
	s_mov_b64 s[0:1], 0
	s_branch .LBB39_449
.LBB39_446:
	s_mov_b64 s[20:21], -1
                                        ; implicit-def: $vgpr2_vgpr3
	s_branch .LBB39_455
.LBB39_447:
	s_mov_b64 s[0:1], -1
                                        ; implicit-def: $vgpr2_vgpr3
	s_branch .LBB39_452
.LBB39_448:
	s_mov_b64 s[0:1], -1
                                        ; implicit-def: $vgpr2_vgpr3
.LBB39_449:
	s_and_b64 vcc, exec, s[0:1]
	s_cbranch_vccz .LBB39_451
; %bb.450:
	global_load_ubyte v2, v[0:1], off
	s_mov_b32 s0, 0x7f800000
	s_waitcnt vmcnt(0)
	v_lshlrev_b32_e32 v2, 24, v2
	v_and_b32_e32 v3, 0x7f000000, v2
	v_ffbh_u32_e32 v4, v3
	v_min_u32_e32 v4, 32, v4
	v_sub_u32_e64 v4, v4, 4 clamp
	v_lshlrev_b32_e32 v6, v4, v3
	v_lshlrev_b32_e32 v4, 23, v4
	v_lshrrev_b32_e32 v6, 4, v6
	v_add_u32_e32 v5, 0x1000000, v3
	v_sub_u32_e32 v4, v6, v4
	v_ashrrev_i32_e32 v5, 8, v5
	v_add_u32_e32 v4, 0x3c000000, v4
	v_and_or_b32 v4, v5, s0, v4
	v_cmp_ne_u32_e32 vcc, 0, v3
	v_cndmask_b32_e32 v3, 0, v4, vcc
	s_brev_b32 s0, 1
	v_and_or_b32 v2, v2, s0, v3
	v_cvt_f64_f32_e32 v[2:3], v2
.LBB39_451:
	s_mov_b64 s[0:1], 0
.LBB39_452:
	s_andn2_b64 vcc, exec, s[0:1]
	s_cbranch_vccnz .LBB39_454
; %bb.453:
	global_load_ubyte v2, v[0:1], off
	s_movk_i32 s0, 0x7f00
	s_brev_b32 s1, 16
	s_waitcnt vmcnt(0)
	v_lshlrev_b16_e32 v3, 8, v2
	v_lshlrev_b32_e32 v2, 25, v2
	v_lshrrev_b32_e32 v4, 4, v2
	v_and_or_b32 v5, v3, s0, 0.5
	v_or_b32_e32 v4, 0x70000000, v4
	v_add_f32_e32 v5, -0.5, v5
	v_mul_f32_e32 v4, 0x7800000, v4
	v_cmp_gt_u32_e32 vcc, s1, v2
	v_bfe_i32 v3, v3, 0, 16
	v_cndmask_b32_e32 v2, v4, v5, vcc
	s_brev_b32 s0, 1
	v_and_or_b32 v2, v3, s0, v2
	v_cvt_f64_f32_e32 v[2:3], v2
.LBB39_454:
	s_mov_b64 s[20:21], 0
	s_mov_b64 s[0:1], -1
.LBB39_455:
	s_andn2_b64 vcc, exec, s[20:21]
	s_cbranch_vccnz .LBB39_466
; %bb.456:
	s_cmp_gt_i32 s26, 14
	s_cbranch_scc0 .LBB39_459
; %bb.457:
	s_cmp_eq_u32 s26, 15
	s_cbranch_scc0 .LBB39_460
; %bb.458:
	global_load_ushort v2, v[0:1], off
	s_mov_b64 s[0:1], -1
	s_mov_b64 s[18:19], 0
	s_waitcnt vmcnt(0)
	v_lshlrev_b32_e32 v2, 16, v2
	v_cvt_f64_f32_e32 v[2:3], v2
	s_branch .LBB39_461
.LBB39_459:
	s_mov_b64 s[20:21], -1
                                        ; implicit-def: $vgpr2_vgpr3
	s_branch .LBB39_462
.LBB39_460:
	s_mov_b64 s[18:19], -1
                                        ; implicit-def: $vgpr2_vgpr3
.LBB39_461:
	s_mov_b64 s[20:21], 0
.LBB39_462:
	s_and_b64 vcc, exec, s[20:21]
	s_cbranch_vccz .LBB39_466
; %bb.463:
	s_cmp_eq_u32 s26, 11
	s_cbranch_scc0 .LBB39_465
; %bb.464:
	global_load_ubyte v3, v[0:1], off
	v_mov_b32_e32 v4, 0x3ff00000
	v_mov_b32_e32 v2, 0
	s_mov_b64 s[0:1], -1
	s_mov_b64 s[18:19], 0
	s_waitcnt vmcnt(0)
	v_cmp_ne_u16_e32 vcc, 0, v3
	v_cndmask_b32_e32 v3, 0, v4, vcc
	s_branch .LBB39_466
.LBB39_465:
	s_mov_b64 s[18:19], -1
                                        ; implicit-def: $vgpr2_vgpr3
.LBB39_466:
	s_branch .LBB39_267
.LBB39_467:
	s_cmp_lt_i32 s26, 5
	s_cbranch_scc1 .LBB39_472
; %bb.468:
	s_cmp_lt_i32 s26, 8
	s_cbranch_scc1 .LBB39_473
; %bb.469:
	;; [unrolled: 3-line block ×3, first 2 shown]
	s_cmp_gt_i32 s26, 9
	s_cbranch_scc0 .LBB39_475
; %bb.471:
	global_load_dwordx2 v[2:3], v[0:1], off
	s_mov_b64 s[0:1], 0
	s_branch .LBB39_476
.LBB39_472:
	s_mov_b64 s[0:1], -1
                                        ; implicit-def: $vgpr2_vgpr3
	s_branch .LBB39_494
.LBB39_473:
	s_mov_b64 s[0:1], -1
                                        ; implicit-def: $vgpr2_vgpr3
	s_branch .LBB39_482
.LBB39_474:
	s_mov_b64 s[0:1], -1
                                        ; implicit-def: $vgpr2_vgpr3
	s_branch .LBB39_479
.LBB39_475:
	s_mov_b64 s[0:1], -1
                                        ; implicit-def: $vgpr2_vgpr3
.LBB39_476:
	s_andn2_b64 vcc, exec, s[0:1]
	s_cbranch_vccnz .LBB39_478
; %bb.477:
	global_load_dword v2, v[0:1], off
	s_waitcnt vmcnt(0)
	v_cvt_f64_f32_e32 v[2:3], v2
.LBB39_478:
	s_mov_b64 s[0:1], 0
.LBB39_479:
	s_andn2_b64 vcc, exec, s[0:1]
	s_cbranch_vccnz .LBB39_481
; %bb.480:
	global_load_dword v2, v[0:1], off
	s_waitcnt vmcnt(0)
	v_cvt_f32_f16_e32 v2, v2
	v_cvt_f64_f32_e32 v[2:3], v2
.LBB39_481:
	s_mov_b64 s[0:1], 0
.LBB39_482:
	s_andn2_b64 vcc, exec, s[0:1]
	s_cbranch_vccnz .LBB39_493
; %bb.483:
	s_cmp_lt_i32 s26, 6
	s_cbranch_scc1 .LBB39_486
; %bb.484:
	s_cmp_gt_i32 s26, 6
	s_cbranch_scc0 .LBB39_487
; %bb.485:
	global_load_dwordx2 v[2:3], v[0:1], off
	s_mov_b64 s[0:1], 0
	s_branch .LBB39_488
.LBB39_486:
	s_mov_b64 s[0:1], -1
                                        ; implicit-def: $vgpr2_vgpr3
	s_branch .LBB39_491
.LBB39_487:
	s_mov_b64 s[0:1], -1
                                        ; implicit-def: $vgpr2_vgpr3
.LBB39_488:
	s_andn2_b64 vcc, exec, s[0:1]
	s_cbranch_vccnz .LBB39_490
; %bb.489:
	global_load_dword v2, v[0:1], off
	s_waitcnt vmcnt(0)
	v_cvt_f64_f32_e32 v[2:3], v2
.LBB39_490:
	s_mov_b64 s[0:1], 0
.LBB39_491:
	s_andn2_b64 vcc, exec, s[0:1]
	s_cbranch_vccnz .LBB39_493
; %bb.492:
	global_load_ushort v2, v[0:1], off
	s_waitcnt vmcnt(0)
	v_cvt_f32_f16_e32 v2, v2
	v_cvt_f64_f32_e32 v[2:3], v2
.LBB39_493:
	s_mov_b64 s[0:1], 0
.LBB39_494:
	s_andn2_b64 vcc, exec, s[0:1]
	s_cbranch_vccnz .LBB39_514
; %bb.495:
	s_cmp_lt_i32 s26, 2
	s_cbranch_scc1 .LBB39_499
; %bb.496:
	s_cmp_lt_i32 s26, 3
	s_cbranch_scc1 .LBB39_500
; %bb.497:
	s_cmp_gt_i32 s26, 3
	s_cbranch_scc0 .LBB39_501
; %bb.498:
	global_load_dwordx2 v[2:3], v[0:1], off
	s_mov_b64 s[0:1], 0
	s_waitcnt vmcnt(0)
	v_cvt_f64_i32_e32 v[3:4], v3
	v_cvt_f64_u32_e32 v[5:6], v2
	v_ldexp_f64 v[3:4], v[3:4], 32
	v_add_f64 v[2:3], v[3:4], v[5:6]
	s_branch .LBB39_502
.LBB39_499:
	s_mov_b64 s[0:1], -1
                                        ; implicit-def: $vgpr2_vgpr3
	s_branch .LBB39_508
.LBB39_500:
	s_mov_b64 s[0:1], -1
                                        ; implicit-def: $vgpr2_vgpr3
	s_branch .LBB39_505
.LBB39_501:
	s_mov_b64 s[0:1], -1
                                        ; implicit-def: $vgpr2_vgpr3
.LBB39_502:
	s_andn2_b64 vcc, exec, s[0:1]
	s_cbranch_vccnz .LBB39_504
; %bb.503:
	global_load_dword v2, v[0:1], off
	s_waitcnt vmcnt(0)
	v_cvt_f64_i32_e32 v[2:3], v2
.LBB39_504:
	s_mov_b64 s[0:1], 0
.LBB39_505:
	s_andn2_b64 vcc, exec, s[0:1]
	s_cbranch_vccnz .LBB39_507
; %bb.506:
	global_load_sshort v2, v[0:1], off
	s_waitcnt vmcnt(0)
	v_cvt_f64_i32_e32 v[2:3], v2
.LBB39_507:
	s_mov_b64 s[0:1], 0
.LBB39_508:
	s_andn2_b64 vcc, exec, s[0:1]
	s_cbranch_vccnz .LBB39_514
; %bb.509:
	s_cmp_gt_i32 s26, 0
	s_cbranch_scc0 .LBB39_511
; %bb.510:
	global_load_sbyte v2, v[0:1], off
	s_mov_b64 s[0:1], 0
	s_waitcnt vmcnt(0)
	v_cvt_f64_i32_e32 v[2:3], v2
	s_branch .LBB39_512
.LBB39_511:
	s_mov_b64 s[0:1], -1
                                        ; implicit-def: $vgpr2_vgpr3
.LBB39_512:
	s_andn2_b64 vcc, exec, s[0:1]
	s_cbranch_vccnz .LBB39_514
; %bb.513:
	global_load_ubyte v0, v[0:1], off
	s_waitcnt vmcnt(0)
	v_cvt_f64_u32_e32 v[2:3], v0
.LBB39_514:
	s_branch .LBB39_268
.LBB39_515:
	s_mov_b64 s[24:25], 0
                                        ; implicit-def: $vgpr20
	s_mov_b64 s[0:1], s[6:7]
.LBB39_516:
	s_andn2_b64 s[20:21], s[6:7], exec
	s_and_b64 s[0:1], s[0:1], exec
	s_or_b64 s[20:21], s[20:21], s[0:1]
	s_andn2_b64 s[0:1], s[14:15], exec
	s_and_b64 s[18:19], s[18:19], exec
	s_or_b64 s[18:19], s[0:1], s[18:19]
	s_orn2_b64 s[0:1], s[24:25], exec
.LBB39_517:
	s_or_b64 exec, exec, s[22:23]
	s_mov_b64 s[24:25], 0
	s_mov_b64 s[26:27], 0
	s_mov_b64 s[28:29], 0
                                        ; implicit-def: $vgpr0_vgpr1
                                        ; implicit-def: $vgpr2_vgpr3
	s_and_saveexec_b64 s[22:23], s[0:1]
	s_cbranch_execz .LBB39_864
; %bb.518:
	v_cmp_gt_i32_e32 vcc, s38, v20
	s_mov_b64 s[34:35], -1
	s_mov_b64 s[0:1], s[18:19]
	s_mov_b64 s[28:29], s[20:21]
	s_and_saveexec_b64 s[24:25], vcc
	s_cbranch_execz .LBB39_778
; %bb.519:
	v_mul_lo_u32 v0, v20, s3
	v_mov_b32_e32 v1, s11
	s_and_b32 s34, 0xffff, s42
	s_cmp_lt_i32 s34, 11
	s_waitcnt vmcnt(0)
	v_ashrrev_i32_e32 v2, 31, v0
	v_add_co_u32_e32 v0, vcc, s10, v0
	v_addc_co_u32_e32 v1, vcc, v1, v2, vcc
	s_cbranch_scc1 .LBB39_526
; %bb.520:
	s_cmp_gt_i32 s34, 25
	s_cbranch_scc0 .LBB39_527
; %bb.521:
	s_cmp_gt_i32 s34, 28
	s_cbranch_scc0 .LBB39_528
	;; [unrolled: 3-line block ×4, first 2 shown]
; %bb.524:
	s_cmp_eq_u32 s34, 46
	s_mov_b64 s[28:29], 0
	s_cbranch_scc0 .LBB39_535
; %bb.525:
	global_load_dword v2, v[0:1], off
	s_mov_b64 s[0:1], -1
	s_waitcnt vmcnt(0)
	v_lshlrev_b32_e32 v2, 16, v2
	v_cvt_f64_f32_e32 v[2:3], v2
	s_branch .LBB39_536
.LBB39_526:
	s_mov_b64 s[28:29], -1
	s_mov_b64 s[0:1], 0
                                        ; implicit-def: $vgpr2_vgpr3
	s_mov_b64 s[26:27], s[18:19]
	s_branch .LBB39_601
.LBB39_527:
	s_mov_b64 s[28:29], -1
	s_mov_b64 s[0:1], 0
	s_mov_b64 s[26:27], s[18:19]
                                        ; implicit-def: $vgpr2_vgpr3
	s_branch .LBB39_567
.LBB39_528:
	s_mov_b64 s[28:29], -1
	s_mov_b64 s[0:1], 0
	s_mov_b64 s[26:27], s[18:19]
                                        ; implicit-def: $vgpr2_vgpr3
	s_branch .LBB39_546
.LBB39_529:
	s_mov_b64 s[28:29], -1
	s_mov_b64 s[0:1], 0
	s_mov_b64 s[26:27], s[18:19]
                                        ; implicit-def: $vgpr2_vgpr3
	s_branch .LBB39_541
.LBB39_530:
	s_andn2_saveexec_b64 s[26:27], s[26:27]
	s_cbranch_execz .LBB39_315
.LBB39_531:
	s_mov_b32 s30, 0x46000000
	v_add_f32_e64 v3, |v2|, s30
	v_and_b32_e32 v3, 0xff, v3
	v_cmp_ne_u32_e32 vcc, 0, v3
	s_andn2_b64 s[24:25], s[24:25], exec
	s_and_b64 s[30:31], vcc, exec
	s_or_b64 s[24:25], s[24:25], s[30:31]
	s_or_b64 exec, exec, s[26:27]
	v_mov_b32_e32 v6, 0
	s_and_saveexec_b64 s[26:27], s[24:25]
	s_cbranch_execnz .LBB39_316
	s_branch .LBB39_317
.LBB39_532:
	s_mov_b64 s[28:29], -1
	s_mov_b64 s[0:1], 0
	s_mov_b64 s[26:27], s[18:19]
                                        ; implicit-def: $vgpr2_vgpr3
	s_branch .LBB39_536
.LBB39_533:
	s_andn2_saveexec_b64 s[26:27], s[26:27]
	s_cbranch_execz .LBB39_328
.LBB39_534:
	s_mov_b32 s30, 0x42800000
	v_add_f32_e64 v3, |v2|, s30
	v_and_b32_e32 v3, 0xff, v3
	v_cmp_ne_u32_e32 vcc, 0, v3
	s_andn2_b64 s[24:25], s[24:25], exec
	s_and_b64 s[30:31], vcc, exec
	s_or_b64 s[24:25], s[24:25], s[30:31]
	s_or_b64 exec, exec, s[26:27]
	v_mov_b32_e32 v6, 0
	s_and_saveexec_b64 s[26:27], s[24:25]
	s_cbranch_execnz .LBB39_329
	s_branch .LBB39_330
.LBB39_535:
	s_mov_b64 s[26:27], -1
                                        ; implicit-def: $vgpr2_vgpr3
	s_mov_b64 s[0:1], 0
.LBB39_536:
	s_and_b64 vcc, exec, s[28:29]
	s_cbranch_vccz .LBB39_540
; %bb.537:
	s_cmp_eq_u32 s34, 44
	s_cbranch_scc0 .LBB39_539
; %bb.538:
	global_load_ubyte v4, v[0:1], off
	s_movk_i32 s26, 0xff
	v_bfrev_b32_e32 v5, 4
	v_mov_b32_e32 v6, 0x7ff80000
	v_bfrev_b32_e32 v7, 28
	s_mov_b64 s[0:1], -1
	s_waitcnt vmcnt(0)
	v_lshlrev_b32_e32 v2, 23, v4
	v_cvt_f64_f32_e32 v[2:3], v2
	v_cmp_ne_u32_e32 vcc, s26, v4
	s_mov_b64 s[26:27], 0
	v_cndmask_b32_e32 v2, v5, v2, vcc
	v_cndmask_b32_e32 v3, v6, v3, vcc
	v_cmp_ne_u32_e32 vcc, 0, v4
	v_cndmask_b32_e32 v3, v7, v3, vcc
	v_cndmask_b32_e32 v2, 0, v2, vcc
	s_branch .LBB39_540
.LBB39_539:
	s_mov_b64 s[26:27], -1
                                        ; implicit-def: $vgpr2_vgpr3
.LBB39_540:
	s_mov_b64 s[28:29], 0
.LBB39_541:
	s_and_b64 vcc, exec, s[28:29]
	s_cbranch_vccz .LBB39_545
; %bb.542:
	s_cmp_eq_u32 s34, 29
	s_cbranch_scc0 .LBB39_544
; %bb.543:
	global_load_dwordx2 v[2:3], v[0:1], off
	s_mov_b64 s[0:1], -1
	s_mov_b64 s[26:27], 0
	s_mov_b64 s[28:29], 0
	s_waitcnt vmcnt(0)
	v_cvt_f64_u32_e32 v[3:4], v3
	v_cvt_f64_u32_e32 v[5:6], v2
	v_ldexp_f64 v[3:4], v[3:4], 32
	v_add_f64 v[2:3], v[3:4], v[5:6]
	s_branch .LBB39_546
.LBB39_544:
	s_mov_b64 s[26:27], -1
                                        ; implicit-def: $vgpr2_vgpr3
.LBB39_545:
	s_mov_b64 s[28:29], 0
.LBB39_546:
	s_and_b64 vcc, exec, s[28:29]
	s_cbranch_vccz .LBB39_566
; %bb.547:
	s_cmp_lt_i32 s34, 27
	s_cbranch_scc1 .LBB39_550
; %bb.548:
	s_cmp_gt_i32 s34, 27
	s_cbranch_scc0 .LBB39_551
; %bb.549:
	global_load_dword v2, v[0:1], off
	s_mov_b64 s[0:1], 0
	s_waitcnt vmcnt(0)
	v_cvt_f64_u32_e32 v[2:3], v2
	s_branch .LBB39_552
.LBB39_550:
	s_mov_b64 s[0:1], -1
                                        ; implicit-def: $vgpr2_vgpr3
	s_branch .LBB39_555
.LBB39_551:
	s_mov_b64 s[0:1], -1
                                        ; implicit-def: $vgpr2_vgpr3
.LBB39_552:
	s_andn2_b64 vcc, exec, s[0:1]
	s_cbranch_vccnz .LBB39_554
; %bb.553:
	global_load_ushort v2, v[0:1], off
	s_waitcnt vmcnt(0)
	v_cvt_f64_u32_e32 v[2:3], v2
.LBB39_554:
	s_mov_b64 s[0:1], 0
.LBB39_555:
	s_andn2_b64 vcc, exec, s[0:1]
	s_cbranch_vccnz .LBB39_565
; %bb.556:
	global_load_ubyte v4, v[0:1], off
	s_movk_i32 s0, 0x7f
	s_waitcnt vmcnt(0)
	v_cmp_lt_i16_e32 vcc, s0, v4
	s_mov_b64 s[0:1], 0
	s_and_saveexec_b64 s[28:29], vcc
	s_xor_b64 s[28:29], exec, s[28:29]
	s_cbranch_execz .LBB39_560
; %bb.557:
	s_movk_i32 s0, 0x80
	v_cmp_eq_u16_e32 vcc, s0, v4
	s_mov_b64 s[0:1], -1
	s_and_saveexec_b64 s[30:31], vcc
; %bb.558:
	s_xor_b64 s[0:1], exec, -1
; %bb.559:
	s_or_b64 exec, exec, s[30:31]
	s_and_b64 s[0:1], s[0:1], exec
.LBB39_560:
	s_or_saveexec_b64 s[28:29], s[28:29]
	v_bfrev_b32_e32 v2, 4
	v_mov_b32_e32 v3, 0x7ff80000
	s_xor_b64 exec, exec, s[28:29]
; %bb.561:
	v_cmp_ne_u16_e32 vcc, 0, v4
	v_mov_b32_e32 v2, 0
	s_andn2_b64 s[0:1], s[0:1], exec
	s_and_b64 s[30:31], vcc, exec
	v_mov_b32_e32 v3, 0
	s_or_b64 s[0:1], s[0:1], s[30:31]
; %bb.562:
	s_or_b64 exec, exec, s[28:29]
	s_and_saveexec_b64 s[28:29], s[0:1]
	s_cbranch_execz .LBB39_564
; %bb.563:
	v_and_b32_e32 v3, 0xffff, v4
	v_lshlrev_b32_e32 v2, 24, v4
	v_and_b32_e32 v4, 7, v3
	v_ffbh_u32_e32 v6, v4
	v_min_u32_e32 v6, 32, v6
	v_subrev_u32_e32 v7, 28, v6
	v_bfe_u32 v5, v3, 3, 4
	v_lshlrev_b32_e32 v3, v7, v3
	v_sub_u32_e32 v6, 29, v6
	v_and_b32_e32 v3, 7, v3
	v_cmp_eq_u32_e32 vcc, 0, v5
	v_cndmask_b32_e32 v5, v5, v6, vcc
	v_cndmask_b32_e32 v3, v4, v3, vcc
	v_mov_b32_e32 v4, 0x3b800000
	v_lshlrev_b32_e32 v3, 20, v3
	v_and_b32_e32 v2, 0x80000000, v2
	v_lshl_add_u32 v4, v5, 23, v4
	v_or3_b32 v2, v2, v4, v3
	v_cvt_f64_f32_e32 v[2:3], v2
.LBB39_564:
	s_or_b64 exec, exec, s[28:29]
.LBB39_565:
	s_mov_b64 s[0:1], -1
.LBB39_566:
	s_mov_b64 s[28:29], 0
.LBB39_567:
	s_and_b64 vcc, exec, s[28:29]
	s_cbranch_vccz .LBB39_600
; %bb.568:
	s_cmp_gt_i32 s34, 22
	s_cbranch_scc0 .LBB39_580
; %bb.569:
	s_cmp_lt_i32 s34, 24
	s_cbranch_scc1 .LBB39_581
; %bb.570:
	s_cmp_gt_i32 s34, 24
	s_cbranch_scc0 .LBB39_582
; %bb.571:
	global_load_ubyte v4, v[0:1], off
	s_movk_i32 s0, 0x7f
	s_waitcnt vmcnt(0)
	v_cmp_lt_i16_e32 vcc, s0, v4
	s_mov_b64 s[0:1], 0
	s_and_saveexec_b64 s[28:29], vcc
	s_xor_b64 s[28:29], exec, s[28:29]
	s_cbranch_execz .LBB39_575
; %bb.572:
	s_movk_i32 s0, 0x80
	v_cmp_eq_u16_e32 vcc, s0, v4
	s_mov_b64 s[0:1], -1
	s_and_saveexec_b64 s[30:31], vcc
; %bb.573:
	s_xor_b64 s[0:1], exec, -1
; %bb.574:
	s_or_b64 exec, exec, s[30:31]
	s_and_b64 s[0:1], s[0:1], exec
.LBB39_575:
	s_or_saveexec_b64 s[28:29], s[28:29]
	v_bfrev_b32_e32 v2, 4
	v_mov_b32_e32 v3, 0x7ff80000
	s_xor_b64 exec, exec, s[28:29]
; %bb.576:
	v_cmp_ne_u16_e32 vcc, 0, v4
	v_mov_b32_e32 v2, 0
	s_andn2_b64 s[0:1], s[0:1], exec
	s_and_b64 s[30:31], vcc, exec
	v_mov_b32_e32 v3, 0
	s_or_b64 s[0:1], s[0:1], s[30:31]
; %bb.577:
	s_or_b64 exec, exec, s[28:29]
	s_and_saveexec_b64 s[28:29], s[0:1]
	s_cbranch_execz .LBB39_579
; %bb.578:
	v_and_b32_e32 v3, 0xffff, v4
	v_lshlrev_b32_e32 v2, 24, v4
	v_and_b32_e32 v4, 3, v3
	v_ffbh_u32_e32 v6, v4
	v_min_u32_e32 v6, 32, v6
	v_subrev_u32_e32 v7, 29, v6
	v_bfe_u32 v5, v3, 2, 5
	v_lshlrev_b32_e32 v3, v7, v3
	v_sub_u32_e32 v6, 30, v6
	v_and_b32_e32 v3, 3, v3
	v_cmp_eq_u32_e32 vcc, 0, v5
	v_cndmask_b32_e32 v5, v5, v6, vcc
	v_cndmask_b32_e32 v3, v4, v3, vcc
	v_mov_b32_e32 v4, 0x37800000
	v_lshlrev_b32_e32 v3, 21, v3
	v_and_b32_e32 v2, 0x80000000, v2
	v_lshl_add_u32 v4, v5, 23, v4
	v_or3_b32 v2, v2, v4, v3
	v_cvt_f64_f32_e32 v[2:3], v2
.LBB39_579:
	s_or_b64 exec, exec, s[28:29]
	s_mov_b64 s[0:1], 0
	s_branch .LBB39_583
.LBB39_580:
	s_mov_b64 s[28:29], -1
                                        ; implicit-def: $vgpr2_vgpr3
	s_branch .LBB39_589
.LBB39_581:
	s_mov_b64 s[0:1], -1
                                        ; implicit-def: $vgpr2_vgpr3
	s_branch .LBB39_586
.LBB39_582:
	s_mov_b64 s[0:1], -1
                                        ; implicit-def: $vgpr2_vgpr3
.LBB39_583:
	s_and_b64 vcc, exec, s[0:1]
	s_cbranch_vccz .LBB39_585
; %bb.584:
	global_load_ubyte v2, v[0:1], off
	s_mov_b32 s0, 0x7f800000
	s_waitcnt vmcnt(0)
	v_lshlrev_b32_e32 v2, 24, v2
	v_and_b32_e32 v3, 0x7f000000, v2
	v_ffbh_u32_e32 v4, v3
	v_min_u32_e32 v4, 32, v4
	v_sub_u32_e64 v4, v4, 4 clamp
	v_lshlrev_b32_e32 v6, v4, v3
	v_lshlrev_b32_e32 v4, 23, v4
	v_lshrrev_b32_e32 v6, 4, v6
	v_add_u32_e32 v5, 0x1000000, v3
	v_sub_u32_e32 v4, v6, v4
	v_ashrrev_i32_e32 v5, 8, v5
	v_add_u32_e32 v4, 0x3c000000, v4
	v_and_or_b32 v4, v5, s0, v4
	v_cmp_ne_u32_e32 vcc, 0, v3
	v_cndmask_b32_e32 v3, 0, v4, vcc
	s_brev_b32 s0, 1
	v_and_or_b32 v2, v2, s0, v3
	v_cvt_f64_f32_e32 v[2:3], v2
.LBB39_585:
	s_mov_b64 s[0:1], 0
.LBB39_586:
	s_andn2_b64 vcc, exec, s[0:1]
	s_cbranch_vccnz .LBB39_588
; %bb.587:
	global_load_ubyte v2, v[0:1], off
	s_movk_i32 s0, 0x7f00
	s_brev_b32 s1, 16
	s_waitcnt vmcnt(0)
	v_lshlrev_b16_e32 v3, 8, v2
	v_lshlrev_b32_e32 v2, 25, v2
	v_lshrrev_b32_e32 v4, 4, v2
	v_and_or_b32 v5, v3, s0, 0.5
	v_or_b32_e32 v4, 0x70000000, v4
	v_add_f32_e32 v5, -0.5, v5
	v_mul_f32_e32 v4, 0x7800000, v4
	v_cmp_gt_u32_e32 vcc, s1, v2
	v_bfe_i32 v3, v3, 0, 16
	v_cndmask_b32_e32 v2, v4, v5, vcc
	s_brev_b32 s0, 1
	v_and_or_b32 v2, v3, s0, v2
	v_cvt_f64_f32_e32 v[2:3], v2
.LBB39_588:
	s_mov_b64 s[28:29], 0
	s_mov_b64 s[0:1], -1
.LBB39_589:
	s_andn2_b64 vcc, exec, s[28:29]
	s_cbranch_vccnz .LBB39_600
; %bb.590:
	s_cmp_gt_i32 s34, 14
	s_cbranch_scc0 .LBB39_593
; %bb.591:
	s_cmp_eq_u32 s34, 15
	s_cbranch_scc0 .LBB39_594
; %bb.592:
	global_load_ushort v2, v[0:1], off
	s_mov_b64 s[0:1], -1
	s_mov_b64 s[26:27], 0
	s_waitcnt vmcnt(0)
	v_lshlrev_b32_e32 v2, 16, v2
	v_cvt_f64_f32_e32 v[2:3], v2
	s_branch .LBB39_595
.LBB39_593:
	s_mov_b64 s[28:29], -1
                                        ; implicit-def: $vgpr2_vgpr3
	s_branch .LBB39_596
.LBB39_594:
	s_mov_b64 s[26:27], -1
                                        ; implicit-def: $vgpr2_vgpr3
.LBB39_595:
	s_mov_b64 s[28:29], 0
.LBB39_596:
	s_and_b64 vcc, exec, s[28:29]
	s_cbranch_vccz .LBB39_600
; %bb.597:
	s_cmp_eq_u32 s34, 11
	s_cbranch_scc0 .LBB39_599
; %bb.598:
	global_load_ubyte v3, v[0:1], off
	v_mov_b32_e32 v4, 0x3ff00000
	v_mov_b32_e32 v2, 0
	s_mov_b64 s[0:1], -1
	s_mov_b64 s[26:27], 0
	s_waitcnt vmcnt(0)
	v_cmp_ne_u16_e32 vcc, 0, v3
	v_cndmask_b32_e32 v3, 0, v4, vcc
	s_branch .LBB39_600
.LBB39_599:
	s_mov_b64 s[26:27], -1
                                        ; implicit-def: $vgpr2_vgpr3
.LBB39_600:
	s_mov_b64 s[28:29], 0
.LBB39_601:
	s_and_b64 vcc, exec, s[28:29]
	s_cbranch_vccz .LBB39_650
; %bb.602:
	s_cmp_lt_i32 s34, 5
	s_cbranch_scc1 .LBB39_607
; %bb.603:
	s_cmp_lt_i32 s34, 8
	s_cbranch_scc1 .LBB39_608
	;; [unrolled: 3-line block ×3, first 2 shown]
; %bb.605:
	s_cmp_gt_i32 s34, 9
	s_cbranch_scc0 .LBB39_610
; %bb.606:
	global_load_dwordx2 v[2:3], v[0:1], off
	s_mov_b64 s[0:1], 0
	s_branch .LBB39_611
.LBB39_607:
	s_mov_b64 s[0:1], -1
                                        ; implicit-def: $vgpr2_vgpr3
	s_branch .LBB39_629
.LBB39_608:
	s_mov_b64 s[0:1], -1
                                        ; implicit-def: $vgpr2_vgpr3
	s_branch .LBB39_617
.LBB39_609:
	s_mov_b64 s[0:1], -1
                                        ; implicit-def: $vgpr2_vgpr3
	s_branch .LBB39_614
.LBB39_610:
	s_mov_b64 s[0:1], -1
                                        ; implicit-def: $vgpr2_vgpr3
.LBB39_611:
	s_andn2_b64 vcc, exec, s[0:1]
	s_cbranch_vccnz .LBB39_613
; %bb.612:
	global_load_dword v2, v[0:1], off
	s_waitcnt vmcnt(0)
	v_cvt_f64_f32_e32 v[2:3], v2
.LBB39_613:
	s_mov_b64 s[0:1], 0
.LBB39_614:
	s_andn2_b64 vcc, exec, s[0:1]
	s_cbranch_vccnz .LBB39_616
; %bb.615:
	global_load_dword v2, v[0:1], off
	s_waitcnt vmcnt(0)
	v_cvt_f32_f16_e32 v2, v2
	v_cvt_f64_f32_e32 v[2:3], v2
.LBB39_616:
	s_mov_b64 s[0:1], 0
.LBB39_617:
	s_andn2_b64 vcc, exec, s[0:1]
	s_cbranch_vccnz .LBB39_628
; %bb.618:
	s_cmp_lt_i32 s34, 6
	s_cbranch_scc1 .LBB39_621
; %bb.619:
	s_cmp_gt_i32 s34, 6
	s_cbranch_scc0 .LBB39_622
; %bb.620:
	global_load_dwordx2 v[2:3], v[0:1], off
	s_mov_b64 s[0:1], 0
	s_branch .LBB39_623
.LBB39_621:
	s_mov_b64 s[0:1], -1
                                        ; implicit-def: $vgpr2_vgpr3
	s_branch .LBB39_626
.LBB39_622:
	s_mov_b64 s[0:1], -1
                                        ; implicit-def: $vgpr2_vgpr3
.LBB39_623:
	s_andn2_b64 vcc, exec, s[0:1]
	s_cbranch_vccnz .LBB39_625
; %bb.624:
	global_load_dword v2, v[0:1], off
	s_waitcnt vmcnt(0)
	v_cvt_f64_f32_e32 v[2:3], v2
.LBB39_625:
	s_mov_b64 s[0:1], 0
.LBB39_626:
	s_andn2_b64 vcc, exec, s[0:1]
	s_cbranch_vccnz .LBB39_628
; %bb.627:
	global_load_ushort v2, v[0:1], off
	s_waitcnt vmcnt(0)
	v_cvt_f32_f16_e32 v2, v2
	v_cvt_f64_f32_e32 v[2:3], v2
.LBB39_628:
	s_mov_b64 s[0:1], 0
.LBB39_629:
	s_andn2_b64 vcc, exec, s[0:1]
	s_cbranch_vccnz .LBB39_649
; %bb.630:
	s_cmp_lt_i32 s34, 2
	s_cbranch_scc1 .LBB39_634
; %bb.631:
	s_cmp_lt_i32 s34, 3
	s_cbranch_scc1 .LBB39_635
; %bb.632:
	s_cmp_gt_i32 s34, 3
	s_cbranch_scc0 .LBB39_636
; %bb.633:
	global_load_dwordx2 v[2:3], v[0:1], off
	s_mov_b64 s[0:1], 0
	s_waitcnt vmcnt(0)
	v_cvt_f64_i32_e32 v[3:4], v3
	v_cvt_f64_u32_e32 v[5:6], v2
	v_ldexp_f64 v[3:4], v[3:4], 32
	v_add_f64 v[2:3], v[3:4], v[5:6]
	s_branch .LBB39_637
.LBB39_634:
	s_mov_b64 s[0:1], -1
                                        ; implicit-def: $vgpr2_vgpr3
	s_branch .LBB39_643
.LBB39_635:
	s_mov_b64 s[0:1], -1
                                        ; implicit-def: $vgpr2_vgpr3
	s_branch .LBB39_640
.LBB39_636:
	s_mov_b64 s[0:1], -1
                                        ; implicit-def: $vgpr2_vgpr3
.LBB39_637:
	s_andn2_b64 vcc, exec, s[0:1]
	s_cbranch_vccnz .LBB39_639
; %bb.638:
	global_load_dword v2, v[0:1], off
	s_waitcnt vmcnt(0)
	v_cvt_f64_i32_e32 v[2:3], v2
.LBB39_639:
	s_mov_b64 s[0:1], 0
.LBB39_640:
	s_andn2_b64 vcc, exec, s[0:1]
	s_cbranch_vccnz .LBB39_642
; %bb.641:
	global_load_sshort v2, v[0:1], off
	s_waitcnt vmcnt(0)
	v_cvt_f64_i32_e32 v[2:3], v2
.LBB39_642:
	s_mov_b64 s[0:1], 0
.LBB39_643:
	s_andn2_b64 vcc, exec, s[0:1]
	s_cbranch_vccnz .LBB39_649
; %bb.644:
	s_cmp_gt_i32 s34, 0
	s_cbranch_scc0 .LBB39_646
; %bb.645:
	global_load_sbyte v2, v[0:1], off
	s_mov_b64 s[0:1], 0
	s_waitcnt vmcnt(0)
	v_cvt_f64_i32_e32 v[2:3], v2
	s_branch .LBB39_647
.LBB39_646:
	s_mov_b64 s[0:1], -1
                                        ; implicit-def: $vgpr2_vgpr3
.LBB39_647:
	s_andn2_b64 vcc, exec, s[0:1]
	s_cbranch_vccnz .LBB39_649
; %bb.648:
	global_load_ubyte v0, v[0:1], off
	s_waitcnt vmcnt(0)
	v_cvt_f64_u32_e32 v[2:3], v0
.LBB39_649:
	s_mov_b64 s[0:1], -1
.LBB39_650:
	s_andn2_b64 vcc, exec, s[0:1]
	s_cbranch_vccnz .LBB39_660
; %bb.651:
	s_waitcnt vmcnt(0)
	v_fma_f64 v[4:5], |v[2:3]|, -0.5, 0.5
	v_mul_f64 v[0:1], v[2:3], v[2:3]
	v_cmp_ge_f64_e64 vcc, |v[2:3]|, 0.5
	s_mov_b32 s0, 0x9fea6a70
	v_mov_b32_e32 v6, 0x78a05eaf
	v_mov_b32_e32 v7, 0xbf90a5a3
	s_mov_b32 s1, 0x3fa05985
	v_cndmask_b32_e32 v1, v1, v5, vcc
	v_cndmask_b32_e32 v0, v0, v4, vcc
	v_fma_f64 v[6:7], v[0:1], s[0:1], v[6:7]
	s_mov_b32 s0, 0x37024d6a
	s_mov_b32 s1, 0x3f940521
	v_fma_f64 v[6:7], v[0:1], v[6:7], s[0:1]
	s_mov_b32 s0, 0x98a70509
	s_mov_b32 s1, 0x3f7ab3a0
	;; [unrolled: 3-line block ×10, first 2 shown]
	v_fma_f64 v[6:7], v[0:1], v[6:7], s[0:1]
	v_mul_f64 v[6:7], v[0:1], v[6:7]
	v_fma_f64 v[0:1], |v[2:3]|, v[6:7], |v[2:3]|
	s_and_saveexec_b64 s[0:1], vcc
	s_cbranch_execz .LBB39_653
; %bb.652:
	v_rsq_f64_e32 v[0:1], v[4:5]
	v_cmp_eq_f64_e32 vcc, 0, v[4:5]
	s_mov_b32 s28, 0x54442d18
	s_mov_b32 s29, 0x3fe921fb
	v_mul_f64 v[8:9], v[4:5], v[0:1]
	v_mul_f64 v[0:1], v[0:1], 0.5
	v_fma_f64 v[10:11], -v[0:1], v[8:9], 0.5
	v_fma_f64 v[8:9], v[8:9], v[10:11], v[8:9]
	v_fma_f64 v[0:1], v[0:1], v[10:11], v[0:1]
	v_fma_f64 v[10:11], -v[8:9], v[8:9], v[4:5]
	v_fma_f64 v[0:1], v[10:11], v[0:1], v[8:9]
	v_cndmask_b32_e32 v1, v1, v5, vcc
	v_cndmask_b32_e32 v0, v0, v4, vcc
	v_add_f64 v[8:9], v[0:1], v[0:1]
	v_mul_f64 v[10:11], v[0:1], v[0:1]
	v_rcp_f64_e32 v[12:13], v[8:9]
	v_add_f64 v[14:15], v[4:5], -v[10:11]
	v_fma_f64 v[18:19], v[0:1], v[0:1], -v[10:11]
	v_add_f64 v[4:5], v[4:5], -v[14:15]
	v_fma_f64 v[16:17], -v[8:9], v[12:13], 1.0
	v_add_f64 v[4:5], v[4:5], -v[10:11]
	v_fma_f64 v[10:11], v[16:17], v[12:13], v[12:13]
	v_add_f64 v[4:5], v[4:5], -v[18:19]
	v_fma_f64 v[12:13], -v[8:9], v[10:11], 1.0
	v_add_f64 v[4:5], v[14:15], v[4:5]
	v_fma_f64 v[10:11], v[12:13], v[10:11], v[10:11]
	v_mul_f64 v[12:13], v[4:5], v[10:11]
	v_fma_f64 v[4:5], -v[8:9], v[12:13], v[4:5]
	v_fma_f64 v[4:5], v[4:5], v[10:11], v[12:13]
	v_cndmask_b32_e64 v5, v5, 0, vcc
	v_cndmask_b32_e64 v4, v4, 0, vcc
	v_add_f64 v[8:9], v[0:1], v[4:5]
	v_cmp_neq_f64_e64 vcc, |v[2:3]|, 1.0
	v_mov_b32_e32 v2, 0x54442d18
	v_add_f64 v[0:1], v[8:9], -v[0:1]
	v_mul_f64 v[10:11], v[6:7], v[8:9]
	v_add_f64 v[0:1], v[4:5], -v[0:1]
	v_fma_f64 v[4:5], v[8:9], v[6:7], -v[10:11]
	v_fma_f64 v[4:5], v[0:1], v[6:7], v[4:5]
	v_add_f64 v[6:7], v[10:11], v[4:5]
	v_add_f64 v[12:13], v[8:9], v[6:7]
	v_add_f64 v[10:11], v[6:7], -v[10:11]
	v_add_f64 v[8:9], v[12:13], -v[8:9]
	;; [unrolled: 1-line block ×4, first 2 shown]
	v_add_f64 v[0:1], v[0:1], v[4:5]
	v_add_f64 v[0:1], v[0:1], v[6:7]
	;; [unrolled: 1-line block ×3, first 2 shown]
	v_add_f64 v[6:7], -v[4:5], s[28:29]
	v_add_f64 v[10:11], v[4:5], -v[12:13]
	v_add_f64 v[8:9], -v[6:7], s[28:29]
	s_mov_b32 s28, 0x33145c07
	s_mov_b32 s29, 0x3c81a626
	v_add_f64 v[0:1], v[10:11], -v[0:1]
	v_add_f64 v[4:5], v[8:9], -v[4:5]
	v_add_f64 v[4:5], v[4:5], s[28:29]
	v_add_f64 v[0:1], v[0:1], v[4:5]
	v_mov_b32_e32 v4, 0x3ff921fb
	v_add_f64 v[0:1], v[6:7], v[0:1]
	v_add_f64 v[0:1], v[0:1], v[0:1]
	v_cndmask_b32_e32 v1, v4, v1, vcc
	v_cndmask_b32_e32 v0, v2, v0, vcc
.LBB39_653:
	s_or_b64 exec, exec, s[0:1]
	v_mul_lo_u32 v2, v20, s2
	s_brev_b32 s0, -2
	v_mov_b32_e32 v5, s9
	v_bfi_b32 v1, s0, v1, v3
	v_ashrrev_i32_e32 v3, 31, v2
	s_and_b32 s36, s33, 0xff
	v_add_co_u32_e32 v4, vcc, s8, v2
	s_cmp_lt_i32 s36, 11
	v_addc_co_u32_e32 v5, vcc, v5, v3, vcc
	s_cbranch_scc1 .LBB39_661
; %bb.654:
	s_and_b32 s37, 0xffff, s36
	s_cmp_gt_i32 s37, 25
	s_cbranch_scc0 .LBB39_662
; %bb.655:
	s_cmp_gt_i32 s37, 28
	s_cbranch_scc0 .LBB39_663
; %bb.656:
	;; [unrolled: 3-line block ×4, first 2 shown]
	s_mov_b64 s[30:31], 0
	s_mov_b64 s[0:1], -1
	s_cmp_eq_u32 s37, 46
	s_mov_b64 s[28:29], 0
	s_cbranch_scc0 .LBB39_666
; %bb.659:
	v_cvt_f32_f64_e32 v2, v[0:1]
	s_movk_i32 s0, 0x7fff
	v_mov_b32_e32 v3, 0x7fc0
	s_mov_b64 s[28:29], -1
	v_bfe_u32 v6, v2, 16, 1
	v_cmp_o_f32_e32 vcc, v2, v2
	v_add3_u32 v2, v2, v6, s0
	v_cndmask_b32_sdwa v2, v3, v2, vcc dst_sel:DWORD dst_unused:UNUSED_PAD src0_sel:DWORD src1_sel:WORD_1
	global_store_dword v[4:5], v2, off
	s_mov_b64 s[0:1], 0
	s_branch .LBB39_666
.LBB39_660:
	s_mov_b64 s[30:31], 0
                                        ; implicit-def: $vgpr20
	s_mov_b64 s[0:1], s[20:21]
	s_branch .LBB39_777
.LBB39_661:
	s_mov_b64 s[30:31], -1
	s_mov_b64 s[28:29], 0
	s_mov_b64 s[0:1], s[20:21]
	s_branch .LBB39_735
.LBB39_662:
	s_mov_b64 s[30:31], -1
	s_mov_b64 s[28:29], 0
	s_mov_b64 s[0:1], s[20:21]
	s_branch .LBB39_693
.LBB39_663:
	s_mov_b64 s[30:31], -1
	s_mov_b64 s[28:29], 0
	s_mov_b64 s[0:1], s[20:21]
	s_branch .LBB39_676
.LBB39_664:
	s_mov_b64 s[30:31], -1
	s_mov_b64 s[28:29], 0
	s_mov_b64 s[0:1], s[20:21]
	s_branch .LBB39_672
.LBB39_665:
	s_mov_b64 s[30:31], -1
	s_mov_b64 s[28:29], 0
	s_mov_b64 s[0:1], s[20:21]
.LBB39_666:
	s_and_b64 vcc, exec, s[30:31]
	s_cbranch_vccz .LBB39_671
; %bb.667:
	s_cmp_eq_u32 s37, 44
	s_mov_b64 s[0:1], -1
	s_cbranch_scc0 .LBB39_671
; %bb.668:
	v_cvt_f32_f64_e32 v2, v[0:1]
	s_movk_i32 s0, 0xff
	v_mov_b32_e32 v6, 0xff
	v_bfe_u32 v3, v2, 23, 8
	v_cmp_ne_u32_e32 vcc, s0, v3
	s_and_saveexec_b64 s[28:29], vcc
; %bb.669:
	s_mov_b32 s0, 0x3fffff
	v_lshrrev_b32_e32 v6, 23, v2
	v_and_b32_e32 v7, 0x400000, v2
	v_and_or_b32 v2, v2, s0, v3
	v_cmp_ne_u32_e32 vcc, 0, v7
	v_cmp_ne_u32_e64 s[0:1], 0, v2
	s_and_b64 s[0:1], vcc, s[0:1]
	v_cndmask_b32_e64 v2, 0, 1, s[0:1]
	v_add_u32_e32 v6, v6, v2
; %bb.670:
	s_or_b64 exec, exec, s[28:29]
	s_mov_b64 s[28:29], -1
	s_mov_b64 s[0:1], 0
	global_store_byte v[4:5], v6, off
.LBB39_671:
	s_mov_b64 s[30:31], 0
.LBB39_672:
	s_and_b64 vcc, exec, s[30:31]
	s_cbranch_vccz .LBB39_675
; %bb.673:
	s_cmp_eq_u32 s37, 29
	s_mov_b64 s[0:1], -1
	s_cbranch_scc0 .LBB39_675
; %bb.674:
	v_trunc_f64_e32 v[2:3], v[0:1]
	s_movk_i32 s0, 0xffe0
	s_mov_b64 s[28:29], -1
	s_mov_b64 s[30:31], 0
	v_ldexp_f64 v[6:7], v[2:3], s0
	s_mov_b32 s0, 0
	s_mov_b32 s1, 0xc1f00000
	v_floor_f64_e32 v[6:7], v[6:7]
	v_fma_f64 v[2:3], v[6:7], s[0:1], v[2:3]
	v_cvt_u32_f64_e32 v7, v[6:7]
	s_mov_b64 s[0:1], 0
	v_cvt_u32_f64_e32 v6, v[2:3]
	global_store_dwordx2 v[4:5], v[6:7], off
	s_branch .LBB39_676
.LBB39_675:
	s_mov_b64 s[30:31], 0
.LBB39_676:
	s_and_b64 vcc, exec, s[30:31]
	s_cbranch_vccz .LBB39_692
; %bb.677:
	s_cmp_lt_i32 s37, 27
	s_mov_b64 s[28:29], -1
	s_cbranch_scc1 .LBB39_683
; %bb.678:
	v_cvt_u32_f64_e32 v2, v[0:1]
	s_cmp_gt_i32 s37, 27
	s_cbranch_scc0 .LBB39_680
; %bb.679:
	s_mov_b64 s[28:29], 0
	global_store_dword v[4:5], v2, off
.LBB39_680:
	s_andn2_b64 vcc, exec, s[28:29]
	s_cbranch_vccnz .LBB39_682
; %bb.681:
	global_store_short v[4:5], v2, off
.LBB39_682:
	s_mov_b64 s[28:29], 0
.LBB39_683:
	s_andn2_b64 vcc, exec, s[28:29]
	s_cbranch_vccnz .LBB39_691
; %bb.684:
	v_cvt_f32_f64_e32 v2, v[0:1]
	s_mov_b32 s28, 0x43800000
	v_mov_b32_e32 v6, 0x80
	v_and_b32_e32 v3, 0x7fffffff, v2
	v_cmp_gt_u32_e32 vcc, s28, v3
	s_and_saveexec_b64 s[28:29], vcc
	s_cbranch_execz .LBB39_690
; %bb.685:
	s_mov_b32 s30, 0x3bffffff
	v_cmp_lt_u32_e32 vcc, s30, v3
	s_mov_b64 s[30:31], 0
                                        ; implicit-def: $vgpr3
	s_and_saveexec_b64 s[34:35], vcc
	s_xor_b64 s[34:35], exec, s[34:35]
	s_cbranch_execz .LBB39_791
; %bb.686:
	v_bfe_u32 v3, v2, 20, 1
	s_mov_b32 s39, 0x487ffff
	v_add3_u32 v3, v2, v3, s39
	s_mov_b64 s[30:31], exec
	v_lshrrev_b32_e32 v3, 20, v3
	s_andn2_saveexec_b64 s[34:35], s[34:35]
	s_cbranch_execnz .LBB39_792
.LBB39_687:
	s_or_b64 exec, exec, s[34:35]
	v_mov_b32_e32 v6, 0
	s_and_saveexec_b64 s[34:35], s[30:31]
.LBB39_688:
	v_lshrrev_b32_e32 v2, 24, v2
	s_movk_i32 s30, 0x80
	v_and_or_b32 v6, v2, s30, v3
.LBB39_689:
	s_or_b64 exec, exec, s[34:35]
.LBB39_690:
	s_or_b64 exec, exec, s[28:29]
	global_store_byte v[4:5], v6, off
.LBB39_691:
	s_mov_b64 s[28:29], -1
.LBB39_692:
	s_mov_b64 s[30:31], 0
.LBB39_693:
	s_and_b64 vcc, exec, s[30:31]
	s_cbranch_vccz .LBB39_734
; %bb.694:
	s_cmp_gt_i32 s37, 22
	s_mov_b64 s[30:31], -1
	s_cbranch_scc0 .LBB39_726
; %bb.695:
	s_cmp_lt_i32 s37, 24
	s_mov_b64 s[28:29], -1
	s_cbranch_scc1 .LBB39_715
; %bb.696:
	s_cmp_gt_i32 s37, 24
	s_cbranch_scc0 .LBB39_704
; %bb.697:
	v_cvt_f32_f64_e32 v2, v[0:1]
	s_mov_b32 s28, 0x47800000
	v_mov_b32_e32 v6, 0x80
	v_and_b32_e32 v3, 0x7fffffff, v2
	v_cmp_gt_u32_e32 vcc, s28, v3
	s_and_saveexec_b64 s[28:29], vcc
	s_cbranch_execz .LBB39_703
; %bb.698:
	s_mov_b32 s30, 0x37ffffff
	v_cmp_lt_u32_e32 vcc, s30, v3
	s_mov_b64 s[30:31], 0
                                        ; implicit-def: $vgpr3
	s_and_saveexec_b64 s[34:35], vcc
	s_xor_b64 s[34:35], exec, s[34:35]
	s_cbranch_execz .LBB39_794
; %bb.699:
	v_bfe_u32 v3, v2, 21, 1
	s_mov_b32 s39, 0x88fffff
	v_add3_u32 v3, v2, v3, s39
	s_mov_b64 s[30:31], exec
	v_lshrrev_b32_e32 v3, 21, v3
	s_andn2_saveexec_b64 s[34:35], s[34:35]
	s_cbranch_execnz .LBB39_795
.LBB39_700:
	s_or_b64 exec, exec, s[34:35]
	v_mov_b32_e32 v6, 0
	s_and_saveexec_b64 s[34:35], s[30:31]
.LBB39_701:
	v_lshrrev_b32_e32 v2, 24, v2
	s_movk_i32 s30, 0x80
	v_and_or_b32 v6, v2, s30, v3
.LBB39_702:
	s_or_b64 exec, exec, s[34:35]
.LBB39_703:
	s_or_b64 exec, exec, s[28:29]
	s_mov_b64 s[28:29], 0
	global_store_byte v[4:5], v6, off
.LBB39_704:
	s_and_b64 vcc, exec, s[28:29]
	s_cbranch_vccz .LBB39_714
; %bb.705:
	v_cvt_f32_f64_e32 v2, v[0:1]
	s_mov_b32 s28, 0x43f00000
                                        ; implicit-def: $vgpr3
	v_and_b32_e32 v6, 0x7fffffff, v2
	v_cmp_gt_u32_e32 vcc, s28, v6
	s_and_saveexec_b64 s[28:29], vcc
	s_xor_b64 s[28:29], exec, s[28:29]
	s_cbranch_execz .LBB39_711
; %bb.706:
	s_mov_b32 s30, 0x3c7fffff
	v_cmp_lt_u32_e32 vcc, s30, v6
                                        ; implicit-def: $vgpr3
	s_and_saveexec_b64 s[30:31], vcc
	s_xor_b64 s[30:31], exec, s[30:31]
; %bb.707:
	v_bfe_u32 v3, v2, 20, 1
	s_mov_b32 s34, 0x407ffff
	v_add3_u32 v3, v2, v3, s34
	v_lshrrev_b32_e32 v6, 20, v3
	v_and_b32_e32 v3, 0xff00000, v3
	s_mov_b32 s34, 0x7f00000
	v_mov_b32_e32 v7, 0x7e
	v_cmp_ne_u32_e32 vcc, s34, v3
	v_cndmask_b32_e32 v3, v7, v6, vcc
; %bb.708:
	s_andn2_saveexec_b64 s[30:31], s[30:31]
; %bb.709:
	s_mov_b32 s34, 0x46800000
	v_add_f32_e64 v3, |v2|, s34
; %bb.710:
	s_or_b64 exec, exec, s[30:31]
                                        ; implicit-def: $vgpr6
.LBB39_711:
	s_andn2_saveexec_b64 s[28:29], s[28:29]
; %bb.712:
	s_mov_b32 s30, 0x7f800000
	v_mov_b32_e32 v3, 0x7e
	v_mov_b32_e32 v7, 0x7f
	v_cmp_lt_u32_e32 vcc, s30, v6
	v_cndmask_b32_e32 v3, v3, v7, vcc
; %bb.713:
	s_or_b64 exec, exec, s[28:29]
	v_lshrrev_b32_e32 v2, 24, v2
	s_movk_i32 s28, 0x80
	v_and_or_b32 v2, v2, s28, v3
	global_store_byte v[4:5], v2, off
.LBB39_714:
	s_mov_b64 s[28:29], 0
.LBB39_715:
	s_andn2_b64 vcc, exec, s[28:29]
	s_cbranch_vccnz .LBB39_725
; %bb.716:
	v_cvt_f32_f64_e32 v2, v[0:1]
	s_mov_b32 s28, 0x47800000
                                        ; implicit-def: $vgpr3
	v_and_b32_e32 v6, 0x7fffffff, v2
	v_cmp_gt_u32_e32 vcc, s28, v6
	s_and_saveexec_b64 s[28:29], vcc
	s_xor_b64 s[28:29], exec, s[28:29]
	s_cbranch_execz .LBB39_722
; %bb.717:
	s_mov_b32 s30, 0x387fffff
	v_cmp_lt_u32_e32 vcc, s30, v6
                                        ; implicit-def: $vgpr3
	s_and_saveexec_b64 s[30:31], vcc
	s_xor_b64 s[30:31], exec, s[30:31]
; %bb.718:
	v_bfe_u32 v3, v2, 21, 1
	s_mov_b32 s34, 0x80fffff
	v_add3_u32 v3, v2, v3, s34
	v_lshrrev_b32_e32 v3, 21, v3
; %bb.719:
	s_andn2_saveexec_b64 s[30:31], s[30:31]
; %bb.720:
	s_mov_b32 s34, 0x43000000
	v_add_f32_e64 v3, |v2|, s34
; %bb.721:
	s_or_b64 exec, exec, s[30:31]
                                        ; implicit-def: $vgpr6
.LBB39_722:
	s_andn2_saveexec_b64 s[28:29], s[28:29]
; %bb.723:
	s_mov_b32 s30, 0x7f800000
	v_mov_b32_e32 v3, 0x7c
	v_mov_b32_e32 v7, 0x7f
	v_cmp_lt_u32_e32 vcc, s30, v6
	v_cndmask_b32_e32 v3, v3, v7, vcc
; %bb.724:
	s_or_b64 exec, exec, s[28:29]
	v_lshrrev_b32_e32 v2, 24, v2
	s_movk_i32 s28, 0x80
	v_and_or_b32 v2, v2, s28, v3
	global_store_byte v[4:5], v2, off
.LBB39_725:
	s_mov_b64 s[30:31], 0
	s_mov_b64 s[28:29], -1
.LBB39_726:
	s_andn2_b64 vcc, exec, s[30:31]
	s_cbranch_vccnz .LBB39_734
; %bb.727:
	s_cmp_gt_i32 s37, 14
	s_mov_b64 s[30:31], -1
	s_cbranch_scc0 .LBB39_731
; %bb.728:
	s_cmp_eq_u32 s37, 15
	s_mov_b64 s[0:1], -1
	s_cbranch_scc0 .LBB39_730
; %bb.729:
	v_cvt_f32_f64_e32 v2, v[0:1]
	s_movk_i32 s0, 0x7fff
	v_mov_b32_e32 v3, 0x7fc0
	s_mov_b64 s[28:29], -1
	v_bfe_u32 v6, v2, 16, 1
	v_cmp_o_f32_e32 vcc, v2, v2
	v_add3_u32 v2, v2, v6, s0
	v_cndmask_b32_sdwa v2, v3, v2, vcc dst_sel:DWORD dst_unused:UNUSED_PAD src0_sel:DWORD src1_sel:WORD_1
	global_store_short v[4:5], v2, off
	s_mov_b64 s[0:1], 0
.LBB39_730:
	s_mov_b64 s[30:31], 0
.LBB39_731:
	s_and_b64 vcc, exec, s[30:31]
	s_cbranch_vccz .LBB39_734
; %bb.732:
	s_cmp_eq_u32 s37, 11
	s_mov_b64 s[0:1], -1
	s_cbranch_scc0 .LBB39_734
; %bb.733:
	v_cmp_neq_f64_e32 vcc, 0, v[0:1]
	s_mov_b64 s[0:1], 0
	s_mov_b64 s[28:29], -1
	v_cndmask_b32_e64 v2, 0, 1, vcc
	global_store_byte v[4:5], v2, off
.LBB39_734:
	s_mov_b64 s[30:31], 0
.LBB39_735:
	s_and_b64 vcc, exec, s[30:31]
	s_cbranch_vccz .LBB39_774
; %bb.736:
	s_and_b32 s30, 0xffff, s36
	s_cmp_lt_i32 s30, 5
	s_mov_b64 s[28:29], -1
	s_cbranch_scc1 .LBB39_757
; %bb.737:
	s_cmp_lt_i32 s30, 8
	s_cbranch_scc1 .LBB39_747
; %bb.738:
	s_cmp_lt_i32 s30, 9
	s_cbranch_scc1 .LBB39_744
; %bb.739:
	s_cmp_gt_i32 s30, 9
	s_cbranch_scc0 .LBB39_741
; %bb.740:
	v_mov_b32_e32 v2, 0
	v_mov_b32_e32 v3, v2
	s_mov_b64 s[28:29], 0
	global_store_dwordx4 v[4:5], v[0:3], off
.LBB39_741:
	s_andn2_b64 vcc, exec, s[28:29]
	s_cbranch_vccnz .LBB39_743
; %bb.742:
	v_cvt_f32_f64_e32 v2, v[0:1]
	v_mov_b32_e32 v3, 0
	global_store_dwordx2 v[4:5], v[2:3], off
.LBB39_743:
	s_mov_b64 s[28:29], 0
.LBB39_744:
	s_andn2_b64 vcc, exec, s[28:29]
	s_cbranch_vccnz .LBB39_746
; %bb.745:
	s_movk_i32 s28, 0x1ff
	v_and_or_b32 v2, v1, s28, v0
	v_cmp_ne_u32_e32 vcc, 0, v2
	v_cndmask_b32_e64 v2, 0, 1, vcc
	v_lshrrev_b32_e32 v3, 8, v1
	s_movk_i32 s28, 0xffe
	v_bfe_u32 v6, v1, 20, 11
	v_and_or_b32 v2, v3, s28, v2
	v_sub_u32_e32 v7, 0x3f1, v6
	v_or_b32_e32 v3, 0x1000, v2
	v_med3_i32 v7, v7, 0, 13
	v_lshrrev_b32_e32 v8, v7, v3
	v_lshlrev_b32_e32 v7, v7, v8
	v_cmp_ne_u32_e32 vcc, v7, v3
	v_cndmask_b32_e64 v3, 0, 1, vcc
	v_add_u32_e32 v6, 0xfffffc10, v6
	v_or_b32_e32 v3, v8, v3
	v_lshl_or_b32 v7, v6, 12, v2
	v_cmp_gt_i32_e32 vcc, 1, v6
	v_cndmask_b32_e32 v3, v7, v3, vcc
	v_and_b32_e32 v7, 7, v3
	v_cmp_lt_i32_e32 vcc, 5, v7
	v_cndmask_b32_e64 v8, 0, 1, vcc
	v_cmp_eq_u32_e32 vcc, 3, v7
	v_cndmask_b32_e64 v7, 0, 1, vcc
	v_or_b32_e32 v7, v7, v8
	v_lshrrev_b32_e32 v3, 2, v3
	v_add_u32_e32 v3, v3, v7
	v_mov_b32_e32 v7, 0x7c00
	v_cmp_gt_i32_e32 vcc, 31, v6
	v_cndmask_b32_e32 v3, v7, v3, vcc
	v_mov_b32_e32 v8, 0x7e00
	v_cmp_ne_u32_e32 vcc, 0, v2
	s_movk_i32 s28, 0x40f
	v_cndmask_b32_e32 v2, v7, v8, vcc
	v_cmp_eq_u32_e32 vcc, s28, v6
	v_cndmask_b32_e32 v2, v3, v2, vcc
	v_lshrrev_b32_e32 v3, 16, v1
	s_mov_b32 s28, 0x8000
	v_and_or_b32 v2, v3, s28, v2
	v_and_b32_e32 v2, 0xffff, v2
	global_store_dword v[4:5], v2, off
.LBB39_746:
	s_mov_b64 s[28:29], 0
.LBB39_747:
	s_andn2_b64 vcc, exec, s[28:29]
	s_cbranch_vccnz .LBB39_756
; %bb.748:
	s_cmp_lt_i32 s30, 6
	s_mov_b64 s[28:29], -1
	s_cbranch_scc1 .LBB39_754
; %bb.749:
	s_cmp_gt_i32 s30, 6
	s_cbranch_scc0 .LBB39_751
; %bb.750:
	s_mov_b64 s[28:29], 0
	global_store_dwordx2 v[4:5], v[0:1], off
.LBB39_751:
	s_andn2_b64 vcc, exec, s[28:29]
	s_cbranch_vccnz .LBB39_753
; %bb.752:
	v_cvt_f32_f64_e32 v2, v[0:1]
	global_store_dword v[4:5], v2, off
.LBB39_753:
	s_mov_b64 s[28:29], 0
.LBB39_754:
	s_andn2_b64 vcc, exec, s[28:29]
	s_cbranch_vccnz .LBB39_756
; %bb.755:
	s_movk_i32 s28, 0x1ff
	v_and_or_b32 v2, v1, s28, v0
	v_cmp_ne_u32_e32 vcc, 0, v2
	v_cndmask_b32_e64 v2, 0, 1, vcc
	v_lshrrev_b32_e32 v3, 8, v1
	s_movk_i32 s28, 0xffe
	v_bfe_u32 v6, v1, 20, 11
	v_and_or_b32 v2, v3, s28, v2
	v_sub_u32_e32 v7, 0x3f1, v6
	v_or_b32_e32 v3, 0x1000, v2
	v_med3_i32 v7, v7, 0, 13
	v_lshrrev_b32_e32 v8, v7, v3
	v_lshlrev_b32_e32 v7, v7, v8
	v_cmp_ne_u32_e32 vcc, v7, v3
	v_cndmask_b32_e64 v3, 0, 1, vcc
	v_add_u32_e32 v6, 0xfffffc10, v6
	v_or_b32_e32 v3, v8, v3
	v_lshl_or_b32 v7, v6, 12, v2
	v_cmp_gt_i32_e32 vcc, 1, v6
	v_cndmask_b32_e32 v3, v7, v3, vcc
	v_and_b32_e32 v7, 7, v3
	v_cmp_lt_i32_e32 vcc, 5, v7
	v_cndmask_b32_e64 v8, 0, 1, vcc
	v_cmp_eq_u32_e32 vcc, 3, v7
	v_cndmask_b32_e64 v7, 0, 1, vcc
	v_or_b32_e32 v7, v7, v8
	v_lshrrev_b32_e32 v3, 2, v3
	v_add_u32_e32 v3, v3, v7
	v_mov_b32_e32 v7, 0x7c00
	v_cmp_gt_i32_e32 vcc, 31, v6
	v_cndmask_b32_e32 v3, v7, v3, vcc
	v_mov_b32_e32 v8, 0x7e00
	v_cmp_ne_u32_e32 vcc, 0, v2
	s_movk_i32 s28, 0x40f
	v_cndmask_b32_e32 v2, v7, v8, vcc
	v_cmp_eq_u32_e32 vcc, s28, v6
	v_cndmask_b32_e32 v2, v3, v2, vcc
	v_lshrrev_b32_e32 v3, 16, v1
	s_mov_b32 s28, 0x8000
	v_and_or_b32 v2, v3, s28, v2
	global_store_short v[4:5], v2, off
.LBB39_756:
	s_mov_b64 s[28:29], 0
.LBB39_757:
	s_andn2_b64 vcc, exec, s[28:29]
	s_cbranch_vccnz .LBB39_773
; %bb.758:
	s_cmp_lt_i32 s30, 2
	s_mov_b64 s[28:29], -1
	s_cbranch_scc1 .LBB39_768
; %bb.759:
	s_cmp_lt_i32 s30, 3
	s_cbranch_scc1 .LBB39_765
; %bb.760:
	s_cmp_gt_i32 s30, 3
	s_cbranch_scc0 .LBB39_762
; %bb.761:
	v_trunc_f64_e32 v[2:3], v[0:1]
	s_movk_i32 s28, 0xffe0
	v_ldexp_f64 v[6:7], v[2:3], s28
	s_mov_b32 s28, 0
	s_mov_b32 s29, 0xc1f00000
	v_floor_f64_e32 v[6:7], v[6:7]
	v_fma_f64 v[2:3], v[6:7], s[28:29], v[2:3]
	v_cvt_i32_f64_e32 v7, v[6:7]
	s_mov_b64 s[28:29], 0
	v_cvt_u32_f64_e32 v6, v[2:3]
	global_store_dwordx2 v[4:5], v[6:7], off
.LBB39_762:
	s_andn2_b64 vcc, exec, s[28:29]
	s_cbranch_vccnz .LBB39_764
; %bb.763:
	v_cvt_i32_f64_e32 v2, v[0:1]
	global_store_dword v[4:5], v2, off
.LBB39_764:
	s_mov_b64 s[28:29], 0
.LBB39_765:
	s_andn2_b64 vcc, exec, s[28:29]
	s_cbranch_vccnz .LBB39_767
; %bb.766:
	v_cvt_i32_f64_e32 v2, v[0:1]
	global_store_short v[4:5], v2, off
.LBB39_767:
	s_mov_b64 s[28:29], 0
.LBB39_768:
	s_andn2_b64 vcc, exec, s[28:29]
	s_cbranch_vccnz .LBB39_773
; %bb.769:
	s_cmp_gt_i32 s30, 0
	s_mov_b64 s[28:29], -1
	s_cbranch_scc0 .LBB39_771
; %bb.770:
	v_cvt_i32_f64_e32 v2, v[0:1]
	s_mov_b64 s[28:29], 0
	global_store_byte v[4:5], v2, off
.LBB39_771:
	s_andn2_b64 vcc, exec, s[28:29]
	s_cbranch_vccnz .LBB39_773
; %bb.772:
	v_trunc_f64_e32 v[0:1], v[0:1]
	s_movk_i32 s28, 0xffe0
	v_ldexp_f64 v[2:3], v[0:1], s28
	s_mov_b32 s28, 0
	s_mov_b32 s29, 0xc1f00000
	v_floor_f64_e32 v[2:3], v[2:3]
	v_fma_f64 v[0:1], v[2:3], s[28:29], v[0:1]
	v_cvt_u32_f64_e32 v0, v[0:1]
	global_store_byte v[4:5], v0, off
.LBB39_773:
	s_mov_b64 s[28:29], -1
.LBB39_774:
	s_andn2_b64 vcc, exec, s[28:29]
	s_cbranch_vccnz .LBB39_776
; %bb.775:
	v_add_u32_e32 v20, 0x80, v20
	s_mov_b64 s[30:31], -1
	s_branch .LBB39_777
.LBB39_776:
	s_mov_b64 s[30:31], 0
                                        ; implicit-def: $vgpr20
.LBB39_777:
	s_andn2_b64 s[28:29], s[20:21], exec
	s_and_b64 s[0:1], s[0:1], exec
	s_or_b64 s[28:29], s[28:29], s[0:1]
	s_andn2_b64 s[0:1], s[18:19], exec
	s_and_b64 s[26:27], s[26:27], exec
	s_or_b64 s[0:1], s[0:1], s[26:27]
	s_orn2_b64 s[34:35], s[30:31], exec
.LBB39_778:
	s_or_b64 exec, exec, s[24:25]
	s_mov_b64 s[30:31], 0
	s_mov_b64 s[26:27], 0
	;; [unrolled: 1-line block ×3, first 2 shown]
                                        ; implicit-def: $vgpr0_vgpr1
                                        ; implicit-def: $vgpr2_vgpr3
	s_and_saveexec_b64 s[24:25], s[34:35]
	s_cbranch_execz .LBB39_863
; %bb.779:
	v_cmp_gt_i32_e32 vcc, s38, v20
	s_mov_b64 s[34:35], 0
	s_mov_b64 s[38:39], s[0:1]
	;; [unrolled: 1-line block ×3, first 2 shown]
                                        ; implicit-def: $vgpr0_vgpr1
                                        ; implicit-def: $vgpr2_vgpr3
	s_and_saveexec_b64 s[26:27], vcc
	s_cbranch_execz .LBB39_862
; %bb.780:
	v_mul_lo_u32 v0, v20, s3
	v_mov_b32_e32 v1, s11
	s_and_b32 s43, 0xffff, s42
	s_cmp_lt_i32 s43, 11
	s_waitcnt vmcnt(0)
	v_ashrrev_i32_e32 v2, 31, v0
	v_add_co_u32_e32 v0, vcc, s10, v0
	v_addc_co_u32_e32 v1, vcc, v1, v2, vcc
	s_cbranch_scc1 .LBB39_787
; %bb.781:
	s_cmp_gt_i32 s43, 25
	s_cbranch_scc0 .LBB39_788
; %bb.782:
	s_cmp_gt_i32 s43, 28
	s_cbranch_scc0 .LBB39_789
	;; [unrolled: 3-line block ×4, first 2 shown]
; %bb.785:
	s_cmp_eq_u32 s43, 46
	s_mov_b64 s[38:39], 0
	s_cbranch_scc0 .LBB39_796
; %bb.786:
	global_load_dword v2, v[0:1], off
	s_mov_b64 s[36:37], -1
	s_waitcnt vmcnt(0)
	v_lshlrev_b32_e32 v2, 16, v2
	v_cvt_f64_f32_e32 v[2:3], v2
	s_branch .LBB39_798
.LBB39_787:
	s_mov_b64 s[38:39], -1
                                        ; implicit-def: $vgpr2_vgpr3
	s_mov_b64 s[30:31], s[0:1]
	s_branch .LBB39_861
.LBB39_788:
	s_mov_b64 s[38:39], -1
	s_mov_b64 s[30:31], s[0:1]
                                        ; implicit-def: $vgpr2_vgpr3
	s_branch .LBB39_829
.LBB39_789:
	s_mov_b64 s[38:39], -1
	s_mov_b64 s[30:31], s[0:1]
                                        ; implicit-def: $vgpr2_vgpr3
	s_branch .LBB39_808
.LBB39_790:
	s_mov_b64 s[38:39], -1
	s_mov_b64 s[30:31], s[0:1]
                                        ; implicit-def: $vgpr2_vgpr3
	s_branch .LBB39_803
.LBB39_791:
	s_andn2_saveexec_b64 s[34:35], s[34:35]
	s_cbranch_execz .LBB39_687
.LBB39_792:
	s_mov_b32 s39, 0x46000000
	v_add_f32_e64 v3, |v2|, s39
	v_and_b32_e32 v3, 0xff, v3
	v_cmp_ne_u32_e32 vcc, 0, v3
	s_andn2_b64 s[30:31], s[30:31], exec
	s_and_b64 s[40:41], vcc, exec
	s_or_b64 s[30:31], s[30:31], s[40:41]
	s_or_b64 exec, exec, s[34:35]
	v_mov_b32_e32 v6, 0
	s_and_saveexec_b64 s[34:35], s[30:31]
	s_cbranch_execnz .LBB39_688
	s_branch .LBB39_689
.LBB39_793:
	s_mov_b64 s[38:39], -1
	s_mov_b64 s[30:31], s[0:1]
	s_branch .LBB39_797
.LBB39_794:
	s_andn2_saveexec_b64 s[34:35], s[34:35]
	s_cbranch_execz .LBB39_700
.LBB39_795:
	s_mov_b32 s39, 0x42800000
	v_add_f32_e64 v3, |v2|, s39
	v_and_b32_e32 v3, 0xff, v3
	v_cmp_ne_u32_e32 vcc, 0, v3
	s_andn2_b64 s[30:31], s[30:31], exec
	s_and_b64 s[40:41], vcc, exec
	s_or_b64 s[30:31], s[30:31], s[40:41]
	s_or_b64 exec, exec, s[34:35]
	v_mov_b32_e32 v6, 0
	s_and_saveexec_b64 s[34:35], s[30:31]
	s_cbranch_execnz .LBB39_701
	s_branch .LBB39_702
.LBB39_796:
	s_mov_b64 s[30:31], -1
.LBB39_797:
                                        ; implicit-def: $vgpr2_vgpr3
.LBB39_798:
	s_and_b64 vcc, exec, s[38:39]
	s_cbranch_vccz .LBB39_802
; %bb.799:
	s_cmp_eq_u32 s43, 44
	s_cbranch_scc0 .LBB39_801
; %bb.800:
	global_load_ubyte v4, v[0:1], off
	s_movk_i32 s36, 0xff
	v_bfrev_b32_e32 v5, 4
	v_mov_b32_e32 v6, 0x7ff80000
	v_bfrev_b32_e32 v7, 28
	s_mov_b64 s[30:31], 0
	s_waitcnt vmcnt(0)
	v_lshlrev_b32_e32 v2, 23, v4
	v_cvt_f64_f32_e32 v[2:3], v2
	v_cmp_ne_u32_e32 vcc, s36, v4
	s_mov_b64 s[36:37], -1
	v_cndmask_b32_e32 v2, v5, v2, vcc
	v_cndmask_b32_e32 v3, v6, v3, vcc
	v_cmp_ne_u32_e32 vcc, 0, v4
	v_cndmask_b32_e32 v3, v7, v3, vcc
	v_cndmask_b32_e32 v2, 0, v2, vcc
	s_branch .LBB39_802
.LBB39_801:
	s_mov_b64 s[30:31], -1
                                        ; implicit-def: $vgpr2_vgpr3
.LBB39_802:
	s_mov_b64 s[38:39], 0
.LBB39_803:
	s_and_b64 vcc, exec, s[38:39]
	s_cbranch_vccz .LBB39_807
; %bb.804:
	s_cmp_eq_u32 s43, 29
	s_cbranch_scc0 .LBB39_806
; %bb.805:
	global_load_dwordx2 v[2:3], v[0:1], off
	s_mov_b64 s[30:31], 0
	s_mov_b64 s[36:37], -1
	s_mov_b64 s[38:39], 0
	s_waitcnt vmcnt(0)
	v_cvt_f64_u32_e32 v[3:4], v3
	v_cvt_f64_u32_e32 v[5:6], v2
	v_ldexp_f64 v[3:4], v[3:4], 32
	v_add_f64 v[2:3], v[3:4], v[5:6]
	s_branch .LBB39_808
.LBB39_806:
	s_mov_b64 s[30:31], -1
                                        ; implicit-def: $vgpr2_vgpr3
.LBB39_807:
	s_mov_b64 s[38:39], 0
.LBB39_808:
	s_and_b64 vcc, exec, s[38:39]
	s_cbranch_vccz .LBB39_828
; %bb.809:
	s_cmp_lt_i32 s43, 27
	s_cbranch_scc1 .LBB39_812
; %bb.810:
	s_cmp_gt_i32 s43, 27
	s_cbranch_scc0 .LBB39_813
; %bb.811:
	global_load_dword v2, v[0:1], off
	s_mov_b64 s[36:37], 0
	s_waitcnt vmcnt(0)
	v_cvt_f64_u32_e32 v[2:3], v2
	s_branch .LBB39_814
.LBB39_812:
	s_mov_b64 s[36:37], -1
                                        ; implicit-def: $vgpr2_vgpr3
	s_branch .LBB39_817
.LBB39_813:
	s_mov_b64 s[36:37], -1
                                        ; implicit-def: $vgpr2_vgpr3
.LBB39_814:
	s_andn2_b64 vcc, exec, s[36:37]
	s_cbranch_vccnz .LBB39_816
; %bb.815:
	global_load_ushort v2, v[0:1], off
	s_waitcnt vmcnt(0)
	v_cvt_f64_u32_e32 v[2:3], v2
.LBB39_816:
	s_mov_b64 s[36:37], 0
.LBB39_817:
	s_andn2_b64 vcc, exec, s[36:37]
	s_cbranch_vccnz .LBB39_827
; %bb.818:
	global_load_ubyte v4, v[0:1], off
	s_movk_i32 s36, 0x7f
	s_waitcnt vmcnt(0)
	v_cmp_lt_i16_e32 vcc, s36, v4
	s_mov_b64 s[36:37], 0
	s_and_saveexec_b64 s[38:39], vcc
	s_xor_b64 s[38:39], exec, s[38:39]
	s_cbranch_execz .LBB39_822
; %bb.819:
	s_movk_i32 s36, 0x80
	v_cmp_eq_u16_e32 vcc, s36, v4
	s_mov_b64 s[36:37], -1
	s_and_saveexec_b64 s[40:41], vcc
; %bb.820:
	s_xor_b64 s[36:37], exec, -1
; %bb.821:
	s_or_b64 exec, exec, s[40:41]
	s_and_b64 s[36:37], s[36:37], exec
.LBB39_822:
	s_or_saveexec_b64 s[38:39], s[38:39]
	v_bfrev_b32_e32 v2, 4
	v_mov_b32_e32 v3, 0x7ff80000
	s_xor_b64 exec, exec, s[38:39]
; %bb.823:
	v_cmp_ne_u16_e32 vcc, 0, v4
	v_mov_b32_e32 v2, 0
	s_andn2_b64 s[36:37], s[36:37], exec
	s_and_b64 s[40:41], vcc, exec
	v_mov_b32_e32 v3, 0
	s_or_b64 s[36:37], s[36:37], s[40:41]
; %bb.824:
	s_or_b64 exec, exec, s[38:39]
	s_and_saveexec_b64 s[38:39], s[36:37]
	s_cbranch_execz .LBB39_826
; %bb.825:
	v_and_b32_e32 v3, 0xffff, v4
	v_lshlrev_b32_e32 v2, 24, v4
	v_and_b32_e32 v4, 7, v3
	v_ffbh_u32_e32 v6, v4
	v_min_u32_e32 v6, 32, v6
	v_subrev_u32_e32 v7, 28, v6
	v_bfe_u32 v5, v3, 3, 4
	v_lshlrev_b32_e32 v3, v7, v3
	v_sub_u32_e32 v6, 29, v6
	v_and_b32_e32 v3, 7, v3
	v_cmp_eq_u32_e32 vcc, 0, v5
	v_cndmask_b32_e32 v5, v5, v6, vcc
	v_cndmask_b32_e32 v3, v4, v3, vcc
	v_mov_b32_e32 v4, 0x3b800000
	v_lshlrev_b32_e32 v3, 20, v3
	v_and_b32_e32 v2, 0x80000000, v2
	v_lshl_add_u32 v4, v5, 23, v4
	v_or3_b32 v2, v2, v4, v3
	v_cvt_f64_f32_e32 v[2:3], v2
.LBB39_826:
	s_or_b64 exec, exec, s[38:39]
.LBB39_827:
	s_mov_b64 s[36:37], -1
.LBB39_828:
	s_mov_b64 s[38:39], 0
.LBB39_829:
	s_and_b64 vcc, exec, s[38:39]
	s_cbranch_vccz .LBB39_860
; %bb.830:
	s_cmp_gt_i32 s43, 22
	s_cbranch_scc0 .LBB39_842
; %bb.831:
	s_cmp_lt_i32 s43, 24
	s_cbranch_scc1 .LBB39_843
; %bb.832:
	s_cmp_gt_i32 s43, 24
	s_cbranch_scc0 .LBB39_844
; %bb.833:
	global_load_ubyte v4, v[0:1], off
	s_movk_i32 s34, 0x7f
	s_waitcnt vmcnt(0)
	v_cmp_lt_i16_e32 vcc, s34, v4
	s_mov_b64 s[34:35], 0
	s_and_saveexec_b64 s[36:37], vcc
	s_xor_b64 s[36:37], exec, s[36:37]
	s_cbranch_execz .LBB39_837
; %bb.834:
	s_movk_i32 s34, 0x80
	v_cmp_eq_u16_e32 vcc, s34, v4
	s_mov_b64 s[34:35], -1
	s_and_saveexec_b64 s[38:39], vcc
; %bb.835:
	s_xor_b64 s[34:35], exec, -1
; %bb.836:
	s_or_b64 exec, exec, s[38:39]
	s_and_b64 s[34:35], s[34:35], exec
.LBB39_837:
	s_or_saveexec_b64 s[36:37], s[36:37]
	v_bfrev_b32_e32 v2, 4
	v_mov_b32_e32 v3, 0x7ff80000
	s_xor_b64 exec, exec, s[36:37]
; %bb.838:
	v_cmp_ne_u16_e32 vcc, 0, v4
	v_mov_b32_e32 v2, 0
	s_andn2_b64 s[34:35], s[34:35], exec
	s_and_b64 s[38:39], vcc, exec
	v_mov_b32_e32 v3, 0
	s_or_b64 s[34:35], s[34:35], s[38:39]
; %bb.839:
	s_or_b64 exec, exec, s[36:37]
	s_and_saveexec_b64 s[36:37], s[34:35]
	s_cbranch_execz .LBB39_841
; %bb.840:
	v_and_b32_e32 v3, 0xffff, v4
	v_lshlrev_b32_e32 v2, 24, v4
	v_and_b32_e32 v4, 3, v3
	v_ffbh_u32_e32 v6, v4
	v_min_u32_e32 v6, 32, v6
	v_subrev_u32_e32 v7, 29, v6
	v_bfe_u32 v5, v3, 2, 5
	v_lshlrev_b32_e32 v3, v7, v3
	v_sub_u32_e32 v6, 30, v6
	v_and_b32_e32 v3, 3, v3
	v_cmp_eq_u32_e32 vcc, 0, v5
	v_cndmask_b32_e32 v5, v5, v6, vcc
	v_cndmask_b32_e32 v3, v4, v3, vcc
	v_mov_b32_e32 v4, 0x37800000
	v_lshlrev_b32_e32 v3, 21, v3
	v_and_b32_e32 v2, 0x80000000, v2
	v_lshl_add_u32 v4, v5, 23, v4
	v_or3_b32 v2, v2, v4, v3
	v_cvt_f64_f32_e32 v[2:3], v2
.LBB39_841:
	s_or_b64 exec, exec, s[36:37]
	s_mov_b64 s[34:35], 0
	s_branch .LBB39_845
.LBB39_842:
	s_mov_b64 s[34:35], -1
                                        ; implicit-def: $vgpr2_vgpr3
	s_branch .LBB39_851
.LBB39_843:
	s_mov_b64 s[34:35], -1
                                        ; implicit-def: $vgpr2_vgpr3
	s_branch .LBB39_848
.LBB39_844:
	s_mov_b64 s[34:35], -1
                                        ; implicit-def: $vgpr2_vgpr3
.LBB39_845:
	s_and_b64 vcc, exec, s[34:35]
	s_cbranch_vccz .LBB39_847
; %bb.846:
	global_load_ubyte v2, v[0:1], off
	s_mov_b32 s34, 0x7f800000
	s_waitcnt vmcnt(0)
	v_lshlrev_b32_e32 v2, 24, v2
	v_and_b32_e32 v3, 0x7f000000, v2
	v_ffbh_u32_e32 v4, v3
	v_min_u32_e32 v4, 32, v4
	v_sub_u32_e64 v4, v4, 4 clamp
	v_lshlrev_b32_e32 v6, v4, v3
	v_lshlrev_b32_e32 v4, 23, v4
	v_lshrrev_b32_e32 v6, 4, v6
	v_add_u32_e32 v5, 0x1000000, v3
	v_sub_u32_e32 v4, v6, v4
	v_ashrrev_i32_e32 v5, 8, v5
	v_add_u32_e32 v4, 0x3c000000, v4
	v_and_or_b32 v4, v5, s34, v4
	v_cmp_ne_u32_e32 vcc, 0, v3
	v_cndmask_b32_e32 v3, 0, v4, vcc
	s_brev_b32 s34, 1
	v_and_or_b32 v2, v2, s34, v3
	v_cvt_f64_f32_e32 v[2:3], v2
.LBB39_847:
	s_mov_b64 s[34:35], 0
.LBB39_848:
	s_andn2_b64 vcc, exec, s[34:35]
	s_cbranch_vccnz .LBB39_850
; %bb.849:
	global_load_ubyte v2, v[0:1], off
	s_movk_i32 s34, 0x7f00
	s_brev_b32 s35, 16
	s_waitcnt vmcnt(0)
	v_lshlrev_b16_e32 v3, 8, v2
	v_lshlrev_b32_e32 v2, 25, v2
	v_lshrrev_b32_e32 v4, 4, v2
	v_and_or_b32 v5, v3, s34, 0.5
	v_or_b32_e32 v4, 0x70000000, v4
	v_add_f32_e32 v5, -0.5, v5
	v_mul_f32_e32 v4, 0x7800000, v4
	v_cmp_gt_u32_e32 vcc, s35, v2
	v_bfe_i32 v3, v3, 0, 16
	v_cndmask_b32_e32 v2, v4, v5, vcc
	s_brev_b32 s34, 1
	v_and_or_b32 v2, v3, s34, v2
	v_cvt_f64_f32_e32 v[2:3], v2
.LBB39_850:
	s_mov_b64 s[34:35], 0
	s_mov_b64 s[36:37], -1
.LBB39_851:
	s_andn2_b64 vcc, exec, s[34:35]
	s_mov_b64 s[34:35], 0
	s_cbranch_vccnz .LBB39_860
; %bb.852:
	s_cmp_gt_i32 s43, 14
	s_cbranch_scc0 .LBB39_855
; %bb.853:
	s_cmp_eq_u32 s43, 15
	s_cbranch_scc0 .LBB39_856
; %bb.854:
	global_load_ushort v2, v[0:1], off
	s_mov_b64 s[30:31], 0
	s_mov_b64 s[36:37], -1
	s_waitcnt vmcnt(0)
	v_lshlrev_b32_e32 v2, 16, v2
	v_cvt_f64_f32_e32 v[2:3], v2
	s_branch .LBB39_857
.LBB39_855:
	s_mov_b64 s[38:39], -1
                                        ; implicit-def: $vgpr2_vgpr3
	s_branch .LBB39_858
.LBB39_856:
	s_mov_b64 s[30:31], -1
                                        ; implicit-def: $vgpr2_vgpr3
.LBB39_857:
	s_mov_b64 s[38:39], 0
.LBB39_858:
	s_and_b64 vcc, exec, s[38:39]
	s_cbranch_vccz .LBB39_860
; %bb.859:
	s_cmp_lg_u32 s43, 11
	s_cselect_b64 s[38:39], -1, 0
	s_andn2_b64 s[30:31], s[30:31], exec
	s_and_b64 s[38:39], s[38:39], exec
	s_mov_b64 s[34:35], -1
	s_or_b64 s[30:31], s[30:31], s[38:39]
.LBB39_860:
	s_mov_b64 s[38:39], 0
.LBB39_861:
	s_and_b64 s[40:41], s[38:39], exec
	s_andn2_b64 s[38:39], s[0:1], exec
	s_and_b64 s[30:31], s[30:31], exec
	s_and_b64 s[36:37], s[36:37], exec
	;; [unrolled: 1-line block ×3, first 2 shown]
	s_or_b64 s[38:39], s[38:39], s[30:31]
.LBB39_862:
	s_or_b64 exec, exec, s[26:27]
	s_and_b64 s[30:31], s[34:35], exec
	s_andn2_b64 s[0:1], s[0:1], exec
	s_and_b64 s[34:35], s[38:39], exec
	s_and_b64 s[36:37], s[36:37], exec
	;; [unrolled: 1-line block ×3, first 2 shown]
	s_or_b64 s[0:1], s[0:1], s[34:35]
.LBB39_863:
	s_or_b64 exec, exec, s[24:25]
	s_andn2_b64 s[20:21], s[20:21], exec
	s_and_b64 s[24:25], s[28:29], exec
	s_andn2_b64 s[18:19], s[18:19], exec
	s_and_b64 s[0:1], s[0:1], exec
	s_or_b64 s[20:21], s[20:21], s[24:25]
	s_and_b64 s[28:29], s[36:37], exec
	s_and_b64 s[26:27], s[26:27], exec
	;; [unrolled: 1-line block ×3, first 2 shown]
	s_or_b64 s[18:19], s[18:19], s[0:1]
.LBB39_864:
	s_or_b64 exec, exec, s[22:23]
	s_andn2_b64 s[0:1], s[6:7], exec
	s_and_b64 s[6:7], s[20:21], exec
	s_andn2_b64 s[14:15], s[14:15], exec
	s_and_b64 s[18:19], s[18:19], exec
	s_or_b64 s[6:7], s[0:1], s[6:7]
	s_and_b64 s[0:1], s[28:29], exec
	s_and_b64 s[22:23], s[26:27], exec
	;; [unrolled: 1-line block ×3, first 2 shown]
	s_or_b64 s[14:15], s[14:15], s[18:19]
	s_or_b64 exec, exec, s[16:17]
	s_mov_b64 s[16:17], 0
	s_and_saveexec_b64 s[18:19], s[14:15]
	s_cbranch_execz .LBB39_264
.LBB39_865:
	s_mov_b64 s[16:17], exec
	s_andn2_b64 s[20:21], s[20:21], exec
	s_trap 2
	s_or_b64 exec, exec, s[18:19]
	s_and_saveexec_b64 s[14:15], s[20:21]
	s_xor_b64 s[14:15], exec, s[14:15]
	s_cbranch_execnz .LBB39_265
.LBB39_866:
	s_or_b64 exec, exec, s[14:15]
	s_and_saveexec_b64 s[14:15], s[22:23]
	s_cbranch_execz .LBB39_912
.LBB39_867:
	s_sext_i32_i16 s18, s42
	s_cmp_lt_i32 s18, 5
	s_cbranch_scc1 .LBB39_872
; %bb.868:
	s_cmp_lt_i32 s18, 8
	s_cbranch_scc1 .LBB39_873
; %bb.869:
	s_cmp_lt_i32 s18, 9
	s_cbranch_scc1 .LBB39_874
; %bb.870:
	s_cmp_gt_i32 s18, 9
	s_cbranch_scc0 .LBB39_875
; %bb.871:
	global_load_dwordx2 v[2:3], v[0:1], off
	s_mov_b64 s[18:19], 0
	s_branch .LBB39_876
.LBB39_872:
                                        ; implicit-def: $vgpr2_vgpr3
	s_branch .LBB39_893
.LBB39_873:
                                        ; implicit-def: $vgpr2_vgpr3
	s_branch .LBB39_882
.LBB39_874:
	s_mov_b64 s[18:19], -1
                                        ; implicit-def: $vgpr2_vgpr3
	s_branch .LBB39_879
.LBB39_875:
	s_mov_b64 s[18:19], -1
                                        ; implicit-def: $vgpr2_vgpr3
.LBB39_876:
	s_andn2_b64 vcc, exec, s[18:19]
	s_cbranch_vccnz .LBB39_878
; %bb.877:
	global_load_dword v2, v[0:1], off
	s_waitcnt vmcnt(0)
	v_cvt_f64_f32_e32 v[2:3], v2
.LBB39_878:
	s_mov_b64 s[18:19], 0
.LBB39_879:
	s_andn2_b64 vcc, exec, s[18:19]
	s_cbranch_vccnz .LBB39_881
; %bb.880:
	global_load_dword v2, v[0:1], off
	s_waitcnt vmcnt(0)
	v_cvt_f32_f16_e32 v2, v2
	v_cvt_f64_f32_e32 v[2:3], v2
.LBB39_881:
	s_cbranch_execnz .LBB39_892
.LBB39_882:
	s_sext_i32_i16 s18, s42
	s_cmp_lt_i32 s18, 6
	s_cbranch_scc1 .LBB39_885
; %bb.883:
	s_cmp_gt_i32 s18, 6
	s_cbranch_scc0 .LBB39_886
; %bb.884:
	global_load_dwordx2 v[2:3], v[0:1], off
	s_mov_b64 s[18:19], 0
	s_branch .LBB39_887
.LBB39_885:
	s_mov_b64 s[18:19], -1
                                        ; implicit-def: $vgpr2_vgpr3
	s_branch .LBB39_890
.LBB39_886:
	s_mov_b64 s[18:19], -1
                                        ; implicit-def: $vgpr2_vgpr3
.LBB39_887:
	s_andn2_b64 vcc, exec, s[18:19]
	s_cbranch_vccnz .LBB39_889
; %bb.888:
	global_load_dword v2, v[0:1], off
	s_waitcnt vmcnt(0)
	v_cvt_f64_f32_e32 v[2:3], v2
.LBB39_889:
	s_mov_b64 s[18:19], 0
.LBB39_890:
	s_andn2_b64 vcc, exec, s[18:19]
	s_cbranch_vccnz .LBB39_892
; %bb.891:
	global_load_ushort v2, v[0:1], off
	s_waitcnt vmcnt(0)
	v_cvt_f32_f16_e32 v2, v2
	v_cvt_f64_f32_e32 v[2:3], v2
.LBB39_892:
	s_cbranch_execnz .LBB39_911
.LBB39_893:
	s_sext_i32_i16 s18, s42
	s_cmp_lt_i32 s18, 2
	s_cbranch_scc1 .LBB39_897
; %bb.894:
	s_cmp_lt_i32 s18, 3
	s_cbranch_scc1 .LBB39_898
; %bb.895:
	s_cmp_gt_i32 s18, 3
	s_cbranch_scc0 .LBB39_899
; %bb.896:
	global_load_dwordx2 v[2:3], v[0:1], off
	s_mov_b64 s[18:19], 0
	s_waitcnt vmcnt(0)
	v_cvt_f64_i32_e32 v[3:4], v3
	v_cvt_f64_u32_e32 v[5:6], v2
	v_ldexp_f64 v[3:4], v[3:4], 32
	v_add_f64 v[2:3], v[3:4], v[5:6]
	s_branch .LBB39_900
.LBB39_897:
                                        ; implicit-def: $vgpr2_vgpr3
	s_branch .LBB39_906
.LBB39_898:
	s_mov_b64 s[18:19], -1
                                        ; implicit-def: $vgpr2_vgpr3
	s_branch .LBB39_903
.LBB39_899:
	s_mov_b64 s[18:19], -1
                                        ; implicit-def: $vgpr2_vgpr3
.LBB39_900:
	s_andn2_b64 vcc, exec, s[18:19]
	s_cbranch_vccnz .LBB39_902
; %bb.901:
	global_load_dword v2, v[0:1], off
	s_waitcnt vmcnt(0)
	v_cvt_f64_i32_e32 v[2:3], v2
.LBB39_902:
	s_mov_b64 s[18:19], 0
.LBB39_903:
	s_andn2_b64 vcc, exec, s[18:19]
	s_cbranch_vccnz .LBB39_905
; %bb.904:
	global_load_sshort v2, v[0:1], off
	s_waitcnt vmcnt(0)
	v_cvt_f64_i32_e32 v[2:3], v2
.LBB39_905:
	s_cbranch_execnz .LBB39_911
.LBB39_906:
	s_sext_i32_i16 s18, s42
	s_cmp_gt_i32 s18, 0
	s_cbranch_scc0 .LBB39_908
; %bb.907:
	global_load_sbyte v2, v[0:1], off
	s_mov_b64 s[18:19], 0
	s_waitcnt vmcnt(0)
	v_cvt_f64_i32_e32 v[2:3], v2
	s_branch .LBB39_909
.LBB39_908:
	s_mov_b64 s[18:19], -1
                                        ; implicit-def: $vgpr2_vgpr3
.LBB39_909:
	s_andn2_b64 vcc, exec, s[18:19]
	s_cbranch_vccnz .LBB39_911
; %bb.910:
	global_load_ubyte v0, v[0:1], off
	s_waitcnt vmcnt(0)
	v_cvt_f64_u32_e32 v[2:3], v0
.LBB39_911:
	s_or_b64 s[0:1], s[0:1], exec
.LBB39_912:
	s_or_b64 exec, exec, s[14:15]
	s_mov_b64 s[20:21], 0
	s_mov_b64 s[18:19], 0
                                        ; implicit-def: $sgpr26
                                        ; implicit-def: $vgpr4_vgpr5
                                        ; implicit-def: $vgpr0_vgpr1
	s_and_saveexec_b64 s[14:15], s[0:1]
	s_cbranch_execz .LBB39_922
; %bb.913:
	s_waitcnt vmcnt(0)
	v_fma_f64 v[4:5], |v[2:3]|, -0.5, 0.5
	v_mul_f64 v[0:1], v[2:3], v[2:3]
	v_cmp_ge_f64_e64 vcc, |v[2:3]|, 0.5
	s_mov_b32 s0, 0x9fea6a70
	v_mov_b32_e32 v6, 0x78a05eaf
	v_mov_b32_e32 v7, 0xbf90a5a3
	s_mov_b32 s1, 0x3fa05985
	v_cndmask_b32_e32 v1, v1, v5, vcc
	v_cndmask_b32_e32 v0, v0, v4, vcc
	v_fma_f64 v[6:7], v[0:1], s[0:1], v[6:7]
	s_mov_b32 s0, 0x37024d6a
	s_mov_b32 s1, 0x3f940521
	v_fma_f64 v[6:7], v[0:1], v[6:7], s[0:1]
	s_mov_b32 s0, 0x98a70509
	s_mov_b32 s1, 0x3f7ab3a0
	;; [unrolled: 3-line block ×10, first 2 shown]
	v_fma_f64 v[6:7], v[0:1], v[6:7], s[0:1]
	v_mul_f64 v[6:7], v[0:1], v[6:7]
	v_fma_f64 v[0:1], |v[2:3]|, v[6:7], |v[2:3]|
	s_and_saveexec_b64 s[0:1], vcc
	s_cbranch_execz .LBB39_915
; %bb.914:
	v_rsq_f64_e32 v[0:1], v[4:5]
	v_cmp_eq_f64_e32 vcc, 0, v[4:5]
	s_mov_b32 s18, 0x54442d18
	s_mov_b32 s19, 0x3fe921fb
	v_mul_f64 v[8:9], v[4:5], v[0:1]
	v_mul_f64 v[0:1], v[0:1], 0.5
	v_fma_f64 v[10:11], -v[0:1], v[8:9], 0.5
	v_fma_f64 v[8:9], v[8:9], v[10:11], v[8:9]
	v_fma_f64 v[0:1], v[0:1], v[10:11], v[0:1]
	v_fma_f64 v[10:11], -v[8:9], v[8:9], v[4:5]
	v_fma_f64 v[0:1], v[10:11], v[0:1], v[8:9]
	v_cndmask_b32_e32 v1, v1, v5, vcc
	v_cndmask_b32_e32 v0, v0, v4, vcc
	v_add_f64 v[8:9], v[0:1], v[0:1]
	v_mul_f64 v[10:11], v[0:1], v[0:1]
	v_rcp_f64_e32 v[12:13], v[8:9]
	v_add_f64 v[14:15], v[4:5], -v[10:11]
	v_fma_f64 v[18:19], v[0:1], v[0:1], -v[10:11]
	v_add_f64 v[4:5], v[4:5], -v[14:15]
	v_fma_f64 v[16:17], -v[8:9], v[12:13], 1.0
	v_add_f64 v[4:5], v[4:5], -v[10:11]
	v_fma_f64 v[10:11], v[16:17], v[12:13], v[12:13]
	v_add_f64 v[4:5], v[4:5], -v[18:19]
	v_fma_f64 v[12:13], -v[8:9], v[10:11], 1.0
	v_add_f64 v[4:5], v[14:15], v[4:5]
	v_fma_f64 v[10:11], v[12:13], v[10:11], v[10:11]
	v_mul_f64 v[12:13], v[4:5], v[10:11]
	v_fma_f64 v[4:5], -v[8:9], v[12:13], v[4:5]
	v_fma_f64 v[4:5], v[4:5], v[10:11], v[12:13]
	v_cndmask_b32_e64 v5, v5, 0, vcc
	v_cndmask_b32_e64 v4, v4, 0, vcc
	v_add_f64 v[8:9], v[0:1], v[4:5]
	v_cmp_neq_f64_e64 vcc, |v[2:3]|, 1.0
	v_mov_b32_e32 v2, 0x54442d18
	v_add_f64 v[0:1], v[8:9], -v[0:1]
	v_mul_f64 v[10:11], v[6:7], v[8:9]
	v_add_f64 v[0:1], v[4:5], -v[0:1]
	v_fma_f64 v[4:5], v[8:9], v[6:7], -v[10:11]
	v_fma_f64 v[4:5], v[0:1], v[6:7], v[4:5]
	v_add_f64 v[6:7], v[10:11], v[4:5]
	v_add_f64 v[12:13], v[8:9], v[6:7]
	v_add_f64 v[10:11], v[6:7], -v[10:11]
	v_add_f64 v[8:9], v[12:13], -v[8:9]
	;; [unrolled: 1-line block ×4, first 2 shown]
	v_add_f64 v[0:1], v[0:1], v[4:5]
	v_add_f64 v[0:1], v[0:1], v[6:7]
	;; [unrolled: 1-line block ×3, first 2 shown]
	v_add_f64 v[6:7], -v[4:5], s[18:19]
	v_add_f64 v[10:11], v[4:5], -v[12:13]
	v_add_f64 v[8:9], -v[6:7], s[18:19]
	s_mov_b32 s18, 0x33145c07
	s_mov_b32 s19, 0x3c81a626
	v_add_f64 v[0:1], v[10:11], -v[0:1]
	v_add_f64 v[4:5], v[8:9], -v[4:5]
	v_add_f64 v[4:5], v[4:5], s[18:19]
	v_add_f64 v[0:1], v[0:1], v[4:5]
	v_mov_b32_e32 v4, 0x3ff921fb
	v_add_f64 v[0:1], v[6:7], v[0:1]
	v_add_f64 v[0:1], v[0:1], v[0:1]
	v_cndmask_b32_e32 v1, v4, v1, vcc
	v_cndmask_b32_e32 v0, v2, v0, vcc
.LBB39_915:
	s_or_b64 exec, exec, s[0:1]
	v_mul_lo_u32 v2, v20, s2
	s_brev_b32 s0, -2
	v_mov_b32_e32 v5, s9
	v_bfi_b32 v1, s0, v1, v3
	v_ashrrev_i32_e32 v3, 31, v2
	s_and_b32 s26, s33, 0xff
	v_add_co_u32_e32 v4, vcc, s8, v2
	s_cmp_lt_i32 s26, 11
	v_addc_co_u32_e32 v5, vcc, v5, v3, vcc
	s_cbranch_scc1 .LBB39_925
; %bb.916:
	s_and_b32 s27, 0xffff, s26
	s_mov_b64 s[20:21], -1
	s_cmp_gt_i32 s27, 25
	s_mov_b64 s[0:1], s[6:7]
	s_cbranch_scc0 .LBB39_953
; %bb.917:
	s_mov_b64 s[18:19], -1
	s_cmp_gt_i32 s27, 28
	s_mov_b64 s[0:1], s[6:7]
	s_cbranch_scc0 .LBB39_937
; %bb.918:
	s_cmp_gt_i32 s27, 43
	s_mov_b64 s[0:1], s[6:7]
	s_cbranch_scc0 .LBB39_933
; %bb.919:
	;; [unrolled: 4-line block ×3, first 2 shown]
	s_cmp_eq_u32 s27, 46
	s_mov_b64 s[0:1], -1
	s_cbranch_scc0 .LBB39_926
; %bb.921:
	v_cvt_f32_f64_e32 v2, v[0:1]
	s_movk_i32 s0, 0x7fff
	v_mov_b32_e32 v3, 0x7fc0
	s_mov_b64 s[18:19], 0
	v_bfe_u32 v6, v2, 16, 1
	v_cmp_o_f32_e32 vcc, v2, v2
	v_add3_u32 v2, v2, v6, s0
	v_cndmask_b32_sdwa v2, v3, v2, vcc dst_sel:DWORD dst_unused:UNUSED_PAD src0_sel:DWORD src1_sel:WORD_1
	global_store_dword v[4:5], v2, off
	s_mov_b64 s[0:1], 0
	s_branch .LBB39_927
.LBB39_922:
	s_or_b64 exec, exec, s[14:15]
	s_and_saveexec_b64 s[0:1], s[6:7]
	s_cbranch_execnz .LBB39_995
.LBB39_923:
	s_or_b64 exec, exec, s[0:1]
	s_and_saveexec_b64 s[0:1], s[20:21]
	s_xor_b64 s[0:1], exec, s[0:1]
	s_cbranch_execz .LBB39_996
.LBB39_924:
	v_cmp_neq_f64_e32 vcc, 0, v[0:1]
	s_waitcnt vmcnt(0)
	v_cndmask_b32_e64 v2, 0, 1, vcc
	global_store_byte v[4:5], v2, off
	s_or_b64 exec, exec, s[0:1]
	s_and_saveexec_b64 s[0:1], s[18:19]
	s_xor_b64 s[0:1], exec, s[0:1]
	s_cbranch_execz .LBB39_1034
	s_branch .LBB39_997
.LBB39_925:
	s_mov_b64 s[18:19], -1
	s_mov_b64 s[0:1], s[6:7]
	s_branch .LBB39_994
.LBB39_926:
	s_mov_b64 s[18:19], 0
.LBB39_927:
	s_and_b64 vcc, exec, s[18:19]
	s_cbranch_vccz .LBB39_932
; %bb.928:
	s_cmp_eq_u32 s27, 44
	s_mov_b64 s[0:1], -1
	s_cbranch_scc0 .LBB39_932
; %bb.929:
	v_cvt_f32_f64_e32 v2, v[0:1]
	s_movk_i32 s0, 0xff
	v_mov_b32_e32 v6, 0xff
	v_bfe_u32 v3, v2, 23, 8
	v_cmp_ne_u32_e32 vcc, s0, v3
	s_and_saveexec_b64 s[18:19], vcc
; %bb.930:
	s_mov_b32 s0, 0x3fffff
	v_lshrrev_b32_e32 v6, 23, v2
	v_and_b32_e32 v7, 0x400000, v2
	v_and_or_b32 v2, v2, s0, v3
	v_cmp_ne_u32_e32 vcc, 0, v7
	v_cmp_ne_u32_e64 s[0:1], 0, v2
	s_and_b64 s[0:1], vcc, s[0:1]
	v_cndmask_b32_e64 v2, 0, 1, s[0:1]
	v_add_u32_e32 v6, v6, v2
; %bb.931:
	s_or_b64 exec, exec, s[18:19]
	s_mov_b64 s[0:1], 0
	global_store_byte v[4:5], v6, off
.LBB39_932:
	s_mov_b64 s[18:19], 0
.LBB39_933:
	s_and_b64 vcc, exec, s[18:19]
	s_cbranch_vccz .LBB39_936
; %bb.934:
	s_cmp_eq_u32 s27, 29
	s_mov_b64 s[0:1], -1
	s_cbranch_scc0 .LBB39_936
; %bb.935:
	v_trunc_f64_e32 v[2:3], v[0:1]
	s_movk_i32 s0, 0xffe0
	s_mov_b64 s[18:19], 0
	v_ldexp_f64 v[6:7], v[2:3], s0
	s_mov_b32 s0, 0
	s_mov_b32 s1, 0xc1f00000
	v_floor_f64_e32 v[6:7], v[6:7]
	v_fma_f64 v[2:3], v[6:7], s[0:1], v[2:3]
	v_cvt_u32_f64_e32 v7, v[6:7]
	s_mov_b64 s[0:1], 0
	v_cvt_u32_f64_e32 v6, v[2:3]
	global_store_dwordx2 v[4:5], v[6:7], off
	s_branch .LBB39_937
.LBB39_936:
	s_mov_b64 s[18:19], 0
.LBB39_937:
	s_and_b64 vcc, exec, s[18:19]
	s_cbranch_vccz .LBB39_952
; %bb.938:
	s_cmp_lt_i32 s27, 27
	s_mov_b64 s[18:19], -1
	s_cbranch_scc1 .LBB39_944
; %bb.939:
	v_cvt_u32_f64_e32 v2, v[0:1]
	s_cmp_gt_i32 s27, 27
	s_cbranch_scc0 .LBB39_941
; %bb.940:
	s_mov_b64 s[18:19], 0
	global_store_dword v[4:5], v2, off
.LBB39_941:
	s_andn2_b64 vcc, exec, s[18:19]
	s_cbranch_vccnz .LBB39_943
; %bb.942:
	global_store_short v[4:5], v2, off
.LBB39_943:
	s_mov_b64 s[18:19], 0
.LBB39_944:
	s_andn2_b64 vcc, exec, s[18:19]
	s_cbranch_vccnz .LBB39_952
; %bb.945:
	v_cvt_f32_f64_e32 v2, v[0:1]
	s_mov_b32 s18, 0x43800000
	v_mov_b32_e32 v6, 0x80
	v_and_b32_e32 v3, 0x7fffffff, v2
	v_cmp_gt_u32_e32 vcc, s18, v3
	s_and_saveexec_b64 s[18:19], vcc
	s_cbranch_execz .LBB39_951
; %bb.946:
	s_mov_b32 s20, 0x3bffffff
	v_cmp_lt_u32_e32 vcc, s20, v3
	s_mov_b64 s[20:21], 0
                                        ; implicit-def: $vgpr3
	s_and_saveexec_b64 s[22:23], vcc
	s_xor_b64 s[22:23], exec, s[22:23]
	s_cbranch_execz .LBB39_1049
; %bb.947:
	v_bfe_u32 v3, v2, 20, 1
	s_mov_b32 s24, 0x487ffff
	v_add3_u32 v3, v2, v3, s24
	s_mov_b64 s[20:21], exec
	v_lshrrev_b32_e32 v3, 20, v3
	s_andn2_saveexec_b64 s[22:23], s[22:23]
	s_cbranch_execnz .LBB39_1050
.LBB39_948:
	s_or_b64 exec, exec, s[22:23]
	v_mov_b32_e32 v6, 0
	s_and_saveexec_b64 s[22:23], s[20:21]
.LBB39_949:
	v_lshrrev_b32_e32 v2, 24, v2
	s_movk_i32 s20, 0x80
	v_and_or_b32 v6, v2, s20, v3
.LBB39_950:
	s_or_b64 exec, exec, s[22:23]
.LBB39_951:
	s_or_b64 exec, exec, s[18:19]
	global_store_byte v[4:5], v6, off
.LBB39_952:
	s_mov_b64 s[20:21], 0
.LBB39_953:
	s_mov_b64 s[18:19], 0
	s_and_b64 vcc, exec, s[20:21]
	s_cbranch_vccz .LBB39_993
; %bb.954:
	s_cmp_gt_i32 s27, 22
	s_mov_b64 s[20:21], -1
	s_cbranch_scc0 .LBB39_986
; %bb.955:
	s_cmp_lt_i32 s27, 24
	s_cbranch_scc1 .LBB39_975
; %bb.956:
	s_cmp_gt_i32 s27, 24
	s_cbranch_scc0 .LBB39_964
; %bb.957:
	v_cvt_f32_f64_e32 v2, v[0:1]
	s_mov_b32 s20, 0x47800000
	v_mov_b32_e32 v6, 0x80
	v_and_b32_e32 v3, 0x7fffffff, v2
	v_cmp_gt_u32_e32 vcc, s20, v3
	s_and_saveexec_b64 s[20:21], vcc
	s_cbranch_execz .LBB39_963
; %bb.958:
	s_mov_b32 s22, 0x37ffffff
	v_cmp_lt_u32_e32 vcc, s22, v3
	s_mov_b64 s[22:23], 0
                                        ; implicit-def: $vgpr3
	s_and_saveexec_b64 s[24:25], vcc
	s_xor_b64 s[24:25], exec, s[24:25]
	s_cbranch_execz .LBB39_1176
; %bb.959:
	v_bfe_u32 v3, v2, 21, 1
	s_mov_b32 s28, 0x88fffff
	v_add3_u32 v3, v2, v3, s28
	s_mov_b64 s[22:23], exec
	v_lshrrev_b32_e32 v3, 21, v3
	s_andn2_saveexec_b64 s[24:25], s[24:25]
	s_cbranch_execnz .LBB39_1177
.LBB39_960:
	s_or_b64 exec, exec, s[24:25]
	v_mov_b32_e32 v6, 0
	s_and_saveexec_b64 s[24:25], s[22:23]
.LBB39_961:
	v_lshrrev_b32_e32 v2, 24, v2
	s_movk_i32 s22, 0x80
	v_and_or_b32 v6, v2, s22, v3
.LBB39_962:
	s_or_b64 exec, exec, s[24:25]
.LBB39_963:
	s_or_b64 exec, exec, s[20:21]
	s_mov_b64 s[20:21], 0
	global_store_byte v[4:5], v6, off
.LBB39_964:
	s_and_b64 vcc, exec, s[20:21]
	s_cbranch_vccz .LBB39_974
; %bb.965:
	v_cvt_f32_f64_e32 v2, v[0:1]
	s_mov_b32 s20, 0x43f00000
                                        ; implicit-def: $vgpr3
	v_and_b32_e32 v6, 0x7fffffff, v2
	v_cmp_gt_u32_e32 vcc, s20, v6
	s_and_saveexec_b64 s[20:21], vcc
	s_xor_b64 s[20:21], exec, s[20:21]
	s_cbranch_execz .LBB39_971
; %bb.966:
	s_mov_b32 s22, 0x3c7fffff
	v_cmp_lt_u32_e32 vcc, s22, v6
                                        ; implicit-def: $vgpr3
	s_and_saveexec_b64 s[22:23], vcc
	s_xor_b64 s[22:23], exec, s[22:23]
; %bb.967:
	v_bfe_u32 v3, v2, 20, 1
	s_mov_b32 s24, 0x407ffff
	v_add3_u32 v3, v2, v3, s24
	v_lshrrev_b32_e32 v6, 20, v3
	v_and_b32_e32 v3, 0xff00000, v3
	s_mov_b32 s24, 0x7f00000
	v_mov_b32_e32 v7, 0x7e
	v_cmp_ne_u32_e32 vcc, s24, v3
	v_cndmask_b32_e32 v3, v7, v6, vcc
; %bb.968:
	s_andn2_saveexec_b64 s[22:23], s[22:23]
; %bb.969:
	s_mov_b32 s24, 0x46800000
	v_add_f32_e64 v3, |v2|, s24
; %bb.970:
	s_or_b64 exec, exec, s[22:23]
                                        ; implicit-def: $vgpr6
.LBB39_971:
	s_andn2_saveexec_b64 s[20:21], s[20:21]
; %bb.972:
	s_mov_b32 s22, 0x7f800000
	v_mov_b32_e32 v3, 0x7e
	v_mov_b32_e32 v7, 0x7f
	v_cmp_lt_u32_e32 vcc, s22, v6
	v_cndmask_b32_e32 v3, v3, v7, vcc
; %bb.973:
	s_or_b64 exec, exec, s[20:21]
	v_lshrrev_b32_e32 v2, 24, v2
	s_movk_i32 s20, 0x80
	v_and_or_b32 v2, v2, s20, v3
	global_store_byte v[4:5], v2, off
.LBB39_974:
	s_mov_b64 s[20:21], 0
.LBB39_975:
	s_andn2_b64 vcc, exec, s[20:21]
	s_cbranch_vccnz .LBB39_985
; %bb.976:
	v_cvt_f32_f64_e32 v2, v[0:1]
	s_mov_b32 s20, 0x47800000
                                        ; implicit-def: $vgpr3
	v_and_b32_e32 v6, 0x7fffffff, v2
	v_cmp_gt_u32_e32 vcc, s20, v6
	s_and_saveexec_b64 s[20:21], vcc
	s_xor_b64 s[20:21], exec, s[20:21]
	s_cbranch_execz .LBB39_982
; %bb.977:
	s_mov_b32 s22, 0x387fffff
	v_cmp_lt_u32_e32 vcc, s22, v6
                                        ; implicit-def: $vgpr3
	s_and_saveexec_b64 s[22:23], vcc
	s_xor_b64 s[22:23], exec, s[22:23]
; %bb.978:
	v_bfe_u32 v3, v2, 21, 1
	s_mov_b32 s24, 0x80fffff
	v_add3_u32 v3, v2, v3, s24
	v_lshrrev_b32_e32 v3, 21, v3
; %bb.979:
	s_andn2_saveexec_b64 s[22:23], s[22:23]
; %bb.980:
	s_mov_b32 s24, 0x43000000
	v_add_f32_e64 v3, |v2|, s24
; %bb.981:
	s_or_b64 exec, exec, s[22:23]
                                        ; implicit-def: $vgpr6
.LBB39_982:
	s_andn2_saveexec_b64 s[20:21], s[20:21]
; %bb.983:
	s_mov_b32 s22, 0x7f800000
	v_mov_b32_e32 v3, 0x7c
	v_mov_b32_e32 v7, 0x7f
	v_cmp_lt_u32_e32 vcc, s22, v6
	v_cndmask_b32_e32 v3, v3, v7, vcc
; %bb.984:
	s_or_b64 exec, exec, s[20:21]
	v_lshrrev_b32_e32 v2, 24, v2
	s_movk_i32 s20, 0x80
	v_and_or_b32 v2, v2, s20, v3
	global_store_byte v[4:5], v2, off
.LBB39_985:
	s_mov_b64 s[20:21], 0
.LBB39_986:
	s_andn2_b64 vcc, exec, s[20:21]
	s_mov_b64 s[20:21], 0
	s_cbranch_vccnz .LBB39_994
; %bb.987:
	s_cmp_gt_i32 s27, 14
	s_mov_b64 s[22:23], -1
	s_cbranch_scc0 .LBB39_991
; %bb.988:
	s_cmp_eq_u32 s27, 15
	s_mov_b64 s[0:1], -1
	s_cbranch_scc0 .LBB39_990
; %bb.989:
	v_cvt_f32_f64_e32 v2, v[0:1]
	s_movk_i32 s0, 0x7fff
	v_mov_b32_e32 v3, 0x7fc0
	v_bfe_u32 v6, v2, 16, 1
	v_cmp_o_f32_e32 vcc, v2, v2
	v_add3_u32 v2, v2, v6, s0
	v_cndmask_b32_sdwa v2, v3, v2, vcc dst_sel:DWORD dst_unused:UNUSED_PAD src0_sel:DWORD src1_sel:WORD_1
	global_store_short v[4:5], v2, off
	s_mov_b64 s[0:1], 0
.LBB39_990:
	s_mov_b64 s[22:23], 0
.LBB39_991:
	s_and_b64 vcc, exec, s[22:23]
	s_cbranch_vccz .LBB39_994
; %bb.992:
	s_cmp_lg_u32 s27, 11
	s_cselect_b64 s[22:23], -1, 0
	s_andn2_b64 s[0:1], s[0:1], exec
	s_and_b64 s[22:23], s[22:23], exec
	s_mov_b64 s[20:21], -1
	s_or_b64 s[0:1], s[0:1], s[22:23]
	s_branch .LBB39_994
.LBB39_993:
	s_mov_b64 s[20:21], 0
.LBB39_994:
	s_andn2_b64 s[6:7], s[6:7], exec
	s_and_b64 s[0:1], s[0:1], exec
	s_and_b64 s[18:19], s[18:19], exec
	s_and_b64 s[20:21], s[20:21], exec
	s_or_b64 s[6:7], s[6:7], s[0:1]
	s_or_b64 exec, exec, s[14:15]
	s_and_saveexec_b64 s[0:1], s[6:7]
	s_cbranch_execz .LBB39_923
.LBB39_995:
	s_or_b64 s[16:17], s[16:17], exec
	s_andn2_b64 s[20:21], s[20:21], exec
	s_trap 2
	s_or_b64 exec, exec, s[0:1]
	s_and_saveexec_b64 s[0:1], s[20:21]
	s_xor_b64 s[0:1], exec, s[0:1]
	s_cbranch_execnz .LBB39_924
.LBB39_996:
	s_or_b64 exec, exec, s[0:1]
	s_and_saveexec_b64 s[0:1], s[18:19]
	s_xor_b64 s[0:1], exec, s[0:1]
	s_cbranch_execz .LBB39_1034
.LBB39_997:
	s_sext_i32_i16 s14, s26
	s_cmp_lt_i32 s14, 5
	s_mov_b64 s[6:7], -1
	s_cbranch_scc1 .LBB39_1018
; %bb.998:
	s_cmp_lt_i32 s14, 8
	s_cbranch_scc1 .LBB39_1008
; %bb.999:
	s_cmp_lt_i32 s14, 9
	s_cbranch_scc1 .LBB39_1005
; %bb.1000:
	s_cmp_gt_i32 s14, 9
	s_cbranch_scc0 .LBB39_1002
; %bb.1001:
	s_waitcnt vmcnt(0)
	v_mov_b32_e32 v2, 0
	v_mov_b32_e32 v3, v2
	s_mov_b64 s[6:7], 0
	global_store_dwordx4 v[4:5], v[0:3], off
.LBB39_1002:
	s_andn2_b64 vcc, exec, s[6:7]
	s_cbranch_vccnz .LBB39_1004
; %bb.1003:
	s_waitcnt vmcnt(0)
	v_cvt_f32_f64_e32 v2, v[0:1]
	v_mov_b32_e32 v3, 0
	global_store_dwordx2 v[4:5], v[2:3], off
.LBB39_1004:
	s_mov_b64 s[6:7], 0
.LBB39_1005:
	s_andn2_b64 vcc, exec, s[6:7]
	s_cbranch_vccnz .LBB39_1007
; %bb.1006:
	s_movk_i32 s6, 0x1ff
	s_waitcnt vmcnt(0)
	v_and_or_b32 v2, v1, s6, v0
	v_cmp_ne_u32_e32 vcc, 0, v2
	v_cndmask_b32_e64 v2, 0, 1, vcc
	v_lshrrev_b32_e32 v3, 8, v1
	s_movk_i32 s6, 0xffe
	v_bfe_u32 v6, v1, 20, 11
	v_and_or_b32 v2, v3, s6, v2
	v_sub_u32_e32 v7, 0x3f1, v6
	v_or_b32_e32 v3, 0x1000, v2
	v_med3_i32 v7, v7, 0, 13
	v_lshrrev_b32_e32 v8, v7, v3
	v_lshlrev_b32_e32 v7, v7, v8
	v_cmp_ne_u32_e32 vcc, v7, v3
	v_cndmask_b32_e64 v3, 0, 1, vcc
	v_add_u32_e32 v6, 0xfffffc10, v6
	v_or_b32_e32 v3, v8, v3
	v_lshl_or_b32 v7, v6, 12, v2
	v_cmp_gt_i32_e32 vcc, 1, v6
	v_cndmask_b32_e32 v3, v7, v3, vcc
	v_and_b32_e32 v7, 7, v3
	v_cmp_lt_i32_e32 vcc, 5, v7
	v_cndmask_b32_e64 v8, 0, 1, vcc
	v_cmp_eq_u32_e32 vcc, 3, v7
	v_cndmask_b32_e64 v7, 0, 1, vcc
	v_or_b32_e32 v7, v7, v8
	v_lshrrev_b32_e32 v3, 2, v3
	v_add_u32_e32 v3, v3, v7
	v_mov_b32_e32 v7, 0x7c00
	v_cmp_gt_i32_e32 vcc, 31, v6
	v_cndmask_b32_e32 v3, v7, v3, vcc
	v_mov_b32_e32 v8, 0x7e00
	v_cmp_ne_u32_e32 vcc, 0, v2
	s_movk_i32 s6, 0x40f
	v_cndmask_b32_e32 v2, v7, v8, vcc
	v_cmp_eq_u32_e32 vcc, s6, v6
	v_cndmask_b32_e32 v2, v3, v2, vcc
	v_lshrrev_b32_e32 v3, 16, v1
	s_mov_b32 s6, 0x8000
	v_and_or_b32 v2, v3, s6, v2
	v_and_b32_e32 v2, 0xffff, v2
	global_store_dword v[4:5], v2, off
.LBB39_1007:
	s_mov_b64 s[6:7], 0
.LBB39_1008:
	s_andn2_b64 vcc, exec, s[6:7]
	s_cbranch_vccnz .LBB39_1017
; %bb.1009:
	s_sext_i32_i16 s14, s26
	s_cmp_lt_i32 s14, 6
	s_mov_b64 s[6:7], -1
	s_cbranch_scc1 .LBB39_1015
; %bb.1010:
	s_cmp_gt_i32 s14, 6
	s_cbranch_scc0 .LBB39_1012
; %bb.1011:
	s_mov_b64 s[6:7], 0
	global_store_dwordx2 v[4:5], v[0:1], off
.LBB39_1012:
	s_andn2_b64 vcc, exec, s[6:7]
	s_cbranch_vccnz .LBB39_1014
; %bb.1013:
	s_waitcnt vmcnt(0)
	v_cvt_f32_f64_e32 v2, v[0:1]
	global_store_dword v[4:5], v2, off
.LBB39_1014:
	s_mov_b64 s[6:7], 0
.LBB39_1015:
	s_andn2_b64 vcc, exec, s[6:7]
	s_cbranch_vccnz .LBB39_1017
; %bb.1016:
	s_movk_i32 s6, 0x1ff
	s_waitcnt vmcnt(0)
	v_and_or_b32 v2, v1, s6, v0
	v_cmp_ne_u32_e32 vcc, 0, v2
	v_cndmask_b32_e64 v2, 0, 1, vcc
	v_lshrrev_b32_e32 v3, 8, v1
	s_movk_i32 s6, 0xffe
	v_bfe_u32 v6, v1, 20, 11
	v_and_or_b32 v2, v3, s6, v2
	v_sub_u32_e32 v7, 0x3f1, v6
	v_or_b32_e32 v3, 0x1000, v2
	v_med3_i32 v7, v7, 0, 13
	v_lshrrev_b32_e32 v8, v7, v3
	v_lshlrev_b32_e32 v7, v7, v8
	v_cmp_ne_u32_e32 vcc, v7, v3
	v_cndmask_b32_e64 v3, 0, 1, vcc
	v_add_u32_e32 v6, 0xfffffc10, v6
	v_or_b32_e32 v3, v8, v3
	v_lshl_or_b32 v7, v6, 12, v2
	v_cmp_gt_i32_e32 vcc, 1, v6
	v_cndmask_b32_e32 v3, v7, v3, vcc
	v_and_b32_e32 v7, 7, v3
	v_cmp_lt_i32_e32 vcc, 5, v7
	v_cndmask_b32_e64 v8, 0, 1, vcc
	v_cmp_eq_u32_e32 vcc, 3, v7
	v_cndmask_b32_e64 v7, 0, 1, vcc
	v_or_b32_e32 v7, v7, v8
	v_lshrrev_b32_e32 v3, 2, v3
	v_add_u32_e32 v3, v3, v7
	v_mov_b32_e32 v7, 0x7c00
	v_cmp_gt_i32_e32 vcc, 31, v6
	v_cndmask_b32_e32 v3, v7, v3, vcc
	v_mov_b32_e32 v8, 0x7e00
	v_cmp_ne_u32_e32 vcc, 0, v2
	s_movk_i32 s6, 0x40f
	v_cndmask_b32_e32 v2, v7, v8, vcc
	v_cmp_eq_u32_e32 vcc, s6, v6
	v_cndmask_b32_e32 v2, v3, v2, vcc
	v_lshrrev_b32_e32 v3, 16, v1
	s_mov_b32 s6, 0x8000
	v_and_or_b32 v2, v3, s6, v2
	global_store_short v[4:5], v2, off
.LBB39_1017:
	s_mov_b64 s[6:7], 0
.LBB39_1018:
	s_andn2_b64 vcc, exec, s[6:7]
	s_cbranch_vccnz .LBB39_1034
; %bb.1019:
	s_sext_i32_i16 s14, s26
	s_cmp_lt_i32 s14, 2
	s_mov_b64 s[6:7], -1
	s_cbranch_scc1 .LBB39_1029
; %bb.1020:
	s_cmp_lt_i32 s14, 3
	s_cbranch_scc1 .LBB39_1026
; %bb.1021:
	s_cmp_gt_i32 s14, 3
	s_cbranch_scc0 .LBB39_1023
; %bb.1022:
	s_waitcnt vmcnt(0)
	v_trunc_f64_e32 v[2:3], v[0:1]
	s_movk_i32 s6, 0xffe0
	v_ldexp_f64 v[6:7], v[2:3], s6
	s_mov_b32 s6, 0
	s_mov_b32 s7, 0xc1f00000
	v_floor_f64_e32 v[6:7], v[6:7]
	v_fma_f64 v[2:3], v[6:7], s[6:7], v[2:3]
	v_cvt_i32_f64_e32 v7, v[6:7]
	s_mov_b64 s[6:7], 0
	v_cvt_u32_f64_e32 v6, v[2:3]
	global_store_dwordx2 v[4:5], v[6:7], off
.LBB39_1023:
	s_andn2_b64 vcc, exec, s[6:7]
	s_cbranch_vccnz .LBB39_1025
; %bb.1024:
	s_waitcnt vmcnt(0)
	v_cvt_i32_f64_e32 v2, v[0:1]
	global_store_dword v[4:5], v2, off
.LBB39_1025:
	s_mov_b64 s[6:7], 0
.LBB39_1026:
	s_andn2_b64 vcc, exec, s[6:7]
	s_cbranch_vccnz .LBB39_1028
; %bb.1027:
	s_waitcnt vmcnt(0)
	v_cvt_i32_f64_e32 v2, v[0:1]
	global_store_short v[4:5], v2, off
.LBB39_1028:
	s_mov_b64 s[6:7], 0
.LBB39_1029:
	s_andn2_b64 vcc, exec, s[6:7]
	s_cbranch_vccnz .LBB39_1034
; %bb.1030:
	s_sext_i32_i16 s6, s26
	s_cmp_gt_i32 s6, 0
	s_mov_b64 s[6:7], -1
	s_cbranch_scc0 .LBB39_1032
; %bb.1031:
	s_waitcnt vmcnt(0)
	v_cvt_i32_f64_e32 v2, v[0:1]
	s_mov_b64 s[6:7], 0
	global_store_byte v[4:5], v2, off
.LBB39_1032:
	s_andn2_b64 vcc, exec, s[6:7]
	s_cbranch_vccnz .LBB39_1034
; %bb.1033:
	v_trunc_f64_e32 v[0:1], v[0:1]
	s_movk_i32 s6, 0xffe0
	s_waitcnt vmcnt(0)
	v_ldexp_f64 v[2:3], v[0:1], s6
	s_mov_b32 s6, 0
	s_mov_b32 s7, 0xc1f00000
	v_floor_f64_e32 v[2:3], v[2:3]
	v_fma_f64 v[0:1], v[2:3], s[6:7], v[0:1]
	v_cvt_u32_f64_e32 v0, v[0:1]
	global_store_byte v[4:5], v0, off
.LBB39_1034:
	s_or_b64 exec, exec, s[0:1]
	s_and_b64 s[6:7], s[16:17], exec
                                        ; implicit-def: $vgpr20
.LBB39_1035:
	s_or_saveexec_b64 s[4:5], s[4:5]
	s_mov_b64 s[0:1], 0
                                        ; implicit-def: $sgpr20
                                        ; implicit-def: $vgpr0_vgpr1
                                        ; implicit-def: $vgpr8_vgpr9
	s_xor_b64 exec, exec, s[4:5]
	s_cbranch_execz .LBB39_1991
; %bb.1036:
	v_mul_lo_u32 v8, s3, v20
	v_mov_b32_e32 v1, s11
	s_and_b32 s22, 0xffff, s42
	s_cmp_lt_i32 s22, 11
	s_waitcnt vmcnt(0)
	v_ashrrev_i32_e32 v2, 31, v8
	v_add_co_u32_e32 v0, vcc, s10, v8
	v_addc_co_u32_e32 v1, vcc, v1, v2, vcc
	s_cbranch_scc1 .LBB39_1043
; %bb.1037:
	s_cmp_gt_i32 s22, 25
	s_cbranch_scc0 .LBB39_1045
; %bb.1038:
	s_cmp_gt_i32 s22, 28
	s_cbranch_scc0 .LBB39_1046
	;; [unrolled: 3-line block ×4, first 2 shown]
; %bb.1041:
	s_cmp_eq_u32 s22, 46
	s_mov_b64 s[14:15], 0
	s_cbranch_scc0 .LBB39_1051
; %bb.1042:
	global_load_dword v2, v[0:1], off
	s_mov_b64 s[16:17], -1
	s_waitcnt vmcnt(0)
	v_lshlrev_b32_e32 v2, 16, v2
	v_cvt_f64_f32_e32 v[2:3], v2
	s_branch .LBB39_1052
.LBB39_1043:
	s_mov_b64 s[16:17], 0
                                        ; implicit-def: $vgpr2_vgpr3
	s_mov_b64 s[14:15], s[6:7]
	s_cbranch_execnz .LBB39_1115
.LBB39_1044:
	s_andn2_b64 vcc, exec, s[16:17]
                                        ; implicit-def: $vgpr10_vgpr11
	s_cbranch_vccz .LBB39_1160
	s_branch .LBB39_1989
.LBB39_1045:
	s_mov_b64 s[16:17], 0
                                        ; implicit-def: $vgpr2_vgpr3
	s_cbranch_execnz .LBB39_1082
	s_branch .LBB39_1111
.LBB39_1046:
	s_mov_b64 s[14:15], -1
	s_mov_b64 s[16:17], 0
                                        ; implicit-def: $vgpr2_vgpr3
	s_branch .LBB39_1061
.LBB39_1047:
	s_mov_b64 s[16:17], 0
                                        ; implicit-def: $vgpr2_vgpr3
	s_cbranch_execnz .LBB39_1057
	s_branch .LBB39_1060
.LBB39_1048:
	s_mov_b64 s[14:15], -1
	s_mov_b64 s[16:17], 0
                                        ; implicit-def: $vgpr2_vgpr3
	s_branch .LBB39_1052
.LBB39_1049:
	s_andn2_saveexec_b64 s[22:23], s[22:23]
	s_cbranch_execz .LBB39_948
.LBB39_1050:
	s_mov_b32 s24, 0x46000000
	v_add_f32_e64 v3, |v2|, s24
	v_and_b32_e32 v3, 0xff, v3
	v_cmp_ne_u32_e32 vcc, 0, v3
	s_andn2_b64 s[20:21], s[20:21], exec
	s_and_b64 s[24:25], vcc, exec
	s_or_b64 s[20:21], s[20:21], s[24:25]
	s_or_b64 exec, exec, s[22:23]
	v_mov_b32_e32 v6, 0
	s_and_saveexec_b64 s[22:23], s[20:21]
	s_cbranch_execnz .LBB39_949
	s_branch .LBB39_950
.LBB39_1051:
	s_mov_b64 s[0:1], -1
                                        ; implicit-def: $vgpr2_vgpr3
	s_mov_b64 s[16:17], 0
.LBB39_1052:
	s_and_b64 vcc, exec, s[14:15]
	s_cbranch_vccz .LBB39_1055
; %bb.1053:
	s_cmp_eq_u32 s22, 44
	s_cbranch_scc0 .LBB39_1056
; %bb.1054:
	global_load_ubyte v4, v[0:1], off
	s_movk_i32 s14, 0xff
	v_bfrev_b32_e32 v5, 4
	v_mov_b32_e32 v6, 0x7ff80000
	v_bfrev_b32_e32 v7, 28
	s_mov_b64 s[0:1], 0
	s_mov_b64 s[16:17], -1
	s_waitcnt vmcnt(0)
	v_lshlrev_b32_e32 v2, 23, v4
	v_cvt_f64_f32_e32 v[2:3], v2
	v_cmp_ne_u32_e32 vcc, s14, v4
	v_cndmask_b32_e32 v2, v5, v2, vcc
	v_cndmask_b32_e32 v3, v6, v3, vcc
	v_cmp_ne_u32_e32 vcc, 0, v4
	v_cndmask_b32_e32 v3, v7, v3, vcc
	v_cndmask_b32_e32 v2, 0, v2, vcc
.LBB39_1055:
	s_branch .LBB39_1060
.LBB39_1056:
	s_mov_b64 s[0:1], -1
                                        ; implicit-def: $vgpr2_vgpr3
	s_branch .LBB39_1060
.LBB39_1057:
	s_cmp_eq_u32 s22, 29
	s_cbranch_scc0 .LBB39_1059
; %bb.1058:
	global_load_dwordx2 v[2:3], v[0:1], off
	s_mov_b64 s[0:1], 0
	s_mov_b64 s[16:17], -1
	s_mov_b64 s[14:15], 0
	s_waitcnt vmcnt(0)
	v_cvt_f64_u32_e32 v[3:4], v3
	v_cvt_f64_u32_e32 v[5:6], v2
	v_ldexp_f64 v[3:4], v[3:4], 32
	v_add_f64 v[2:3], v[3:4], v[5:6]
	s_branch .LBB39_1061
.LBB39_1059:
	s_mov_b64 s[0:1], -1
                                        ; implicit-def: $vgpr2_vgpr3
.LBB39_1060:
	s_mov_b64 s[14:15], 0
.LBB39_1061:
	s_and_b64 vcc, exec, s[14:15]
	s_cbranch_vccz .LBB39_1081
; %bb.1062:
	s_cmp_lt_i32 s22, 27
	s_cbranch_scc1 .LBB39_1065
; %bb.1063:
	s_cmp_gt_i32 s22, 27
	s_cbranch_scc0 .LBB39_1066
; %bb.1064:
	global_load_dword v2, v[0:1], off
	s_mov_b64 s[14:15], 0
	s_waitcnt vmcnt(0)
	v_cvt_f64_u32_e32 v[2:3], v2
	s_branch .LBB39_1067
.LBB39_1065:
	s_mov_b64 s[14:15], -1
                                        ; implicit-def: $vgpr2_vgpr3
	s_branch .LBB39_1070
.LBB39_1066:
	s_mov_b64 s[14:15], -1
                                        ; implicit-def: $vgpr2_vgpr3
.LBB39_1067:
	s_andn2_b64 vcc, exec, s[14:15]
	s_cbranch_vccnz .LBB39_1069
; %bb.1068:
	global_load_ushort v2, v[0:1], off
	s_waitcnt vmcnt(0)
	v_cvt_f64_u32_e32 v[2:3], v2
.LBB39_1069:
	s_mov_b64 s[14:15], 0
.LBB39_1070:
	s_andn2_b64 vcc, exec, s[14:15]
	s_cbranch_vccnz .LBB39_1080
; %bb.1071:
	global_load_ubyte v4, v[0:1], off
	s_movk_i32 s14, 0x7f
	s_waitcnt vmcnt(0)
	v_cmp_lt_i16_e32 vcc, s14, v4
	s_mov_b64 s[14:15], 0
	s_and_saveexec_b64 s[16:17], vcc
	s_xor_b64 s[16:17], exec, s[16:17]
	s_cbranch_execz .LBB39_1075
; %bb.1072:
	s_movk_i32 s14, 0x80
	v_cmp_eq_u16_e32 vcc, s14, v4
	s_mov_b64 s[14:15], -1
	s_and_saveexec_b64 s[18:19], vcc
; %bb.1073:
	s_xor_b64 s[14:15], exec, -1
; %bb.1074:
	s_or_b64 exec, exec, s[18:19]
	s_and_b64 s[14:15], s[14:15], exec
.LBB39_1075:
	s_or_saveexec_b64 s[16:17], s[16:17]
	v_bfrev_b32_e32 v2, 4
	v_mov_b32_e32 v3, 0x7ff80000
	s_xor_b64 exec, exec, s[16:17]
; %bb.1076:
	v_cmp_ne_u16_e32 vcc, 0, v4
	v_mov_b32_e32 v2, 0
	s_andn2_b64 s[14:15], s[14:15], exec
	s_and_b64 s[18:19], vcc, exec
	v_mov_b32_e32 v3, 0
	s_or_b64 s[14:15], s[14:15], s[18:19]
; %bb.1077:
	s_or_b64 exec, exec, s[16:17]
	s_and_saveexec_b64 s[16:17], s[14:15]
	s_cbranch_execz .LBB39_1079
; %bb.1078:
	v_and_b32_e32 v3, 0xffff, v4
	v_lshlrev_b32_e32 v2, 24, v4
	v_and_b32_e32 v4, 7, v3
	v_ffbh_u32_e32 v6, v4
	v_min_u32_e32 v6, 32, v6
	v_subrev_u32_e32 v7, 28, v6
	v_bfe_u32 v5, v3, 3, 4
	v_lshlrev_b32_e32 v3, v7, v3
	v_sub_u32_e32 v6, 29, v6
	v_and_b32_e32 v3, 7, v3
	v_cmp_eq_u32_e32 vcc, 0, v5
	v_cndmask_b32_e32 v5, v5, v6, vcc
	v_cndmask_b32_e32 v3, v4, v3, vcc
	v_mov_b32_e32 v4, 0x3b800000
	v_lshlrev_b32_e32 v3, 20, v3
	v_and_b32_e32 v2, 0x80000000, v2
	v_lshl_add_u32 v4, v5, 23, v4
	v_or3_b32 v2, v2, v4, v3
	v_cvt_f64_f32_e32 v[2:3], v2
.LBB39_1079:
	s_or_b64 exec, exec, s[16:17]
.LBB39_1080:
	s_mov_b64 s[16:17], -1
.LBB39_1081:
	s_branch .LBB39_1111
.LBB39_1082:
	s_cmp_gt_i32 s22, 22
	s_cbranch_scc0 .LBB39_1094
; %bb.1083:
	s_cmp_lt_i32 s22, 24
	s_cbranch_scc1 .LBB39_1095
; %bb.1084:
	s_cmp_gt_i32 s22, 24
	s_cbranch_scc0 .LBB39_1096
; %bb.1085:
	global_load_ubyte v4, v[0:1], off
	s_movk_i32 s12, 0x7f
	s_waitcnt vmcnt(0)
	v_cmp_lt_i16_e32 vcc, s12, v4
	s_mov_b64 s[12:13], 0
	s_and_saveexec_b64 s[14:15], vcc
	s_xor_b64 s[14:15], exec, s[14:15]
	s_cbranch_execz .LBB39_1089
; %bb.1086:
	s_movk_i32 s12, 0x80
	v_cmp_eq_u16_e32 vcc, s12, v4
	s_mov_b64 s[12:13], -1
	s_and_saveexec_b64 s[16:17], vcc
; %bb.1087:
	s_xor_b64 s[12:13], exec, -1
; %bb.1088:
	s_or_b64 exec, exec, s[16:17]
	s_and_b64 s[12:13], s[12:13], exec
.LBB39_1089:
	s_or_saveexec_b64 s[14:15], s[14:15]
	v_bfrev_b32_e32 v2, 4
	v_mov_b32_e32 v3, 0x7ff80000
	s_xor_b64 exec, exec, s[14:15]
; %bb.1090:
	v_cmp_ne_u16_e32 vcc, 0, v4
	v_mov_b32_e32 v2, 0
	s_andn2_b64 s[12:13], s[12:13], exec
	s_and_b64 s[16:17], vcc, exec
	v_mov_b32_e32 v3, 0
	s_or_b64 s[12:13], s[12:13], s[16:17]
; %bb.1091:
	s_or_b64 exec, exec, s[14:15]
	s_and_saveexec_b64 s[14:15], s[12:13]
	s_cbranch_execz .LBB39_1093
; %bb.1092:
	v_and_b32_e32 v3, 0xffff, v4
	v_lshlrev_b32_e32 v2, 24, v4
	v_and_b32_e32 v4, 3, v3
	v_ffbh_u32_e32 v6, v4
	v_min_u32_e32 v6, 32, v6
	v_subrev_u32_e32 v7, 29, v6
	v_bfe_u32 v5, v3, 2, 5
	v_lshlrev_b32_e32 v3, v7, v3
	v_sub_u32_e32 v6, 30, v6
	v_and_b32_e32 v3, 3, v3
	v_cmp_eq_u32_e32 vcc, 0, v5
	v_cndmask_b32_e32 v5, v5, v6, vcc
	v_cndmask_b32_e32 v3, v4, v3, vcc
	v_mov_b32_e32 v4, 0x37800000
	v_lshlrev_b32_e32 v3, 21, v3
	v_and_b32_e32 v2, 0x80000000, v2
	v_lshl_add_u32 v4, v5, 23, v4
	v_or3_b32 v2, v2, v4, v3
	v_cvt_f64_f32_e32 v[2:3], v2
.LBB39_1093:
	s_or_b64 exec, exec, s[14:15]
	s_mov_b64 s[12:13], 0
	s_branch .LBB39_1097
.LBB39_1094:
                                        ; implicit-def: $vgpr2_vgpr3
	s_mov_b64 s[12:13], 0
	s_branch .LBB39_1103
.LBB39_1095:
	s_mov_b64 s[12:13], -1
                                        ; implicit-def: $vgpr2_vgpr3
	s_branch .LBB39_1100
.LBB39_1096:
	s_mov_b64 s[12:13], -1
                                        ; implicit-def: $vgpr2_vgpr3
.LBB39_1097:
	s_and_b64 vcc, exec, s[12:13]
	s_cbranch_vccz .LBB39_1099
; %bb.1098:
	global_load_ubyte v2, v[0:1], off
	s_mov_b32 s12, 0x7f800000
	s_waitcnt vmcnt(0)
	v_lshlrev_b32_e32 v2, 24, v2
	v_and_b32_e32 v3, 0x7f000000, v2
	v_ffbh_u32_e32 v4, v3
	v_min_u32_e32 v4, 32, v4
	v_sub_u32_e64 v4, v4, 4 clamp
	v_lshlrev_b32_e32 v6, v4, v3
	v_lshlrev_b32_e32 v4, 23, v4
	v_lshrrev_b32_e32 v6, 4, v6
	v_add_u32_e32 v5, 0x1000000, v3
	v_sub_u32_e32 v4, v6, v4
	v_ashrrev_i32_e32 v5, 8, v5
	v_add_u32_e32 v4, 0x3c000000, v4
	v_and_or_b32 v4, v5, s12, v4
	v_cmp_ne_u32_e32 vcc, 0, v3
	v_cndmask_b32_e32 v3, 0, v4, vcc
	s_brev_b32 s12, 1
	v_and_or_b32 v2, v2, s12, v3
	v_cvt_f64_f32_e32 v[2:3], v2
.LBB39_1099:
	s_mov_b64 s[12:13], 0
.LBB39_1100:
	s_andn2_b64 vcc, exec, s[12:13]
	s_cbranch_vccnz .LBB39_1102
; %bb.1101:
	global_load_ubyte v2, v[0:1], off
	s_movk_i32 s12, 0x7f00
	s_brev_b32 s13, 16
	s_waitcnt vmcnt(0)
	v_lshlrev_b16_e32 v3, 8, v2
	v_lshlrev_b32_e32 v2, 25, v2
	v_lshrrev_b32_e32 v4, 4, v2
	v_and_or_b32 v5, v3, s12, 0.5
	v_or_b32_e32 v4, 0x70000000, v4
	v_add_f32_e32 v5, -0.5, v5
	v_mul_f32_e32 v4, 0x7800000, v4
	v_cmp_gt_u32_e32 vcc, s13, v2
	v_bfe_i32 v3, v3, 0, 16
	v_cndmask_b32_e32 v2, v4, v5, vcc
	s_brev_b32 s12, 1
	v_and_or_b32 v2, v3, s12, v2
	v_cvt_f64_f32_e32 v[2:3], v2
.LBB39_1102:
	s_mov_b64 s[16:17], -1
	s_mov_b64 s[12:13], 0
	s_cbranch_execnz .LBB39_1111
.LBB39_1103:
	s_cmp_gt_i32 s22, 14
	s_cbranch_scc0 .LBB39_1106
; %bb.1104:
	s_cmp_eq_u32 s22, 15
	s_cbranch_scc0 .LBB39_1107
; %bb.1105:
	global_load_ushort v2, v[0:1], off
	s_mov_b64 s[0:1], 0
	s_mov_b64 s[16:17], -1
	s_waitcnt vmcnt(0)
	v_lshlrev_b32_e32 v2, 16, v2
	v_cvt_f64_f32_e32 v[2:3], v2
	s_branch .LBB39_1108
.LBB39_1106:
	s_mov_b64 s[14:15], -1
                                        ; implicit-def: $vgpr2_vgpr3
	s_branch .LBB39_1109
.LBB39_1107:
	s_mov_b64 s[0:1], -1
                                        ; implicit-def: $vgpr2_vgpr3
.LBB39_1108:
	s_mov_b64 s[14:15], 0
.LBB39_1109:
	s_and_b64 vcc, exec, s[14:15]
	s_cbranch_vccz .LBB39_1111
; %bb.1110:
	s_cmp_lg_u32 s22, 11
	s_mov_b64 s[12:13], -1
	s_cselect_b64 s[0:1], -1, 0
.LBB39_1111:
	s_and_b64 vcc, exec, s[0:1]
	s_mov_b64 s[14:15], s[6:7]
	s_cbranch_vccnz .LBB39_1174
; %bb.1112:
	s_andn2_b64 vcc, exec, s[12:13]
	s_cbranch_vccnz .LBB39_1114
.LBB39_1113:
	global_load_ubyte v3, v[0:1], off
	v_mov_b32_e32 v4, 0x3ff00000
	v_mov_b32_e32 v2, 0
	s_mov_b64 s[16:17], -1
	s_waitcnt vmcnt(0)
	v_cmp_ne_u16_e32 vcc, 0, v3
	v_cndmask_b32_e32 v3, 0, v4, vcc
.LBB39_1114:
	s_branch .LBB39_1044
.LBB39_1115:
	s_cmp_lt_i32 s22, 5
	s_cbranch_scc1 .LBB39_1120
; %bb.1116:
	s_cmp_lt_i32 s22, 8
	s_cbranch_scc1 .LBB39_1121
; %bb.1117:
	;; [unrolled: 3-line block ×3, first 2 shown]
	s_cmp_gt_i32 s22, 9
	s_cbranch_scc0 .LBB39_1123
; %bb.1119:
	global_load_dwordx2 v[2:3], v[0:1], off
	s_mov_b64 s[0:1], 0
	s_branch .LBB39_1124
.LBB39_1120:
                                        ; implicit-def: $vgpr2_vgpr3
	s_branch .LBB39_1141
.LBB39_1121:
                                        ; implicit-def: $vgpr2_vgpr3
	s_branch .LBB39_1130
.LBB39_1122:
	s_mov_b64 s[0:1], -1
                                        ; implicit-def: $vgpr2_vgpr3
	s_branch .LBB39_1127
.LBB39_1123:
	s_mov_b64 s[0:1], -1
                                        ; implicit-def: $vgpr2_vgpr3
.LBB39_1124:
	s_andn2_b64 vcc, exec, s[0:1]
	s_cbranch_vccnz .LBB39_1126
; %bb.1125:
	global_load_dword v2, v[0:1], off
	s_waitcnt vmcnt(0)
	v_cvt_f64_f32_e32 v[2:3], v2
.LBB39_1126:
	s_mov_b64 s[0:1], 0
.LBB39_1127:
	s_andn2_b64 vcc, exec, s[0:1]
	s_cbranch_vccnz .LBB39_1129
; %bb.1128:
	global_load_dword v2, v[0:1], off
	s_waitcnt vmcnt(0)
	v_cvt_f32_f16_e32 v2, v2
	v_cvt_f64_f32_e32 v[2:3], v2
.LBB39_1129:
	s_cbranch_execnz .LBB39_1140
.LBB39_1130:
	s_cmp_lt_i32 s22, 6
	s_cbranch_scc1 .LBB39_1133
; %bb.1131:
	s_cmp_gt_i32 s22, 6
	s_cbranch_scc0 .LBB39_1134
; %bb.1132:
	global_load_dwordx2 v[2:3], v[0:1], off
	s_mov_b64 s[0:1], 0
	s_branch .LBB39_1135
.LBB39_1133:
	s_mov_b64 s[0:1], -1
                                        ; implicit-def: $vgpr2_vgpr3
	s_branch .LBB39_1138
.LBB39_1134:
	s_mov_b64 s[0:1], -1
                                        ; implicit-def: $vgpr2_vgpr3
.LBB39_1135:
	s_andn2_b64 vcc, exec, s[0:1]
	s_cbranch_vccnz .LBB39_1137
; %bb.1136:
	global_load_dword v2, v[0:1], off
	s_waitcnt vmcnt(0)
	v_cvt_f64_f32_e32 v[2:3], v2
.LBB39_1137:
	s_mov_b64 s[0:1], 0
.LBB39_1138:
	s_andn2_b64 vcc, exec, s[0:1]
	s_cbranch_vccnz .LBB39_1140
; %bb.1139:
	global_load_ushort v2, v[0:1], off
	s_waitcnt vmcnt(0)
	v_cvt_f32_f16_e32 v2, v2
	v_cvt_f64_f32_e32 v[2:3], v2
.LBB39_1140:
	s_cbranch_execnz .LBB39_1159
.LBB39_1141:
	s_cmp_lt_i32 s22, 2
	s_cbranch_scc1 .LBB39_1145
; %bb.1142:
	s_cmp_lt_i32 s22, 3
	s_cbranch_scc1 .LBB39_1146
; %bb.1143:
	s_cmp_gt_i32 s22, 3
	s_cbranch_scc0 .LBB39_1147
; %bb.1144:
	global_load_dwordx2 v[2:3], v[0:1], off
	s_mov_b64 s[0:1], 0
	s_waitcnt vmcnt(0)
	v_cvt_f64_i32_e32 v[3:4], v3
	v_cvt_f64_u32_e32 v[5:6], v2
	v_ldexp_f64 v[3:4], v[3:4], 32
	v_add_f64 v[2:3], v[3:4], v[5:6]
	s_branch .LBB39_1148
.LBB39_1145:
                                        ; implicit-def: $vgpr2_vgpr3
	s_branch .LBB39_1154
.LBB39_1146:
	s_mov_b64 s[0:1], -1
                                        ; implicit-def: $vgpr2_vgpr3
	s_branch .LBB39_1151
.LBB39_1147:
	s_mov_b64 s[0:1], -1
                                        ; implicit-def: $vgpr2_vgpr3
.LBB39_1148:
	s_andn2_b64 vcc, exec, s[0:1]
	s_cbranch_vccnz .LBB39_1150
; %bb.1149:
	global_load_dword v2, v[0:1], off
	s_waitcnt vmcnt(0)
	v_cvt_f64_i32_e32 v[2:3], v2
.LBB39_1150:
	s_mov_b64 s[0:1], 0
.LBB39_1151:
	s_andn2_b64 vcc, exec, s[0:1]
	s_cbranch_vccnz .LBB39_1153
; %bb.1152:
	global_load_sshort v2, v[0:1], off
	s_waitcnt vmcnt(0)
	v_cvt_f64_i32_e32 v[2:3], v2
.LBB39_1153:
	s_cbranch_execnz .LBB39_1159
.LBB39_1154:
	s_cmp_gt_i32 s22, 0
	s_cbranch_scc0 .LBB39_1156
; %bb.1155:
	global_load_sbyte v2, v[0:1], off
	s_mov_b64 s[0:1], 0
	s_waitcnt vmcnt(0)
	v_cvt_f64_i32_e32 v[2:3], v2
	s_branch .LBB39_1157
.LBB39_1156:
	s_mov_b64 s[0:1], -1
                                        ; implicit-def: $vgpr2_vgpr3
.LBB39_1157:
	s_andn2_b64 vcc, exec, s[0:1]
	s_cbranch_vccnz .LBB39_1159
; %bb.1158:
	global_load_ubyte v0, v[0:1], off
	s_waitcnt vmcnt(0)
	v_cvt_f64_u32_e32 v[2:3], v0
.LBB39_1159:
                                        ; implicit-def: $vgpr10_vgpr11
.LBB39_1160:
	s_waitcnt vmcnt(0)
	v_fma_f64 v[4:5], |v[2:3]|, -0.5, 0.5
	v_mul_f64 v[0:1], v[2:3], v[2:3]
	v_cmp_ge_f64_e64 vcc, |v[2:3]|, 0.5
	s_mov_b32 s0, 0x9fea6a70
	v_mov_b32_e32 v6, 0x78a05eaf
	v_mov_b32_e32 v7, 0xbf90a5a3
	s_mov_b32 s1, 0x3fa05985
	v_cndmask_b32_e32 v1, v1, v5, vcc
	v_cndmask_b32_e32 v0, v0, v4, vcc
	v_fma_f64 v[6:7], v[0:1], s[0:1], v[6:7]
	s_mov_b32 s0, 0x37024d6a
	s_mov_b32 s1, 0x3f940521
	v_fma_f64 v[6:7], v[0:1], v[6:7], s[0:1]
	s_mov_b32 s0, 0x98a70509
	s_mov_b32 s1, 0x3f7ab3a0
	v_fma_f64 v[6:7], v[0:1], v[6:7], s[0:1]
	s_mov_b32 s0, 0xa300c8d2
	s_mov_b32 s1, 0x3f88ed60
	v_fma_f64 v[6:7], v[0:1], v[6:7], s[0:1]
	s_mov_b32 s0, 0x4b77012b
	s_mov_b32 s1, 0x3f8c6fa8
	v_fma_f64 v[6:7], v[0:1], v[6:7], s[0:1]
	s_mov_b32 s0, 0x11dccb70
	s_mov_b32 s1, 0x3f91c6c1
	v_fma_f64 v[6:7], v[0:1], v[6:7], s[0:1]
	s_mov_b32 s0, 0xa0adacf
	s_mov_b32 s1, 0x3f96e89f
	v_fma_f64 v[6:7], v[0:1], v[6:7], s[0:1]
	s_mov_b32 s0, 0xc668963f
	s_mov_b32 s1, 0x3f9f1c72
	v_fma_f64 v[6:7], v[0:1], v[6:7], s[0:1]
	s_mov_b32 s0, 0xb41ce4bd
	s_mov_b32 s1, 0x3fa6db6d
	v_fma_f64 v[6:7], v[0:1], v[6:7], s[0:1]
	s_mov_b32 s0, 0x3336fd5b
	s_mov_b32 s1, 0x3fb33333
	v_fma_f64 v[6:7], v[0:1], v[6:7], s[0:1]
	s_mov_b32 s0, 0x55555380
	s_mov_b32 s1, 0x3fc55555
	v_fma_f64 v[6:7], v[0:1], v[6:7], s[0:1]
	v_mul_f64 v[6:7], v[0:1], v[6:7]
	v_fma_f64 v[0:1], |v[2:3]|, v[6:7], |v[2:3]|
	s_and_saveexec_b64 s[0:1], vcc
	s_cbranch_execz .LBB39_1162
; %bb.1161:
	v_rsq_f64_e32 v[0:1], v[4:5]
	v_cmp_eq_f64_e32 vcc, 0, v[4:5]
	s_mov_b32 s12, 0x54442d18
	s_mov_b32 s13, 0x3fe921fb
	v_mul_f64 v[9:10], v[4:5], v[0:1]
	v_mul_f64 v[0:1], v[0:1], 0.5
	v_fma_f64 v[11:12], -v[0:1], v[9:10], 0.5
	v_fma_f64 v[9:10], v[9:10], v[11:12], v[9:10]
	v_fma_f64 v[0:1], v[0:1], v[11:12], v[0:1]
	v_fma_f64 v[11:12], -v[9:10], v[9:10], v[4:5]
	v_fma_f64 v[0:1], v[11:12], v[0:1], v[9:10]
	v_cndmask_b32_e32 v1, v1, v5, vcc
	v_cndmask_b32_e32 v0, v0, v4, vcc
	v_add_f64 v[9:10], v[0:1], v[0:1]
	v_mul_f64 v[11:12], v[0:1], v[0:1]
	v_rcp_f64_e32 v[13:14], v[9:10]
	v_add_f64 v[15:16], v[4:5], -v[11:12]
	v_fma_f64 v[21:22], v[0:1], v[0:1], -v[11:12]
	v_add_f64 v[4:5], v[4:5], -v[15:16]
	v_fma_f64 v[17:18], -v[9:10], v[13:14], 1.0
	v_add_f64 v[4:5], v[4:5], -v[11:12]
	v_fma_f64 v[11:12], v[17:18], v[13:14], v[13:14]
	v_add_f64 v[4:5], v[4:5], -v[21:22]
	v_fma_f64 v[13:14], -v[9:10], v[11:12], 1.0
	v_add_f64 v[4:5], v[15:16], v[4:5]
	v_fma_f64 v[11:12], v[13:14], v[11:12], v[11:12]
	v_mul_f64 v[13:14], v[4:5], v[11:12]
	v_fma_f64 v[4:5], -v[9:10], v[13:14], v[4:5]
	v_fma_f64 v[4:5], v[4:5], v[11:12], v[13:14]
	v_cndmask_b32_e64 v5, v5, 0, vcc
	v_cndmask_b32_e64 v4, v4, 0, vcc
	v_add_f64 v[9:10], v[0:1], v[4:5]
	v_cmp_neq_f64_e64 vcc, |v[2:3]|, 1.0
	v_mov_b32_e32 v2, 0x54442d18
	v_add_f64 v[0:1], v[9:10], -v[0:1]
	v_mul_f64 v[11:12], v[6:7], v[9:10]
	v_add_f64 v[0:1], v[4:5], -v[0:1]
	v_fma_f64 v[4:5], v[9:10], v[6:7], -v[11:12]
	v_fma_f64 v[4:5], v[0:1], v[6:7], v[4:5]
	v_add_f64 v[6:7], v[11:12], v[4:5]
	v_add_f64 v[13:14], v[9:10], v[6:7]
	v_add_f64 v[11:12], v[6:7], -v[11:12]
	v_add_f64 v[9:10], v[13:14], -v[9:10]
	v_add_f64 v[4:5], v[4:5], -v[11:12]
	v_add_f64 v[6:7], v[6:7], -v[9:10]
	v_add_f64 v[0:1], v[0:1], v[4:5]
	v_add_f64 v[0:1], v[0:1], v[6:7]
	;; [unrolled: 1-line block ×3, first 2 shown]
	v_add_f64 v[6:7], -v[4:5], s[12:13]
	v_add_f64 v[11:12], v[4:5], -v[13:14]
	v_add_f64 v[9:10], -v[6:7], s[12:13]
	s_mov_b32 s12, 0x33145c07
	s_mov_b32 s13, 0x3c81a626
	v_add_f64 v[0:1], v[11:12], -v[0:1]
	v_add_f64 v[4:5], v[9:10], -v[4:5]
	v_add_f64 v[4:5], v[4:5], s[12:13]
	v_add_f64 v[0:1], v[0:1], v[4:5]
	v_mov_b32_e32 v4, 0x3ff921fb
	v_add_f64 v[0:1], v[6:7], v[0:1]
	v_add_f64 v[0:1], v[0:1], v[0:1]
	v_cndmask_b32_e32 v1, v4, v1, vcc
	v_cndmask_b32_e32 v0, v2, v0, vcc
.LBB39_1162:
	s_or_b64 exec, exec, s[0:1]
	s_lshl_b32 s3, s3, 7
	v_add_u32_e32 v2, s3, v8
	v_ashrrev_i32_e32 v5, 31, v2
	v_mov_b32_e32 v6, s11
	v_add_co_u32_e32 v4, vcc, s10, v2
	s_cmp_lt_i32 s22, 11
	v_addc_co_u32_e32 v5, vcc, v6, v5, vcc
	s_cbranch_scc1 .LBB39_1169
; %bb.1163:
	s_cmp_gt_i32 s22, 25
	s_mov_b64 s[12:13], 0
	s_cbranch_scc0 .LBB39_1171
; %bb.1164:
	s_cmp_gt_i32 s22, 28
	s_cbranch_scc0 .LBB39_1172
; %bb.1165:
	s_cmp_gt_i32 s22, 43
	s_cbranch_scc0 .LBB39_1173
; %bb.1166:
	s_cmp_gt_i32 s22, 45
	s_cbranch_scc0 .LBB39_1175
; %bb.1167:
	s_cmp_eq_u32 s22, 46
	s_mov_b64 s[18:19], 0
	s_cbranch_scc0 .LBB39_1178
; %bb.1168:
	global_load_dword v6, v[4:5], off
	s_mov_b64 s[0:1], 0
	s_mov_b64 s[16:17], -1
	s_waitcnt vmcnt(0)
	v_lshlrev_b32_e32 v6, 16, v6
	v_cvt_f64_f32_e32 v[6:7], v6
	s_branch .LBB39_1179
.LBB39_1169:
	s_mov_b64 s[16:17], 0
                                        ; implicit-def: $vgpr6_vgpr7
	s_cbranch_execnz .LBB39_1244
.LBB39_1170:
	s_andn2_b64 vcc, exec, s[16:17]
	s_cbranch_vccnz .LBB39_1989
	s_branch .LBB39_1291
.LBB39_1171:
	s_mov_b64 s[16:17], 0
	s_mov_b64 s[0:1], 0
                                        ; implicit-def: $vgpr6_vgpr7
	s_cbranch_execnz .LBB39_1210
	s_branch .LBB39_1240
.LBB39_1172:
	s_mov_b64 s[18:19], -1
	s_mov_b64 s[16:17], 0
	s_mov_b64 s[0:1], 0
                                        ; implicit-def: $vgpr6_vgpr7
	s_branch .LBB39_1189
.LBB39_1173:
	s_mov_b64 s[18:19], -1
	s_mov_b64 s[16:17], 0
	s_mov_b64 s[0:1], 0
                                        ; implicit-def: $vgpr6_vgpr7
	s_branch .LBB39_1184
.LBB39_1174:
	s_or_b64 s[14:15], s[6:7], exec
	s_trap 2
	s_cbranch_execz .LBB39_1113
	s_branch .LBB39_1114
.LBB39_1175:
	s_mov_b64 s[18:19], -1
	s_mov_b64 s[16:17], 0
	s_mov_b64 s[0:1], 0
                                        ; implicit-def: $vgpr6_vgpr7
	s_branch .LBB39_1179
.LBB39_1176:
	s_andn2_saveexec_b64 s[24:25], s[24:25]
	s_cbranch_execz .LBB39_960
.LBB39_1177:
	s_mov_b32 s28, 0x42800000
	v_add_f32_e64 v3, |v2|, s28
	v_and_b32_e32 v3, 0xff, v3
	v_cmp_ne_u32_e32 vcc, 0, v3
	s_andn2_b64 s[22:23], s[22:23], exec
	s_and_b64 s[28:29], vcc, exec
	s_or_b64 s[22:23], s[22:23], s[28:29]
	s_or_b64 exec, exec, s[24:25]
	v_mov_b32_e32 v6, 0
	s_and_saveexec_b64 s[24:25], s[22:23]
	s_cbranch_execnz .LBB39_961
	s_branch .LBB39_962
.LBB39_1178:
	s_mov_b64 s[0:1], -1
                                        ; implicit-def: $vgpr6_vgpr7
	s_mov_b64 s[16:17], 0
.LBB39_1179:
	s_and_b64 vcc, exec, s[18:19]
	s_cbranch_vccz .LBB39_1183
; %bb.1180:
	s_cmp_eq_u32 s22, 44
	s_cbranch_scc0 .LBB39_1182
; %bb.1181:
	global_load_ubyte v8, v[4:5], off
	s_movk_i32 s16, 0xff
	v_bfrev_b32_e32 v9, 4
	v_mov_b32_e32 v10, 0x7ff80000
	v_bfrev_b32_e32 v11, 28
	s_mov_b64 s[0:1], 0
	s_waitcnt vmcnt(0)
	v_lshlrev_b32_e32 v6, 23, v8
	v_cvt_f64_f32_e32 v[6:7], v6
	v_cmp_ne_u32_e32 vcc, s16, v8
	s_mov_b64 s[16:17], -1
	v_cndmask_b32_e32 v6, v9, v6, vcc
	v_cndmask_b32_e32 v7, v10, v7, vcc
	v_cmp_ne_u32_e32 vcc, 0, v8
	v_cndmask_b32_e32 v7, v11, v7, vcc
	v_cndmask_b32_e32 v6, 0, v6, vcc
	s_branch .LBB39_1183
.LBB39_1182:
	s_mov_b64 s[0:1], -1
                                        ; implicit-def: $vgpr6_vgpr7
.LBB39_1183:
	s_mov_b64 s[18:19], 0
.LBB39_1184:
	s_and_b64 vcc, exec, s[18:19]
	s_cbranch_vccz .LBB39_1188
; %bb.1185:
	s_cmp_eq_u32 s22, 29
	s_cbranch_scc0 .LBB39_1187
; %bb.1186:
	global_load_dwordx2 v[6:7], v[4:5], off
	s_mov_b64 s[0:1], 0
	s_mov_b64 s[16:17], -1
	s_mov_b64 s[18:19], 0
	s_waitcnt vmcnt(0)
	v_cvt_f64_u32_e32 v[7:8], v7
	v_cvt_f64_u32_e32 v[9:10], v6
	v_ldexp_f64 v[7:8], v[7:8], 32
	v_add_f64 v[6:7], v[7:8], v[9:10]
	s_branch .LBB39_1189
.LBB39_1187:
	s_mov_b64 s[0:1], -1
                                        ; implicit-def: $vgpr6_vgpr7
.LBB39_1188:
	s_mov_b64 s[18:19], 0
.LBB39_1189:
	s_and_b64 vcc, exec, s[18:19]
	s_cbranch_vccz .LBB39_1209
; %bb.1190:
	s_cmp_lt_i32 s22, 27
	s_cbranch_scc1 .LBB39_1193
; %bb.1191:
	s_cmp_gt_i32 s22, 27
	s_cbranch_scc0 .LBB39_1194
; %bb.1192:
	global_load_dword v6, v[4:5], off
	s_mov_b64 s[16:17], 0
	s_waitcnt vmcnt(0)
	v_cvt_f64_u32_e32 v[6:7], v6
	s_branch .LBB39_1195
.LBB39_1193:
	s_mov_b64 s[16:17], -1
                                        ; implicit-def: $vgpr6_vgpr7
	s_branch .LBB39_1198
.LBB39_1194:
	s_mov_b64 s[16:17], -1
                                        ; implicit-def: $vgpr6_vgpr7
.LBB39_1195:
	s_andn2_b64 vcc, exec, s[16:17]
	s_cbranch_vccnz .LBB39_1197
; %bb.1196:
	global_load_ushort v6, v[4:5], off
	s_waitcnt vmcnt(0)
	v_cvt_f64_u32_e32 v[6:7], v6
.LBB39_1197:
	s_mov_b64 s[16:17], 0
.LBB39_1198:
	s_andn2_b64 vcc, exec, s[16:17]
	s_cbranch_vccnz .LBB39_1208
; %bb.1199:
	global_load_ubyte v8, v[4:5], off
	s_movk_i32 s16, 0x7f
	s_waitcnt vmcnt(0)
	v_cmp_lt_i16_e32 vcc, s16, v8
	s_mov_b64 s[16:17], 0
	s_and_saveexec_b64 s[18:19], vcc
	s_xor_b64 s[18:19], exec, s[18:19]
	s_cbranch_execz .LBB39_1203
; %bb.1200:
	s_movk_i32 s16, 0x80
	v_cmp_eq_u16_e32 vcc, s16, v8
	s_mov_b64 s[16:17], -1
	s_and_saveexec_b64 s[20:21], vcc
; %bb.1201:
	s_xor_b64 s[16:17], exec, -1
; %bb.1202:
	s_or_b64 exec, exec, s[20:21]
	s_and_b64 s[16:17], s[16:17], exec
.LBB39_1203:
	s_or_saveexec_b64 s[18:19], s[18:19]
	v_bfrev_b32_e32 v6, 4
	v_mov_b32_e32 v7, 0x7ff80000
	s_xor_b64 exec, exec, s[18:19]
; %bb.1204:
	v_cmp_ne_u16_e32 vcc, 0, v8
	v_mov_b32_e32 v6, 0
	s_andn2_b64 s[16:17], s[16:17], exec
	s_and_b64 s[20:21], vcc, exec
	v_mov_b32_e32 v7, 0
	s_or_b64 s[16:17], s[16:17], s[20:21]
; %bb.1205:
	s_or_b64 exec, exec, s[18:19]
	s_and_saveexec_b64 s[18:19], s[16:17]
	s_cbranch_execz .LBB39_1207
; %bb.1206:
	v_and_b32_e32 v7, 0xffff, v8
	v_lshlrev_b32_e32 v6, 24, v8
	v_and_b32_e32 v8, 7, v7
	v_ffbh_u32_e32 v10, v8
	v_min_u32_e32 v10, 32, v10
	v_subrev_u32_e32 v11, 28, v10
	v_bfe_u32 v9, v7, 3, 4
	v_lshlrev_b32_e32 v7, v11, v7
	v_sub_u32_e32 v10, 29, v10
	v_and_b32_e32 v7, 7, v7
	v_cmp_eq_u32_e32 vcc, 0, v9
	v_cndmask_b32_e32 v9, v9, v10, vcc
	v_cndmask_b32_e32 v7, v8, v7, vcc
	v_mov_b32_e32 v8, 0x3b800000
	v_lshlrev_b32_e32 v7, 20, v7
	v_and_b32_e32 v6, 0x80000000, v6
	v_lshl_add_u32 v8, v9, 23, v8
	v_or3_b32 v6, v6, v8, v7
	v_cvt_f64_f32_e32 v[6:7], v6
.LBB39_1207:
	s_or_b64 exec, exec, s[18:19]
.LBB39_1208:
	s_mov_b64 s[16:17], -1
.LBB39_1209:
	s_branch .LBB39_1240
.LBB39_1210:
	s_cmp_gt_i32 s22, 22
	s_cbranch_scc0 .LBB39_1222
; %bb.1211:
	s_cmp_lt_i32 s22, 24
	s_cbranch_scc1 .LBB39_1223
; %bb.1212:
	s_cmp_gt_i32 s22, 24
	s_cbranch_scc0 .LBB39_1224
; %bb.1213:
	global_load_ubyte v8, v[4:5], off
	s_movk_i32 s12, 0x7f
	s_waitcnt vmcnt(0)
	v_cmp_lt_i16_e32 vcc, s12, v8
	s_mov_b64 s[12:13], 0
	s_and_saveexec_b64 s[16:17], vcc
	s_xor_b64 s[16:17], exec, s[16:17]
	s_cbranch_execz .LBB39_1217
; %bb.1214:
	s_movk_i32 s12, 0x80
	v_cmp_eq_u16_e32 vcc, s12, v8
	s_mov_b64 s[12:13], -1
	s_and_saveexec_b64 s[18:19], vcc
; %bb.1215:
	s_xor_b64 s[12:13], exec, -1
; %bb.1216:
	s_or_b64 exec, exec, s[18:19]
	s_and_b64 s[12:13], s[12:13], exec
.LBB39_1217:
	s_or_saveexec_b64 s[16:17], s[16:17]
	v_bfrev_b32_e32 v6, 4
	v_mov_b32_e32 v7, 0x7ff80000
	s_xor_b64 exec, exec, s[16:17]
; %bb.1218:
	v_cmp_ne_u16_e32 vcc, 0, v8
	v_mov_b32_e32 v6, 0
	s_andn2_b64 s[12:13], s[12:13], exec
	s_and_b64 s[18:19], vcc, exec
	v_mov_b32_e32 v7, 0
	s_or_b64 s[12:13], s[12:13], s[18:19]
; %bb.1219:
	s_or_b64 exec, exec, s[16:17]
	s_and_saveexec_b64 s[16:17], s[12:13]
	s_cbranch_execz .LBB39_1221
; %bb.1220:
	v_and_b32_e32 v7, 0xffff, v8
	v_lshlrev_b32_e32 v6, 24, v8
	v_and_b32_e32 v8, 3, v7
	v_ffbh_u32_e32 v10, v8
	v_min_u32_e32 v10, 32, v10
	v_subrev_u32_e32 v11, 29, v10
	v_bfe_u32 v9, v7, 2, 5
	v_lshlrev_b32_e32 v7, v11, v7
	v_sub_u32_e32 v10, 30, v10
	v_and_b32_e32 v7, 3, v7
	v_cmp_eq_u32_e32 vcc, 0, v9
	v_cndmask_b32_e32 v9, v9, v10, vcc
	v_cndmask_b32_e32 v7, v8, v7, vcc
	v_mov_b32_e32 v8, 0x37800000
	v_lshlrev_b32_e32 v7, 21, v7
	v_and_b32_e32 v6, 0x80000000, v6
	v_lshl_add_u32 v8, v9, 23, v8
	v_or3_b32 v6, v6, v8, v7
	v_cvt_f64_f32_e32 v[6:7], v6
.LBB39_1221:
	s_or_b64 exec, exec, s[16:17]
	s_mov_b64 s[12:13], 0
	s_branch .LBB39_1225
.LBB39_1222:
	s_mov_b64 s[12:13], -1
                                        ; implicit-def: $vgpr6_vgpr7
	s_branch .LBB39_1231
.LBB39_1223:
	s_mov_b64 s[12:13], -1
                                        ; implicit-def: $vgpr6_vgpr7
	s_branch .LBB39_1228
.LBB39_1224:
	s_mov_b64 s[12:13], -1
                                        ; implicit-def: $vgpr6_vgpr7
.LBB39_1225:
	s_and_b64 vcc, exec, s[12:13]
	s_cbranch_vccz .LBB39_1227
; %bb.1226:
	global_load_ubyte v6, v[4:5], off
	s_mov_b32 s12, 0x7f800000
	s_waitcnt vmcnt(0)
	v_lshlrev_b32_e32 v6, 24, v6
	v_and_b32_e32 v7, 0x7f000000, v6
	v_ffbh_u32_e32 v8, v7
	v_min_u32_e32 v8, 32, v8
	v_sub_u32_e64 v8, v8, 4 clamp
	v_lshlrev_b32_e32 v10, v8, v7
	v_lshlrev_b32_e32 v8, 23, v8
	v_lshrrev_b32_e32 v10, 4, v10
	v_add_u32_e32 v9, 0x1000000, v7
	v_sub_u32_e32 v8, v10, v8
	v_ashrrev_i32_e32 v9, 8, v9
	v_add_u32_e32 v8, 0x3c000000, v8
	v_and_or_b32 v8, v9, s12, v8
	v_cmp_ne_u32_e32 vcc, 0, v7
	v_cndmask_b32_e32 v7, 0, v8, vcc
	s_brev_b32 s12, 1
	v_and_or_b32 v6, v6, s12, v7
	v_cvt_f64_f32_e32 v[6:7], v6
.LBB39_1227:
	s_mov_b64 s[12:13], 0
.LBB39_1228:
	s_andn2_b64 vcc, exec, s[12:13]
	s_cbranch_vccnz .LBB39_1230
; %bb.1229:
	global_load_ubyte v6, v[4:5], off
	s_movk_i32 s12, 0x7f00
	s_brev_b32 s13, 16
	s_waitcnt vmcnt(0)
	v_lshlrev_b16_e32 v7, 8, v6
	v_lshlrev_b32_e32 v6, 25, v6
	v_lshrrev_b32_e32 v8, 4, v6
	v_and_or_b32 v9, v7, s12, 0.5
	v_or_b32_e32 v8, 0x70000000, v8
	v_add_f32_e32 v9, -0.5, v9
	v_mul_f32_e32 v8, 0x7800000, v8
	v_cmp_gt_u32_e32 vcc, s13, v6
	v_bfe_i32 v7, v7, 0, 16
	v_cndmask_b32_e32 v6, v8, v9, vcc
	s_brev_b32 s12, 1
	v_and_or_b32 v6, v7, s12, v6
	v_cvt_f64_f32_e32 v[6:7], v6
.LBB39_1230:
	s_mov_b64 s[12:13], 0
	s_mov_b64 s[16:17], -1
.LBB39_1231:
	s_andn2_b64 vcc, exec, s[12:13]
	s_mov_b64 s[12:13], 0
	s_cbranch_vccnz .LBB39_1240
; %bb.1232:
	s_cmp_gt_i32 s22, 14
	s_cbranch_scc0 .LBB39_1235
; %bb.1233:
	s_cmp_eq_u32 s22, 15
	s_cbranch_scc0 .LBB39_1236
; %bb.1234:
	global_load_ushort v6, v[4:5], off
	s_mov_b64 s[0:1], 0
	s_mov_b64 s[16:17], -1
	s_waitcnt vmcnt(0)
	v_lshlrev_b32_e32 v6, 16, v6
	v_cvt_f64_f32_e32 v[6:7], v6
	s_branch .LBB39_1237
.LBB39_1235:
	s_mov_b64 s[18:19], -1
                                        ; implicit-def: $vgpr6_vgpr7
	s_branch .LBB39_1238
.LBB39_1236:
	s_mov_b64 s[0:1], -1
                                        ; implicit-def: $vgpr6_vgpr7
.LBB39_1237:
	s_mov_b64 s[18:19], 0
.LBB39_1238:
	s_and_b64 vcc, exec, s[18:19]
	s_cbranch_vccz .LBB39_1240
; %bb.1239:
	s_cmp_lg_u32 s22, 11
	s_mov_b64 s[12:13], -1
	s_cselect_b64 s[0:1], -1, 0
.LBB39_1240:
	s_and_b64 vcc, exec, s[0:1]
	s_cbranch_vccnz .LBB39_1305
; %bb.1241:
	s_andn2_b64 vcc, exec, s[12:13]
	s_cbranch_vccnz .LBB39_1243
.LBB39_1242:
	global_load_ubyte v7, v[4:5], off
	v_mov_b32_e32 v8, 0x3ff00000
	v_mov_b32_e32 v6, 0
	s_mov_b64 s[16:17], -1
	s_waitcnt vmcnt(0)
	v_cmp_ne_u16_e32 vcc, 0, v7
	v_cndmask_b32_e32 v7, 0, v8, vcc
.LBB39_1243:
	s_branch .LBB39_1170
.LBB39_1244:
	s_cmp_lt_i32 s22, 5
	s_cbranch_scc1 .LBB39_1249
; %bb.1245:
	s_cmp_lt_i32 s22, 8
	s_cbranch_scc1 .LBB39_1250
; %bb.1246:
	;; [unrolled: 3-line block ×3, first 2 shown]
	s_cmp_gt_i32 s22, 9
	s_cbranch_scc0 .LBB39_1252
; %bb.1248:
	global_load_dwordx2 v[6:7], v[4:5], off
	s_mov_b64 s[0:1], 0
	s_branch .LBB39_1253
.LBB39_1249:
                                        ; implicit-def: $vgpr6_vgpr7
	s_branch .LBB39_1271
.LBB39_1250:
	s_mov_b64 s[0:1], -1
                                        ; implicit-def: $vgpr6_vgpr7
	s_branch .LBB39_1259
.LBB39_1251:
	s_mov_b64 s[0:1], -1
                                        ; implicit-def: $vgpr6_vgpr7
	s_branch .LBB39_1256
.LBB39_1252:
	s_mov_b64 s[0:1], -1
                                        ; implicit-def: $vgpr6_vgpr7
.LBB39_1253:
	s_andn2_b64 vcc, exec, s[0:1]
	s_cbranch_vccnz .LBB39_1255
; %bb.1254:
	global_load_dword v6, v[4:5], off
	s_waitcnt vmcnt(0)
	v_cvt_f64_f32_e32 v[6:7], v6
.LBB39_1255:
	s_mov_b64 s[0:1], 0
.LBB39_1256:
	s_andn2_b64 vcc, exec, s[0:1]
	s_cbranch_vccnz .LBB39_1258
; %bb.1257:
	global_load_dword v6, v[4:5], off
	s_waitcnt vmcnt(0)
	v_cvt_f32_f16_e32 v6, v6
	v_cvt_f64_f32_e32 v[6:7], v6
.LBB39_1258:
	s_mov_b64 s[0:1], 0
.LBB39_1259:
	s_andn2_b64 vcc, exec, s[0:1]
	s_cbranch_vccnz .LBB39_1270
; %bb.1260:
	s_cmp_lt_i32 s22, 6
	s_cbranch_scc1 .LBB39_1263
; %bb.1261:
	s_cmp_gt_i32 s22, 6
	s_cbranch_scc0 .LBB39_1264
; %bb.1262:
	global_load_dwordx2 v[6:7], v[4:5], off
	s_mov_b64 s[0:1], 0
	s_branch .LBB39_1265
.LBB39_1263:
	s_mov_b64 s[0:1], -1
                                        ; implicit-def: $vgpr6_vgpr7
	s_branch .LBB39_1268
.LBB39_1264:
	s_mov_b64 s[0:1], -1
                                        ; implicit-def: $vgpr6_vgpr7
.LBB39_1265:
	s_andn2_b64 vcc, exec, s[0:1]
	s_cbranch_vccnz .LBB39_1267
; %bb.1266:
	global_load_dword v6, v[4:5], off
	s_waitcnt vmcnt(0)
	v_cvt_f64_f32_e32 v[6:7], v6
.LBB39_1267:
	s_mov_b64 s[0:1], 0
.LBB39_1268:
	s_andn2_b64 vcc, exec, s[0:1]
	s_cbranch_vccnz .LBB39_1270
; %bb.1269:
	global_load_ushort v6, v[4:5], off
	s_waitcnt vmcnt(0)
	v_cvt_f32_f16_e32 v6, v6
	v_cvt_f64_f32_e32 v[6:7], v6
.LBB39_1270:
	s_cbranch_execnz .LBB39_1290
.LBB39_1271:
	s_cmp_lt_i32 s22, 2
	s_cbranch_scc1 .LBB39_1275
; %bb.1272:
	s_cmp_lt_i32 s22, 3
	s_cbranch_scc1 .LBB39_1276
; %bb.1273:
	s_cmp_gt_i32 s22, 3
	s_cbranch_scc0 .LBB39_1277
; %bb.1274:
	global_load_dwordx2 v[6:7], v[4:5], off
	s_mov_b64 s[0:1], 0
	s_waitcnt vmcnt(0)
	v_cvt_f64_i32_e32 v[7:8], v7
	v_cvt_f64_u32_e32 v[9:10], v6
	v_ldexp_f64 v[7:8], v[7:8], 32
	v_add_f64 v[6:7], v[7:8], v[9:10]
	s_branch .LBB39_1278
.LBB39_1275:
	s_mov_b64 s[0:1], -1
                                        ; implicit-def: $vgpr6_vgpr7
	s_branch .LBB39_1284
.LBB39_1276:
	s_mov_b64 s[0:1], -1
                                        ; implicit-def: $vgpr6_vgpr7
	s_branch .LBB39_1281
.LBB39_1277:
	s_mov_b64 s[0:1], -1
                                        ; implicit-def: $vgpr6_vgpr7
.LBB39_1278:
	s_andn2_b64 vcc, exec, s[0:1]
	s_cbranch_vccnz .LBB39_1280
; %bb.1279:
	global_load_dword v6, v[4:5], off
	s_waitcnt vmcnt(0)
	v_cvt_f64_i32_e32 v[6:7], v6
.LBB39_1280:
	s_mov_b64 s[0:1], 0
.LBB39_1281:
	s_andn2_b64 vcc, exec, s[0:1]
	s_cbranch_vccnz .LBB39_1283
; %bb.1282:
	global_load_sshort v6, v[4:5], off
	s_waitcnt vmcnt(0)
	v_cvt_f64_i32_e32 v[6:7], v6
.LBB39_1283:
	s_mov_b64 s[0:1], 0
.LBB39_1284:
	s_andn2_b64 vcc, exec, s[0:1]
	s_cbranch_vccnz .LBB39_1290
; %bb.1285:
	s_cmp_gt_i32 s22, 0
	s_cbranch_scc0 .LBB39_1287
; %bb.1286:
	global_load_sbyte v6, v[4:5], off
	s_mov_b64 s[0:1], 0
	s_waitcnt vmcnt(0)
	v_cvt_f64_i32_e32 v[6:7], v6
	s_branch .LBB39_1288
.LBB39_1287:
	s_mov_b64 s[0:1], -1
                                        ; implicit-def: $vgpr6_vgpr7
.LBB39_1288:
	s_andn2_b64 vcc, exec, s[0:1]
	s_cbranch_vccnz .LBB39_1290
; %bb.1289:
	global_load_ubyte v4, v[4:5], off
	s_waitcnt vmcnt(0)
	v_cvt_f64_u32_e32 v[6:7], v4
.LBB39_1290:
.LBB39_1291:
	s_waitcnt vmcnt(0)
	v_fma_f64 v[8:9], |v[6:7]|, -0.5, 0.5
	v_mul_f64 v[4:5], v[6:7], v[6:7]
	v_cmp_ge_f64_e64 vcc, |v[6:7]|, 0.5
	s_mov_b32 s0, 0x9fea6a70
	v_mov_b32_e32 v10, 0x78a05eaf
	v_mov_b32_e32 v11, 0xbf90a5a3
	s_mov_b32 s1, 0x3fa05985
	v_cndmask_b32_e32 v5, v5, v9, vcc
	v_cndmask_b32_e32 v4, v4, v8, vcc
	v_fma_f64 v[10:11], v[4:5], s[0:1], v[10:11]
	s_mov_b32 s0, 0x37024d6a
	s_mov_b32 s1, 0x3f940521
	v_fma_f64 v[10:11], v[4:5], v[10:11], s[0:1]
	s_mov_b32 s0, 0x98a70509
	s_mov_b32 s1, 0x3f7ab3a0
	;; [unrolled: 3-line block ×10, first 2 shown]
	v_fma_f64 v[10:11], v[4:5], v[10:11], s[0:1]
	v_mul_f64 v[10:11], v[4:5], v[10:11]
	v_fma_f64 v[4:5], |v[6:7]|, v[10:11], |v[6:7]|
	s_and_saveexec_b64 s[0:1], vcc
	s_cbranch_execz .LBB39_1293
; %bb.1292:
	v_rsq_f64_e32 v[4:5], v[8:9]
	v_cmp_eq_f64_e32 vcc, 0, v[8:9]
	s_mov_b32 s12, 0x54442d18
	s_mov_b32 s13, 0x3fe921fb
	v_mul_f64 v[12:13], v[8:9], v[4:5]
	v_mul_f64 v[4:5], v[4:5], 0.5
	v_fma_f64 v[14:15], -v[4:5], v[12:13], 0.5
	v_fma_f64 v[12:13], v[12:13], v[14:15], v[12:13]
	v_fma_f64 v[4:5], v[4:5], v[14:15], v[4:5]
	v_fma_f64 v[14:15], -v[12:13], v[12:13], v[8:9]
	v_fma_f64 v[4:5], v[14:15], v[4:5], v[12:13]
	v_cndmask_b32_e32 v5, v5, v9, vcc
	v_cndmask_b32_e32 v4, v4, v8, vcc
	v_add_f64 v[12:13], v[4:5], v[4:5]
	v_mul_f64 v[14:15], v[4:5], v[4:5]
	v_rcp_f64_e32 v[16:17], v[12:13]
	v_add_f64 v[18:19], v[8:9], -v[14:15]
	v_fma_f64 v[23:24], v[4:5], v[4:5], -v[14:15]
	v_add_f64 v[8:9], v[8:9], -v[18:19]
	v_fma_f64 v[21:22], -v[12:13], v[16:17], 1.0
	v_add_f64 v[8:9], v[8:9], -v[14:15]
	v_fma_f64 v[14:15], v[21:22], v[16:17], v[16:17]
	v_add_f64 v[8:9], v[8:9], -v[23:24]
	v_fma_f64 v[16:17], -v[12:13], v[14:15], 1.0
	v_add_f64 v[8:9], v[18:19], v[8:9]
	v_fma_f64 v[14:15], v[16:17], v[14:15], v[14:15]
	v_mul_f64 v[16:17], v[8:9], v[14:15]
	v_fma_f64 v[8:9], -v[12:13], v[16:17], v[8:9]
	v_fma_f64 v[8:9], v[8:9], v[14:15], v[16:17]
	v_cndmask_b32_e64 v9, v9, 0, vcc
	v_cndmask_b32_e64 v8, v8, 0, vcc
	v_add_f64 v[12:13], v[4:5], v[8:9]
	v_cmp_neq_f64_e64 vcc, |v[6:7]|, 1.0
	v_mov_b32_e32 v6, 0x54442d18
	v_add_f64 v[4:5], v[12:13], -v[4:5]
	v_mul_f64 v[14:15], v[10:11], v[12:13]
	v_add_f64 v[4:5], v[8:9], -v[4:5]
	v_fma_f64 v[8:9], v[12:13], v[10:11], -v[14:15]
	v_fma_f64 v[8:9], v[4:5], v[10:11], v[8:9]
	v_add_f64 v[10:11], v[14:15], v[8:9]
	v_add_f64 v[16:17], v[12:13], v[10:11]
	v_add_f64 v[14:15], v[10:11], -v[14:15]
	v_add_f64 v[12:13], v[16:17], -v[12:13]
	;; [unrolled: 1-line block ×4, first 2 shown]
	v_add_f64 v[4:5], v[4:5], v[8:9]
	v_add_f64 v[4:5], v[4:5], v[10:11]
	;; [unrolled: 1-line block ×3, first 2 shown]
	v_add_f64 v[10:11], -v[8:9], s[12:13]
	v_add_f64 v[14:15], v[8:9], -v[16:17]
	v_add_f64 v[12:13], -v[10:11], s[12:13]
	s_mov_b32 s12, 0x33145c07
	s_mov_b32 s13, 0x3c81a626
	v_add_f64 v[4:5], v[14:15], -v[4:5]
	v_add_f64 v[8:9], v[12:13], -v[8:9]
	v_add_f64 v[8:9], v[8:9], s[12:13]
	v_add_f64 v[4:5], v[4:5], v[8:9]
	v_mov_b32_e32 v8, 0x3ff921fb
	v_add_f64 v[4:5], v[10:11], v[4:5]
	v_add_f64 v[4:5], v[4:5], v[4:5]
	v_cndmask_b32_e32 v5, v8, v5, vcc
	v_cndmask_b32_e32 v4, v6, v4, vcc
.LBB39_1293:
	s_or_b64 exec, exec, s[0:1]
	v_add_u32_e32 v2, s3, v2
	v_ashrrev_i32_e32 v6, 31, v2
	v_mov_b32_e32 v9, s11
	v_add_co_u32_e32 v8, vcc, s10, v2
	s_cmp_lt_i32 s22, 11
	v_addc_co_u32_e32 v9, vcc, v9, v6, vcc
	s_cbranch_scc1 .LBB39_1300
; %bb.1294:
	s_cmp_gt_i32 s22, 25
	s_mov_b64 s[12:13], 0
	s_cbranch_scc0 .LBB39_1302
; %bb.1295:
	s_cmp_gt_i32 s22, 28
	s_cbranch_scc0 .LBB39_1303
; %bb.1296:
	s_cmp_gt_i32 s22, 43
	;; [unrolled: 3-line block ×3, first 2 shown]
	s_cbranch_scc0 .LBB39_1306
; %bb.1298:
	s_cmp_eq_u32 s22, 46
	s_mov_b64 s[18:19], 0
	s_cbranch_scc0 .LBB39_1307
; %bb.1299:
	global_load_dword v6, v[8:9], off
	s_mov_b64 s[0:1], 0
	s_mov_b64 s[16:17], -1
	s_waitcnt vmcnt(0)
	v_lshlrev_b32_e32 v6, 16, v6
	v_cvt_f64_f32_e32 v[12:13], v6
	s_branch .LBB39_1308
.LBB39_1300:
	s_mov_b64 s[16:17], 0
                                        ; implicit-def: $vgpr12_vgpr13
	s_cbranch_execnz .LBB39_1374
.LBB39_1301:
	s_andn2_b64 vcc, exec, s[16:17]
	s_cbranch_vccnz .LBB39_1989
	s_branch .LBB39_1422
.LBB39_1302:
	s_mov_b64 s[18:19], -1
	s_mov_b64 s[16:17], 0
	s_mov_b64 s[0:1], 0
                                        ; implicit-def: $vgpr12_vgpr13
	s_branch .LBB39_1339
.LBB39_1303:
	s_mov_b64 s[18:19], -1
	s_mov_b64 s[16:17], 0
	s_mov_b64 s[0:1], 0
                                        ; implicit-def: $vgpr12_vgpr13
	s_branch .LBB39_1318
.LBB39_1304:
	s_mov_b64 s[18:19], -1
	s_mov_b64 s[16:17], 0
	s_mov_b64 s[0:1], 0
                                        ; implicit-def: $vgpr12_vgpr13
	s_branch .LBB39_1313
.LBB39_1305:
	s_trap 2
	s_or_b64 s[14:15], s[14:15], exec
	s_cbranch_execz .LBB39_1242
	s_branch .LBB39_1243
.LBB39_1306:
	s_mov_b64 s[18:19], -1
	s_mov_b64 s[16:17], 0
	s_mov_b64 s[0:1], 0
                                        ; implicit-def: $vgpr12_vgpr13
	s_branch .LBB39_1308
.LBB39_1307:
	s_mov_b64 s[0:1], -1
                                        ; implicit-def: $vgpr12_vgpr13
	s_mov_b64 s[16:17], 0
.LBB39_1308:
	s_and_b64 vcc, exec, s[18:19]
	s_cbranch_vccz .LBB39_1312
; %bb.1309:
	s_cmp_eq_u32 s22, 44
	s_cbranch_scc0 .LBB39_1311
; %bb.1310:
	global_load_ubyte v6, v[8:9], off
	s_movk_i32 s16, 0xff
	v_bfrev_b32_e32 v12, 4
	v_mov_b32_e32 v13, 0x7ff80000
	v_bfrev_b32_e32 v14, 28
	s_mov_b64 s[0:1], 0
	s_waitcnt vmcnt(0)
	v_lshlrev_b32_e32 v10, 23, v6
	v_cvt_f64_f32_e32 v[10:11], v10
	v_cmp_ne_u32_e32 vcc, s16, v6
	s_mov_b64 s[16:17], -1
	v_cndmask_b32_e32 v10, v12, v10, vcc
	v_cndmask_b32_e32 v11, v13, v11, vcc
	v_cmp_ne_u32_e32 vcc, 0, v6
	v_cndmask_b32_e32 v13, v14, v11, vcc
	v_cndmask_b32_e32 v12, 0, v10, vcc
	s_branch .LBB39_1312
.LBB39_1311:
	s_mov_b64 s[0:1], -1
                                        ; implicit-def: $vgpr12_vgpr13
.LBB39_1312:
	s_mov_b64 s[18:19], 0
.LBB39_1313:
	s_and_b64 vcc, exec, s[18:19]
	s_cbranch_vccz .LBB39_1317
; %bb.1314:
	s_cmp_eq_u32 s22, 29
	s_cbranch_scc0 .LBB39_1316
; %bb.1315:
	global_load_dwordx2 v[10:11], v[8:9], off
	s_mov_b64 s[0:1], 0
	s_mov_b64 s[16:17], -1
	s_mov_b64 s[18:19], 0
	s_waitcnt vmcnt(0)
	v_cvt_f64_u32_e32 v[11:12], v11
	v_cvt_f64_u32_e32 v[13:14], v10
	v_ldexp_f64 v[11:12], v[11:12], 32
	v_add_f64 v[12:13], v[11:12], v[13:14]
	s_branch .LBB39_1318
.LBB39_1316:
	s_mov_b64 s[0:1], -1
                                        ; implicit-def: $vgpr12_vgpr13
.LBB39_1317:
	s_mov_b64 s[18:19], 0
.LBB39_1318:
	s_and_b64 vcc, exec, s[18:19]
	s_cbranch_vccz .LBB39_1338
; %bb.1319:
	s_cmp_lt_i32 s22, 27
	s_cbranch_scc1 .LBB39_1322
; %bb.1320:
	s_cmp_gt_i32 s22, 27
	s_cbranch_scc0 .LBB39_1323
; %bb.1321:
	global_load_dword v6, v[8:9], off
	s_mov_b64 s[16:17], 0
	s_waitcnt vmcnt(0)
	v_cvt_f64_u32_e32 v[12:13], v6
	s_branch .LBB39_1324
.LBB39_1322:
	s_mov_b64 s[16:17], -1
                                        ; implicit-def: $vgpr12_vgpr13
	s_branch .LBB39_1327
.LBB39_1323:
	s_mov_b64 s[16:17], -1
                                        ; implicit-def: $vgpr12_vgpr13
.LBB39_1324:
	s_andn2_b64 vcc, exec, s[16:17]
	s_cbranch_vccnz .LBB39_1326
; %bb.1325:
	global_load_ushort v6, v[8:9], off
	s_waitcnt vmcnt(0)
	v_cvt_f64_u32_e32 v[12:13], v6
.LBB39_1326:
	s_mov_b64 s[16:17], 0
.LBB39_1327:
	s_andn2_b64 vcc, exec, s[16:17]
	s_cbranch_vccnz .LBB39_1337
; %bb.1328:
	global_load_ubyte v6, v[8:9], off
	s_movk_i32 s16, 0x7f
	s_waitcnt vmcnt(0)
	v_cmp_lt_i16_e32 vcc, s16, v6
	s_mov_b64 s[16:17], 0
	s_and_saveexec_b64 s[18:19], vcc
	s_xor_b64 s[18:19], exec, s[18:19]
	s_cbranch_execz .LBB39_1332
; %bb.1329:
	s_movk_i32 s16, 0x80
	v_cmp_eq_u16_e32 vcc, s16, v6
	s_mov_b64 s[16:17], -1
	s_and_saveexec_b64 s[20:21], vcc
; %bb.1330:
	s_xor_b64 s[16:17], exec, -1
; %bb.1331:
	s_or_b64 exec, exec, s[20:21]
	s_and_b64 s[16:17], s[16:17], exec
.LBB39_1332:
	s_or_saveexec_b64 s[18:19], s[18:19]
	v_bfrev_b32_e32 v12, 4
	v_mov_b32_e32 v13, 0x7ff80000
	s_xor_b64 exec, exec, s[18:19]
; %bb.1333:
	v_cmp_ne_u16_e32 vcc, 0, v6
	v_mov_b32_e32 v12, 0
	s_andn2_b64 s[16:17], s[16:17], exec
	s_and_b64 s[20:21], vcc, exec
	v_mov_b32_e32 v13, 0
	s_or_b64 s[16:17], s[16:17], s[20:21]
; %bb.1334:
	s_or_b64 exec, exec, s[18:19]
	s_and_saveexec_b64 s[18:19], s[16:17]
	s_cbranch_execz .LBB39_1336
; %bb.1335:
	v_lshlrev_b32_e32 v10, 24, v6
	v_and_b32_e32 v6, 0xffff, v6
	v_and_b32_e32 v11, 7, v6
	v_ffbh_u32_e32 v13, v11
	v_min_u32_e32 v13, 32, v13
	v_subrev_u32_e32 v14, 28, v13
	v_bfe_u32 v12, v6, 3, 4
	v_lshlrev_b32_e32 v6, v14, v6
	v_sub_u32_e32 v13, 29, v13
	v_and_b32_e32 v6, 7, v6
	v_cmp_eq_u32_e32 vcc, 0, v12
	v_cndmask_b32_e32 v12, v12, v13, vcc
	v_cndmask_b32_e32 v6, v11, v6, vcc
	v_mov_b32_e32 v11, 0x3b800000
	v_lshlrev_b32_e32 v6, 20, v6
	v_and_b32_e32 v10, 0x80000000, v10
	v_lshl_add_u32 v11, v12, 23, v11
	v_or3_b32 v6, v10, v11, v6
	v_cvt_f64_f32_e32 v[12:13], v6
.LBB39_1336:
	s_or_b64 exec, exec, s[18:19]
.LBB39_1337:
	s_mov_b64 s[16:17], -1
.LBB39_1338:
	s_mov_b64 s[18:19], 0
.LBB39_1339:
	s_and_b64 vcc, exec, s[18:19]
	s_cbranch_vccz .LBB39_1370
; %bb.1340:
	s_cmp_gt_i32 s22, 22
	s_cbranch_scc0 .LBB39_1352
; %bb.1341:
	s_cmp_lt_i32 s22, 24
	s_cbranch_scc1 .LBB39_1353
; %bb.1342:
	s_cmp_gt_i32 s22, 24
	s_cbranch_scc0 .LBB39_1354
; %bb.1343:
	global_load_ubyte v6, v[8:9], off
	s_movk_i32 s12, 0x7f
	s_waitcnt vmcnt(0)
	v_cmp_lt_i16_e32 vcc, s12, v6
	s_mov_b64 s[12:13], 0
	s_and_saveexec_b64 s[16:17], vcc
	s_xor_b64 s[16:17], exec, s[16:17]
	s_cbranch_execz .LBB39_1347
; %bb.1344:
	s_movk_i32 s12, 0x80
	v_cmp_eq_u16_e32 vcc, s12, v6
	s_mov_b64 s[12:13], -1
	s_and_saveexec_b64 s[18:19], vcc
; %bb.1345:
	s_xor_b64 s[12:13], exec, -1
; %bb.1346:
	s_or_b64 exec, exec, s[18:19]
	s_and_b64 s[12:13], s[12:13], exec
.LBB39_1347:
	s_or_saveexec_b64 s[16:17], s[16:17]
	v_bfrev_b32_e32 v12, 4
	v_mov_b32_e32 v13, 0x7ff80000
	s_xor_b64 exec, exec, s[16:17]
; %bb.1348:
	v_cmp_ne_u16_e32 vcc, 0, v6
	v_mov_b32_e32 v12, 0
	s_andn2_b64 s[12:13], s[12:13], exec
	s_and_b64 s[18:19], vcc, exec
	v_mov_b32_e32 v13, 0
	s_or_b64 s[12:13], s[12:13], s[18:19]
; %bb.1349:
	s_or_b64 exec, exec, s[16:17]
	s_and_saveexec_b64 s[16:17], s[12:13]
	s_cbranch_execz .LBB39_1351
; %bb.1350:
	v_lshlrev_b32_e32 v10, 24, v6
	v_and_b32_e32 v6, 0xffff, v6
	v_and_b32_e32 v11, 3, v6
	v_ffbh_u32_e32 v13, v11
	v_min_u32_e32 v13, 32, v13
	v_subrev_u32_e32 v14, 29, v13
	v_bfe_u32 v12, v6, 2, 5
	v_lshlrev_b32_e32 v6, v14, v6
	v_sub_u32_e32 v13, 30, v13
	v_and_b32_e32 v6, 3, v6
	v_cmp_eq_u32_e32 vcc, 0, v12
	v_cndmask_b32_e32 v12, v12, v13, vcc
	v_cndmask_b32_e32 v6, v11, v6, vcc
	v_mov_b32_e32 v11, 0x37800000
	v_lshlrev_b32_e32 v6, 21, v6
	v_and_b32_e32 v10, 0x80000000, v10
	v_lshl_add_u32 v11, v12, 23, v11
	v_or3_b32 v6, v10, v11, v6
	v_cvt_f64_f32_e32 v[12:13], v6
.LBB39_1351:
	s_or_b64 exec, exec, s[16:17]
	s_mov_b64 s[12:13], 0
	s_branch .LBB39_1355
.LBB39_1352:
	s_mov_b64 s[12:13], -1
                                        ; implicit-def: $vgpr12_vgpr13
	s_branch .LBB39_1361
.LBB39_1353:
	s_mov_b64 s[12:13], -1
                                        ; implicit-def: $vgpr12_vgpr13
	s_branch .LBB39_1358
.LBB39_1354:
	s_mov_b64 s[12:13], -1
                                        ; implicit-def: $vgpr12_vgpr13
.LBB39_1355:
	s_and_b64 vcc, exec, s[12:13]
	s_cbranch_vccz .LBB39_1357
; %bb.1356:
	global_load_ubyte v6, v[8:9], off
	s_mov_b32 s12, 0x7f800000
	s_waitcnt vmcnt(0)
	v_lshlrev_b32_e32 v6, 24, v6
	v_and_b32_e32 v10, 0x7f000000, v6
	v_ffbh_u32_e32 v11, v10
	v_min_u32_e32 v11, 32, v11
	v_sub_u32_e64 v11, v11, 4 clamp
	v_lshlrev_b32_e32 v13, v11, v10
	v_lshlrev_b32_e32 v11, 23, v11
	v_lshrrev_b32_e32 v13, 4, v13
	v_add_u32_e32 v12, 0x1000000, v10
	v_sub_u32_e32 v11, v13, v11
	v_ashrrev_i32_e32 v12, 8, v12
	v_add_u32_e32 v11, 0x3c000000, v11
	v_and_or_b32 v11, v12, s12, v11
	v_cmp_ne_u32_e32 vcc, 0, v10
	v_cndmask_b32_e32 v10, 0, v11, vcc
	s_brev_b32 s12, 1
	v_and_or_b32 v6, v6, s12, v10
	v_cvt_f64_f32_e32 v[12:13], v6
.LBB39_1357:
	s_mov_b64 s[12:13], 0
.LBB39_1358:
	s_andn2_b64 vcc, exec, s[12:13]
	s_cbranch_vccnz .LBB39_1360
; %bb.1359:
	global_load_ubyte v6, v[8:9], off
	s_movk_i32 s12, 0x7f00
	s_brev_b32 s13, 16
	s_waitcnt vmcnt(0)
	v_lshlrev_b16_e32 v10, 8, v6
	v_lshlrev_b32_e32 v6, 25, v6
	v_lshrrev_b32_e32 v11, 4, v6
	v_and_or_b32 v12, v10, s12, 0.5
	v_or_b32_e32 v11, 0x70000000, v11
	v_add_f32_e32 v12, -0.5, v12
	v_mul_f32_e32 v11, 0x7800000, v11
	v_cmp_gt_u32_e32 vcc, s13, v6
	v_bfe_i32 v10, v10, 0, 16
	v_cndmask_b32_e32 v6, v11, v12, vcc
	s_brev_b32 s12, 1
	v_and_or_b32 v6, v10, s12, v6
	v_cvt_f64_f32_e32 v[12:13], v6
.LBB39_1360:
	s_mov_b64 s[12:13], 0
	s_mov_b64 s[16:17], -1
.LBB39_1361:
	s_andn2_b64 vcc, exec, s[12:13]
	s_mov_b64 s[12:13], 0
	s_cbranch_vccnz .LBB39_1370
; %bb.1362:
	s_cmp_gt_i32 s22, 14
	s_cbranch_scc0 .LBB39_1365
; %bb.1363:
	s_cmp_eq_u32 s22, 15
	s_cbranch_scc0 .LBB39_1366
; %bb.1364:
	global_load_ushort v6, v[8:9], off
	s_mov_b64 s[0:1], 0
	s_mov_b64 s[16:17], -1
	s_waitcnt vmcnt(0)
	v_lshlrev_b32_e32 v6, 16, v6
	v_cvt_f64_f32_e32 v[12:13], v6
	s_branch .LBB39_1367
.LBB39_1365:
	s_mov_b64 s[18:19], -1
                                        ; implicit-def: $vgpr12_vgpr13
	s_branch .LBB39_1368
.LBB39_1366:
	s_mov_b64 s[0:1], -1
                                        ; implicit-def: $vgpr12_vgpr13
.LBB39_1367:
	s_mov_b64 s[18:19], 0
.LBB39_1368:
	s_and_b64 vcc, exec, s[18:19]
	s_cbranch_vccz .LBB39_1370
; %bb.1369:
	s_cmp_lg_u32 s22, 11
	s_mov_b64 s[12:13], -1
	s_cselect_b64 s[0:1], -1, 0
.LBB39_1370:
	s_and_b64 vcc, exec, s[0:1]
	s_cbranch_vccnz .LBB39_1435
; %bb.1371:
	s_andn2_b64 vcc, exec, s[12:13]
	s_cbranch_vccnz .LBB39_1373
.LBB39_1372:
	global_load_ubyte v6, v[8:9], off
	v_mov_b32_e32 v10, 0x3ff00000
	v_mov_b32_e32 v12, 0
	s_mov_b64 s[16:17], -1
	s_waitcnt vmcnt(0)
	v_cmp_ne_u16_e32 vcc, 0, v6
	v_cndmask_b32_e32 v13, 0, v10, vcc
.LBB39_1373:
	s_branch .LBB39_1301
.LBB39_1374:
	s_cmp_lt_i32 s22, 5
	s_cbranch_scc1 .LBB39_1379
; %bb.1375:
	s_cmp_lt_i32 s22, 8
	s_cbranch_scc1 .LBB39_1380
; %bb.1376:
	;; [unrolled: 3-line block ×3, first 2 shown]
	s_cmp_gt_i32 s22, 9
	s_cbranch_scc0 .LBB39_1382
; %bb.1378:
	global_load_dwordx2 v[12:13], v[8:9], off
	s_mov_b64 s[0:1], 0
	s_branch .LBB39_1383
.LBB39_1379:
	s_mov_b64 s[0:1], -1
                                        ; implicit-def: $vgpr12_vgpr13
	s_branch .LBB39_1401
.LBB39_1380:
	s_mov_b64 s[0:1], -1
                                        ; implicit-def: $vgpr12_vgpr13
	s_branch .LBB39_1389
.LBB39_1381:
	s_mov_b64 s[0:1], -1
                                        ; implicit-def: $vgpr12_vgpr13
	s_branch .LBB39_1386
.LBB39_1382:
	s_mov_b64 s[0:1], -1
                                        ; implicit-def: $vgpr12_vgpr13
.LBB39_1383:
	s_andn2_b64 vcc, exec, s[0:1]
	s_cbranch_vccnz .LBB39_1385
; %bb.1384:
	global_load_dword v6, v[8:9], off
	s_waitcnt vmcnt(0)
	v_cvt_f64_f32_e32 v[12:13], v6
.LBB39_1385:
	s_mov_b64 s[0:1], 0
.LBB39_1386:
	s_andn2_b64 vcc, exec, s[0:1]
	s_cbranch_vccnz .LBB39_1388
; %bb.1387:
	global_load_dword v6, v[8:9], off
	s_waitcnt vmcnt(0)
	v_cvt_f32_f16_e32 v6, v6
	v_cvt_f64_f32_e32 v[12:13], v6
.LBB39_1388:
	s_mov_b64 s[0:1], 0
.LBB39_1389:
	s_andn2_b64 vcc, exec, s[0:1]
	s_cbranch_vccnz .LBB39_1400
; %bb.1390:
	s_cmp_lt_i32 s22, 6
	s_cbranch_scc1 .LBB39_1393
; %bb.1391:
	s_cmp_gt_i32 s22, 6
	s_cbranch_scc0 .LBB39_1394
; %bb.1392:
	global_load_dwordx2 v[12:13], v[8:9], off
	s_mov_b64 s[0:1], 0
	s_branch .LBB39_1395
.LBB39_1393:
	s_mov_b64 s[0:1], -1
                                        ; implicit-def: $vgpr12_vgpr13
	s_branch .LBB39_1398
.LBB39_1394:
	s_mov_b64 s[0:1], -1
                                        ; implicit-def: $vgpr12_vgpr13
.LBB39_1395:
	s_andn2_b64 vcc, exec, s[0:1]
	s_cbranch_vccnz .LBB39_1397
; %bb.1396:
	global_load_dword v6, v[8:9], off
	s_waitcnt vmcnt(0)
	v_cvt_f64_f32_e32 v[12:13], v6
.LBB39_1397:
	s_mov_b64 s[0:1], 0
.LBB39_1398:
	s_andn2_b64 vcc, exec, s[0:1]
	s_cbranch_vccnz .LBB39_1400
; %bb.1399:
	global_load_ushort v6, v[8:9], off
	s_waitcnt vmcnt(0)
	v_cvt_f32_f16_e32 v6, v6
	v_cvt_f64_f32_e32 v[12:13], v6
.LBB39_1400:
	s_mov_b64 s[0:1], 0
.LBB39_1401:
	s_andn2_b64 vcc, exec, s[0:1]
	s_cbranch_vccnz .LBB39_1421
; %bb.1402:
	s_cmp_lt_i32 s22, 2
	s_cbranch_scc1 .LBB39_1406
; %bb.1403:
	s_cmp_lt_i32 s22, 3
	s_cbranch_scc1 .LBB39_1407
; %bb.1404:
	s_cmp_gt_i32 s22, 3
	s_cbranch_scc0 .LBB39_1408
; %bb.1405:
	global_load_dwordx2 v[10:11], v[8:9], off
	s_mov_b64 s[0:1], 0
	s_waitcnt vmcnt(0)
	v_cvt_f64_i32_e32 v[11:12], v11
	v_cvt_f64_u32_e32 v[13:14], v10
	v_ldexp_f64 v[11:12], v[11:12], 32
	v_add_f64 v[12:13], v[11:12], v[13:14]
	s_branch .LBB39_1409
.LBB39_1406:
	s_mov_b64 s[0:1], -1
                                        ; implicit-def: $vgpr12_vgpr13
	s_branch .LBB39_1415
.LBB39_1407:
	s_mov_b64 s[0:1], -1
                                        ; implicit-def: $vgpr12_vgpr13
	s_branch .LBB39_1412
.LBB39_1408:
	s_mov_b64 s[0:1], -1
                                        ; implicit-def: $vgpr12_vgpr13
.LBB39_1409:
	s_andn2_b64 vcc, exec, s[0:1]
	s_cbranch_vccnz .LBB39_1411
; %bb.1410:
	global_load_dword v6, v[8:9], off
	s_waitcnt vmcnt(0)
	v_cvt_f64_i32_e32 v[12:13], v6
.LBB39_1411:
	s_mov_b64 s[0:1], 0
.LBB39_1412:
	s_andn2_b64 vcc, exec, s[0:1]
	s_cbranch_vccnz .LBB39_1414
; %bb.1413:
	global_load_sshort v6, v[8:9], off
	s_waitcnt vmcnt(0)
	v_cvt_f64_i32_e32 v[12:13], v6
.LBB39_1414:
	s_mov_b64 s[0:1], 0
.LBB39_1415:
	s_andn2_b64 vcc, exec, s[0:1]
	s_cbranch_vccnz .LBB39_1421
; %bb.1416:
	s_cmp_gt_i32 s22, 0
	s_cbranch_scc0 .LBB39_1418
; %bb.1417:
	global_load_sbyte v6, v[8:9], off
	s_mov_b64 s[0:1], 0
	s_waitcnt vmcnt(0)
	v_cvt_f64_i32_e32 v[12:13], v6
	s_branch .LBB39_1419
.LBB39_1418:
	s_mov_b64 s[0:1], -1
                                        ; implicit-def: $vgpr12_vgpr13
.LBB39_1419:
	s_andn2_b64 vcc, exec, s[0:1]
	s_cbranch_vccnz .LBB39_1421
; %bb.1420:
	global_load_ubyte v6, v[8:9], off
	s_waitcnt vmcnt(0)
	v_cvt_f64_u32_e32 v[12:13], v6
.LBB39_1421:
.LBB39_1422:
	s_waitcnt vmcnt(0)
	v_fma_f64 v[8:9], |v[12:13]|, -0.5, 0.5
	v_mul_f64 v[10:11], v[12:13], v[12:13]
	v_cmp_ge_f64_e64 vcc, |v[12:13]|, 0.5
	s_mov_b32 s0, 0x9fea6a70
	v_mov_b32_e32 v14, 0x78a05eaf
	v_mov_b32_e32 v15, 0xbf90a5a3
	s_mov_b32 s1, 0x3fa05985
	v_cndmask_b32_e32 v11, v11, v9, vcc
	v_cndmask_b32_e32 v10, v10, v8, vcc
	v_fma_f64 v[14:15], v[10:11], s[0:1], v[14:15]
	s_mov_b32 s0, 0x37024d6a
	s_mov_b32 s1, 0x3f940521
	v_fma_f64 v[14:15], v[10:11], v[14:15], s[0:1]
	s_mov_b32 s0, 0x98a70509
	s_mov_b32 s1, 0x3f7ab3a0
	;; [unrolled: 3-line block ×10, first 2 shown]
	v_fma_f64 v[14:15], v[10:11], v[14:15], s[0:1]
	v_mul_f64 v[14:15], v[10:11], v[14:15]
	v_fma_f64 v[10:11], |v[12:13]|, v[14:15], |v[12:13]|
	s_and_saveexec_b64 s[0:1], vcc
	s_cbranch_execz .LBB39_1424
; %bb.1423:
	v_rsq_f64_e32 v[10:11], v[8:9]
	v_cmp_eq_f64_e32 vcc, 0, v[8:9]
	s_mov_b32 s12, 0x54442d18
	s_mov_b32 s13, 0x3fe921fb
	v_mov_b32_e32 v6, 0x3ff921fb
	v_mul_f64 v[16:17], v[8:9], v[10:11]
	v_mul_f64 v[10:11], v[10:11], 0.5
	v_fma_f64 v[18:19], -v[10:11], v[16:17], 0.5
	v_fma_f64 v[16:17], v[16:17], v[18:19], v[16:17]
	v_fma_f64 v[10:11], v[10:11], v[18:19], v[10:11]
	v_fma_f64 v[18:19], -v[16:17], v[16:17], v[8:9]
	v_fma_f64 v[10:11], v[18:19], v[10:11], v[16:17]
	v_cndmask_b32_e32 v11, v11, v9, vcc
	v_cndmask_b32_e32 v10, v10, v8, vcc
	v_add_f64 v[16:17], v[10:11], v[10:11]
	v_mul_f64 v[18:19], v[10:11], v[10:11]
	v_rcp_f64_e32 v[21:22], v[16:17]
	v_add_f64 v[23:24], v[8:9], -v[18:19]
	v_fma_f64 v[27:28], v[10:11], v[10:11], -v[18:19]
	v_add_f64 v[8:9], v[8:9], -v[23:24]
	v_fma_f64 v[25:26], -v[16:17], v[21:22], 1.0
	v_add_f64 v[8:9], v[8:9], -v[18:19]
	v_fma_f64 v[18:19], v[25:26], v[21:22], v[21:22]
	v_add_f64 v[8:9], v[8:9], -v[27:28]
	v_fma_f64 v[21:22], -v[16:17], v[18:19], 1.0
	v_add_f64 v[8:9], v[23:24], v[8:9]
	v_fma_f64 v[18:19], v[21:22], v[18:19], v[18:19]
	v_mul_f64 v[21:22], v[8:9], v[18:19]
	v_fma_f64 v[8:9], -v[16:17], v[21:22], v[8:9]
	v_fma_f64 v[8:9], v[8:9], v[18:19], v[21:22]
	v_cndmask_b32_e64 v9, v9, 0, vcc
	v_cndmask_b32_e64 v8, v8, 0, vcc
	v_add_f64 v[16:17], v[10:11], v[8:9]
	v_cmp_neq_f64_e64 vcc, |v[12:13]|, 1.0
	v_add_f64 v[10:11], v[16:17], -v[10:11]
	v_mul_f64 v[18:19], v[14:15], v[16:17]
	v_add_f64 v[8:9], v[8:9], -v[10:11]
	v_fma_f64 v[10:11], v[16:17], v[14:15], -v[18:19]
	v_fma_f64 v[10:11], v[8:9], v[14:15], v[10:11]
	v_add_f64 v[14:15], v[18:19], v[10:11]
	v_add_f64 v[21:22], v[16:17], v[14:15]
	v_add_f64 v[18:19], v[14:15], -v[18:19]
	v_add_f64 v[16:17], v[21:22], -v[16:17]
	;; [unrolled: 1-line block ×4, first 2 shown]
	v_add_f64 v[8:9], v[8:9], v[10:11]
	v_add_f64 v[8:9], v[8:9], v[14:15]
	;; [unrolled: 1-line block ×3, first 2 shown]
	v_add_f64 v[14:15], -v[10:11], s[12:13]
	v_add_f64 v[18:19], v[10:11], -v[21:22]
	v_add_f64 v[16:17], -v[14:15], s[12:13]
	s_mov_b32 s12, 0x33145c07
	s_mov_b32 s13, 0x3c81a626
	v_add_f64 v[8:9], v[18:19], -v[8:9]
	v_add_f64 v[10:11], v[16:17], -v[10:11]
	v_add_f64 v[10:11], v[10:11], s[12:13]
	v_add_f64 v[8:9], v[8:9], v[10:11]
	v_mov_b32_e32 v10, 0x54442d18
	v_add_f64 v[8:9], v[14:15], v[8:9]
	v_add_f64 v[8:9], v[8:9], v[8:9]
	v_cndmask_b32_e32 v11, v6, v9, vcc
	v_cndmask_b32_e32 v10, v10, v8, vcc
.LBB39_1424:
	s_or_b64 exec, exec, s[0:1]
	v_add_u32_e32 v2, s3, v2
	v_ashrrev_i32_e32 v6, 31, v2
	v_mov_b32_e32 v9, s11
	v_add_co_u32_e32 v8, vcc, s10, v2
	s_cmp_lt_i32 s22, 11
	v_addc_co_u32_e32 v9, vcc, v9, v6, vcc
	s_cbranch_scc1 .LBB39_1431
; %bb.1425:
	s_cmp_gt_i32 s22, 25
	s_mov_b64 s[10:11], 0
	s_cbranch_scc0 .LBB39_1432
; %bb.1426:
	s_cmp_gt_i32 s22, 28
	s_cbranch_scc0 .LBB39_1433
; %bb.1427:
	s_cmp_gt_i32 s22, 43
	;; [unrolled: 3-line block ×3, first 2 shown]
	s_cbranch_scc0 .LBB39_1436
; %bb.1429:
	s_cmp_eq_u32 s22, 46
	s_mov_b64 s[16:17], 0
	s_cbranch_scc0 .LBB39_1437
; %bb.1430:
	global_load_dword v2, v[8:9], off
	s_mov_b64 s[0:1], 0
	s_mov_b64 s[12:13], -1
	s_waitcnt vmcnt(0)
	v_lshlrev_b32_e32 v2, 16, v2
	v_cvt_f64_f32_e32 v[14:15], v2
	s_branch .LBB39_1438
.LBB39_1431:
	s_mov_b64 s[0:1], -1
	s_mov_b64 s[12:13], 0
                                        ; implicit-def: $vgpr14_vgpr15
	s_branch .LBB39_1504
.LBB39_1432:
	s_mov_b64 s[16:17], -1
	s_mov_b64 s[12:13], 0
	s_mov_b64 s[0:1], 0
                                        ; implicit-def: $vgpr14_vgpr15
	s_branch .LBB39_1469
.LBB39_1433:
	s_mov_b64 s[16:17], -1
	s_mov_b64 s[12:13], 0
	s_mov_b64 s[0:1], 0
                                        ; implicit-def: $vgpr14_vgpr15
	s_branch .LBB39_1448
.LBB39_1434:
	s_mov_b64 s[16:17], -1
	s_mov_b64 s[12:13], 0
	s_mov_b64 s[0:1], 0
                                        ; implicit-def: $vgpr14_vgpr15
	s_branch .LBB39_1443
.LBB39_1435:
	s_trap 2
	s_or_b64 s[14:15], s[14:15], exec
	s_cbranch_execz .LBB39_1372
	s_branch .LBB39_1373
.LBB39_1436:
	s_mov_b64 s[16:17], -1
	s_mov_b64 s[12:13], 0
	s_mov_b64 s[0:1], 0
                                        ; implicit-def: $vgpr14_vgpr15
	s_branch .LBB39_1438
.LBB39_1437:
	s_mov_b64 s[0:1], -1
                                        ; implicit-def: $vgpr14_vgpr15
	s_mov_b64 s[12:13], 0
.LBB39_1438:
	s_and_b64 vcc, exec, s[16:17]
	s_cbranch_vccz .LBB39_1442
; %bb.1439:
	s_cmp_eq_u32 s22, 44
	s_cbranch_scc0 .LBB39_1441
; %bb.1440:
	global_load_ubyte v2, v[8:9], off
	s_movk_i32 s3, 0xff
	v_bfrev_b32_e32 v6, 4
	v_mov_b32_e32 v12, 0x7ff80000
	v_bfrev_b32_e32 v16, 28
	s_mov_b64 s[0:1], 0
	s_mov_b64 s[12:13], -1
	s_waitcnt vmcnt(0)
	v_lshlrev_b32_e32 v14, 23, v2
	v_cvt_f64_f32_e32 v[14:15], v14
	v_cmp_ne_u32_e32 vcc, s3, v2
	v_cndmask_b32_e32 v6, v6, v14, vcc
	v_cndmask_b32_e32 v12, v12, v15, vcc
	v_cmp_ne_u32_e32 vcc, 0, v2
	v_cndmask_b32_e32 v15, v16, v12, vcc
	v_cndmask_b32_e32 v14, 0, v6, vcc
	s_branch .LBB39_1442
.LBB39_1441:
	s_mov_b64 s[0:1], -1
                                        ; implicit-def: $vgpr14_vgpr15
.LBB39_1442:
	s_mov_b64 s[16:17], 0
.LBB39_1443:
	s_and_b64 vcc, exec, s[16:17]
	s_cbranch_vccz .LBB39_1447
; %bb.1444:
	s_cmp_eq_u32 s22, 29
	s_cbranch_scc0 .LBB39_1446
; %bb.1445:
	global_load_dwordx2 v[14:15], v[8:9], off
	s_mov_b64 s[0:1], 0
	s_mov_b64 s[12:13], -1
	s_mov_b64 s[16:17], 0
	s_waitcnt vmcnt(0)
	v_cvt_f64_u32_e32 v[15:16], v15
	v_cvt_f64_u32_e32 v[17:18], v14
	v_ldexp_f64 v[15:16], v[15:16], 32
	v_add_f64 v[14:15], v[15:16], v[17:18]
	s_branch .LBB39_1448
.LBB39_1446:
	s_mov_b64 s[0:1], -1
                                        ; implicit-def: $vgpr14_vgpr15
.LBB39_1447:
	s_mov_b64 s[16:17], 0
.LBB39_1448:
	s_and_b64 vcc, exec, s[16:17]
	s_cbranch_vccz .LBB39_1468
; %bb.1449:
	s_cmp_lt_i32 s22, 27
	s_cbranch_scc1 .LBB39_1452
; %bb.1450:
	s_cmp_gt_i32 s22, 27
	s_cbranch_scc0 .LBB39_1453
; %bb.1451:
	global_load_dword v2, v[8:9], off
	s_mov_b64 s[12:13], 0
	s_waitcnt vmcnt(0)
	v_cvt_f64_u32_e32 v[14:15], v2
	s_branch .LBB39_1454
.LBB39_1452:
	s_mov_b64 s[12:13], -1
                                        ; implicit-def: $vgpr14_vgpr15
	s_branch .LBB39_1457
.LBB39_1453:
	s_mov_b64 s[12:13], -1
                                        ; implicit-def: $vgpr14_vgpr15
.LBB39_1454:
	s_andn2_b64 vcc, exec, s[12:13]
	s_cbranch_vccnz .LBB39_1456
; %bb.1455:
	global_load_ushort v2, v[8:9], off
	s_waitcnt vmcnt(0)
	v_cvt_f64_u32_e32 v[14:15], v2
.LBB39_1456:
	s_mov_b64 s[12:13], 0
.LBB39_1457:
	s_andn2_b64 vcc, exec, s[12:13]
	s_cbranch_vccnz .LBB39_1467
; %bb.1458:
	global_load_ubyte v2, v[8:9], off
	s_movk_i32 s3, 0x7f
	s_mov_b64 s[12:13], 0
	s_waitcnt vmcnt(0)
	v_cmp_lt_i16_e32 vcc, s3, v2
	s_and_saveexec_b64 s[16:17], vcc
	s_xor_b64 s[16:17], exec, s[16:17]
	s_cbranch_execz .LBB39_1462
; %bb.1459:
	s_movk_i32 s3, 0x80
	v_cmp_eq_u16_e32 vcc, s3, v2
	s_mov_b64 s[12:13], -1
	s_and_saveexec_b64 s[18:19], vcc
; %bb.1460:
	s_xor_b64 s[12:13], exec, -1
; %bb.1461:
	s_or_b64 exec, exec, s[18:19]
	s_and_b64 s[12:13], s[12:13], exec
.LBB39_1462:
	s_or_saveexec_b64 s[16:17], s[16:17]
	v_bfrev_b32_e32 v14, 4
	v_mov_b32_e32 v15, 0x7ff80000
	s_xor_b64 exec, exec, s[16:17]
; %bb.1463:
	v_cmp_ne_u16_e32 vcc, 0, v2
	v_mov_b32_e32 v14, 0
	s_andn2_b64 s[12:13], s[12:13], exec
	s_and_b64 s[18:19], vcc, exec
	v_mov_b32_e32 v15, 0
	s_or_b64 s[12:13], s[12:13], s[18:19]
; %bb.1464:
	s_or_b64 exec, exec, s[16:17]
	s_and_saveexec_b64 s[16:17], s[12:13]
	s_cbranch_execz .LBB39_1466
; %bb.1465:
	v_lshlrev_b32_e32 v6, 24, v2
	v_and_b32_e32 v2, 0xffff, v2
	v_and_b32_e32 v12, 7, v2
	v_ffbh_u32_e32 v15, v12
	v_min_u32_e32 v15, 32, v15
	v_subrev_u32_e32 v16, 28, v15
	v_bfe_u32 v14, v2, 3, 4
	v_lshlrev_b32_e32 v2, v16, v2
	v_sub_u32_e32 v15, 29, v15
	v_and_b32_e32 v2, 7, v2
	v_cmp_eq_u32_e32 vcc, 0, v14
	v_cndmask_b32_e32 v14, v14, v15, vcc
	v_cndmask_b32_e32 v2, v12, v2, vcc
	v_mov_b32_e32 v12, 0x3b800000
	v_lshlrev_b32_e32 v2, 20, v2
	v_and_b32_e32 v6, 0x80000000, v6
	v_lshl_add_u32 v12, v14, 23, v12
	v_or3_b32 v2, v6, v12, v2
	v_cvt_f64_f32_e32 v[14:15], v2
.LBB39_1466:
	s_or_b64 exec, exec, s[16:17]
.LBB39_1467:
	s_mov_b64 s[12:13], -1
.LBB39_1468:
	s_mov_b64 s[16:17], 0
.LBB39_1469:
	s_and_b64 vcc, exec, s[16:17]
	s_cbranch_vccz .LBB39_1500
; %bb.1470:
	s_cmp_gt_i32 s22, 22
	s_cbranch_scc0 .LBB39_1482
; %bb.1471:
	s_cmp_lt_i32 s22, 24
	s_cbranch_scc1 .LBB39_1483
; %bb.1472:
	s_cmp_gt_i32 s22, 24
	s_cbranch_scc0 .LBB39_1484
; %bb.1473:
	global_load_ubyte v2, v[8:9], off
	s_movk_i32 s3, 0x7f
	s_waitcnt vmcnt(0)
	v_cmp_lt_i16_e32 vcc, s3, v2
	s_and_saveexec_b64 s[12:13], vcc
	s_xor_b64 s[12:13], exec, s[12:13]
	s_cbranch_execz .LBB39_1477
; %bb.1474:
	s_movk_i32 s3, 0x80
	v_cmp_eq_u16_e32 vcc, s3, v2
	s_mov_b64 s[10:11], -1
	s_and_saveexec_b64 s[16:17], vcc
; %bb.1475:
	s_xor_b64 s[10:11], exec, -1
; %bb.1476:
	s_or_b64 exec, exec, s[16:17]
	s_and_b64 s[10:11], s[10:11], exec
.LBB39_1477:
	s_or_saveexec_b64 s[12:13], s[12:13]
	v_bfrev_b32_e32 v14, 4
	v_mov_b32_e32 v15, 0x7ff80000
	s_xor_b64 exec, exec, s[12:13]
; %bb.1478:
	v_cmp_ne_u16_e32 vcc, 0, v2
	v_mov_b32_e32 v14, 0
	s_andn2_b64 s[10:11], s[10:11], exec
	s_and_b64 s[16:17], vcc, exec
	v_mov_b32_e32 v15, 0
	s_or_b64 s[10:11], s[10:11], s[16:17]
; %bb.1479:
	s_or_b64 exec, exec, s[12:13]
	s_and_saveexec_b64 s[12:13], s[10:11]
	s_cbranch_execz .LBB39_1481
; %bb.1480:
	v_lshlrev_b32_e32 v6, 24, v2
	v_and_b32_e32 v2, 0xffff, v2
	v_and_b32_e32 v12, 3, v2
	v_ffbh_u32_e32 v15, v12
	v_min_u32_e32 v15, 32, v15
	v_subrev_u32_e32 v16, 29, v15
	v_bfe_u32 v14, v2, 2, 5
	v_lshlrev_b32_e32 v2, v16, v2
	v_sub_u32_e32 v15, 30, v15
	v_and_b32_e32 v2, 3, v2
	v_cmp_eq_u32_e32 vcc, 0, v14
	v_cndmask_b32_e32 v14, v14, v15, vcc
	v_cndmask_b32_e32 v2, v12, v2, vcc
	v_mov_b32_e32 v12, 0x37800000
	v_lshlrev_b32_e32 v2, 21, v2
	v_and_b32_e32 v6, 0x80000000, v6
	v_lshl_add_u32 v12, v14, 23, v12
	v_or3_b32 v2, v6, v12, v2
	v_cvt_f64_f32_e32 v[14:15], v2
.LBB39_1481:
	s_or_b64 exec, exec, s[12:13]
	s_mov_b64 s[10:11], 0
	s_branch .LBB39_1485
.LBB39_1482:
	s_mov_b64 s[10:11], -1
                                        ; implicit-def: $vgpr14_vgpr15
	s_branch .LBB39_1491
.LBB39_1483:
	s_mov_b64 s[10:11], -1
                                        ; implicit-def: $vgpr14_vgpr15
	s_branch .LBB39_1488
.LBB39_1484:
	s_mov_b64 s[10:11], -1
                                        ; implicit-def: $vgpr14_vgpr15
.LBB39_1485:
	s_and_b64 vcc, exec, s[10:11]
	s_cbranch_vccz .LBB39_1487
; %bb.1486:
	global_load_ubyte v2, v[8:9], off
	s_mov_b32 s3, 0x7f800000
	s_waitcnt vmcnt(0)
	v_lshlrev_b32_e32 v2, 24, v2
	v_and_b32_e32 v6, 0x7f000000, v2
	v_ffbh_u32_e32 v12, v6
	v_min_u32_e32 v12, 32, v12
	v_sub_u32_e64 v12, v12, 4 clamp
	v_lshlrev_b32_e32 v15, v12, v6
	v_lshlrev_b32_e32 v12, 23, v12
	v_lshrrev_b32_e32 v15, 4, v15
	v_add_u32_e32 v14, 0x1000000, v6
	v_sub_u32_e32 v12, v15, v12
	v_ashrrev_i32_e32 v14, 8, v14
	v_add_u32_e32 v12, 0x3c000000, v12
	v_and_or_b32 v12, v14, s3, v12
	v_cmp_ne_u32_e32 vcc, 0, v6
	v_cndmask_b32_e32 v6, 0, v12, vcc
	s_brev_b32 s3, 1
	v_and_or_b32 v2, v2, s3, v6
	v_cvt_f64_f32_e32 v[14:15], v2
.LBB39_1487:
	s_mov_b64 s[10:11], 0
.LBB39_1488:
	s_andn2_b64 vcc, exec, s[10:11]
	s_cbranch_vccnz .LBB39_1490
; %bb.1489:
	global_load_ubyte v2, v[8:9], off
	s_movk_i32 s3, 0x7f00
	s_brev_b32 s10, 16
	s_waitcnt vmcnt(0)
	v_lshlrev_b16_e32 v6, 8, v2
	v_lshlrev_b32_e32 v2, 25, v2
	v_lshrrev_b32_e32 v12, 4, v2
	v_and_or_b32 v14, v6, s3, 0.5
	v_or_b32_e32 v12, 0x70000000, v12
	v_add_f32_e32 v14, -0.5, v14
	v_mul_f32_e32 v12, 0x7800000, v12
	v_cmp_gt_u32_e32 vcc, s10, v2
	v_bfe_i32 v6, v6, 0, 16
	v_cndmask_b32_e32 v2, v12, v14, vcc
	s_brev_b32 s3, 1
	v_and_or_b32 v2, v6, s3, v2
	v_cvt_f64_f32_e32 v[14:15], v2
.LBB39_1490:
	s_mov_b64 s[10:11], 0
	s_mov_b64 s[12:13], -1
.LBB39_1491:
	s_andn2_b64 vcc, exec, s[10:11]
	s_mov_b64 s[10:11], 0
	s_cbranch_vccnz .LBB39_1500
; %bb.1492:
	s_cmp_gt_i32 s22, 14
	s_cbranch_scc0 .LBB39_1495
; %bb.1493:
	s_cmp_eq_u32 s22, 15
	s_cbranch_scc0 .LBB39_1496
; %bb.1494:
	global_load_ushort v2, v[8:9], off
	s_mov_b64 s[0:1], 0
	s_mov_b64 s[12:13], -1
	s_waitcnt vmcnt(0)
	v_lshlrev_b32_e32 v2, 16, v2
	v_cvt_f64_f32_e32 v[14:15], v2
	s_branch .LBB39_1497
.LBB39_1495:
	s_mov_b64 s[16:17], -1
                                        ; implicit-def: $vgpr14_vgpr15
	s_branch .LBB39_1498
.LBB39_1496:
	s_mov_b64 s[0:1], -1
                                        ; implicit-def: $vgpr14_vgpr15
.LBB39_1497:
	s_mov_b64 s[16:17], 0
.LBB39_1498:
	s_and_b64 vcc, exec, s[16:17]
	s_cbranch_vccz .LBB39_1500
; %bb.1499:
	s_cmp_lg_u32 s22, 11
	s_mov_b64 s[10:11], -1
	s_cselect_b64 s[0:1], -1, 0
.LBB39_1500:
	s_and_b64 vcc, exec, s[0:1]
	s_cbranch_vccnz .LBB39_2035
; %bb.1501:
	s_andn2_b64 vcc, exec, s[10:11]
	s_cbranch_vccnz .LBB39_1503
.LBB39_1502:
	global_load_ubyte v2, v[8:9], off
	v_mov_b32_e32 v6, 0x3ff00000
	v_mov_b32_e32 v14, 0
	s_mov_b64 s[12:13], -1
	s_waitcnt vmcnt(0)
	v_cmp_ne_u16_e32 vcc, 0, v2
	v_cndmask_b32_e32 v15, 0, v6, vcc
.LBB39_1503:
	s_mov_b64 s[0:1], 0
.LBB39_1504:
	s_and_b64 vcc, exec, s[0:1]
	s_cbranch_vccz .LBB39_1553
; %bb.1505:
	s_cmp_lt_i32 s22, 5
	s_cbranch_scc1 .LBB39_1510
; %bb.1506:
	s_cmp_lt_i32 s22, 8
	s_cbranch_scc1 .LBB39_1511
; %bb.1507:
	s_cmp_lt_i32 s22, 9
	s_cbranch_scc1 .LBB39_1512
; %bb.1508:
	s_cmp_gt_i32 s22, 9
	s_cbranch_scc0 .LBB39_1513
; %bb.1509:
	global_load_dwordx2 v[14:15], v[8:9], off
	s_mov_b64 s[0:1], 0
	s_branch .LBB39_1514
.LBB39_1510:
	s_mov_b64 s[0:1], -1
                                        ; implicit-def: $vgpr14_vgpr15
	s_branch .LBB39_1532
.LBB39_1511:
	s_mov_b64 s[0:1], -1
                                        ; implicit-def: $vgpr14_vgpr15
	s_branch .LBB39_1520
.LBB39_1512:
	s_mov_b64 s[0:1], -1
                                        ; implicit-def: $vgpr14_vgpr15
	s_branch .LBB39_1517
.LBB39_1513:
	s_mov_b64 s[0:1], -1
                                        ; implicit-def: $vgpr14_vgpr15
.LBB39_1514:
	s_andn2_b64 vcc, exec, s[0:1]
	s_cbranch_vccnz .LBB39_1516
; %bb.1515:
	global_load_dword v2, v[8:9], off
	s_waitcnt vmcnt(0)
	v_cvt_f64_f32_e32 v[14:15], v2
.LBB39_1516:
	s_mov_b64 s[0:1], 0
.LBB39_1517:
	s_andn2_b64 vcc, exec, s[0:1]
	s_cbranch_vccnz .LBB39_1519
; %bb.1518:
	global_load_dword v2, v[8:9], off
	s_waitcnt vmcnt(0)
	v_cvt_f32_f16_e32 v2, v2
	v_cvt_f64_f32_e32 v[14:15], v2
.LBB39_1519:
	s_mov_b64 s[0:1], 0
.LBB39_1520:
	s_andn2_b64 vcc, exec, s[0:1]
	s_cbranch_vccnz .LBB39_1531
; %bb.1521:
	s_cmp_lt_i32 s22, 6
	s_cbranch_scc1 .LBB39_1524
; %bb.1522:
	s_cmp_gt_i32 s22, 6
	s_cbranch_scc0 .LBB39_1525
; %bb.1523:
	global_load_dwordx2 v[14:15], v[8:9], off
	s_mov_b64 s[0:1], 0
	s_branch .LBB39_1526
.LBB39_1524:
	s_mov_b64 s[0:1], -1
                                        ; implicit-def: $vgpr14_vgpr15
	s_branch .LBB39_1529
.LBB39_1525:
	s_mov_b64 s[0:1], -1
                                        ; implicit-def: $vgpr14_vgpr15
.LBB39_1526:
	s_andn2_b64 vcc, exec, s[0:1]
	s_cbranch_vccnz .LBB39_1528
; %bb.1527:
	global_load_dword v2, v[8:9], off
	s_waitcnt vmcnt(0)
	v_cvt_f64_f32_e32 v[14:15], v2
.LBB39_1528:
	s_mov_b64 s[0:1], 0
.LBB39_1529:
	s_andn2_b64 vcc, exec, s[0:1]
	s_cbranch_vccnz .LBB39_1531
; %bb.1530:
	global_load_ushort v2, v[8:9], off
	s_waitcnt vmcnt(0)
	v_cvt_f32_f16_e32 v2, v2
	v_cvt_f64_f32_e32 v[14:15], v2
.LBB39_1531:
	s_mov_b64 s[0:1], 0
.LBB39_1532:
	s_andn2_b64 vcc, exec, s[0:1]
	s_cbranch_vccnz .LBB39_1552
; %bb.1533:
	s_cmp_lt_i32 s22, 2
	s_cbranch_scc1 .LBB39_1537
; %bb.1534:
	s_cmp_lt_i32 s22, 3
	s_cbranch_scc1 .LBB39_1538
; %bb.1535:
	s_cmp_gt_i32 s22, 3
	s_cbranch_scc0 .LBB39_1539
; %bb.1536:
	global_load_dwordx2 v[14:15], v[8:9], off
	s_mov_b64 s[0:1], 0
	s_waitcnt vmcnt(0)
	v_cvt_f64_i32_e32 v[15:16], v15
	v_cvt_f64_u32_e32 v[17:18], v14
	v_ldexp_f64 v[15:16], v[15:16], 32
	v_add_f64 v[14:15], v[15:16], v[17:18]
	s_branch .LBB39_1540
.LBB39_1537:
	s_mov_b64 s[0:1], -1
                                        ; implicit-def: $vgpr14_vgpr15
	s_branch .LBB39_1546
.LBB39_1538:
	s_mov_b64 s[0:1], -1
                                        ; implicit-def: $vgpr14_vgpr15
	s_branch .LBB39_1543
.LBB39_1539:
	s_mov_b64 s[0:1], -1
                                        ; implicit-def: $vgpr14_vgpr15
.LBB39_1540:
	s_andn2_b64 vcc, exec, s[0:1]
	s_cbranch_vccnz .LBB39_1542
; %bb.1541:
	global_load_dword v2, v[8:9], off
	s_waitcnt vmcnt(0)
	v_cvt_f64_i32_e32 v[14:15], v2
.LBB39_1542:
	s_mov_b64 s[0:1], 0
.LBB39_1543:
	s_andn2_b64 vcc, exec, s[0:1]
	s_cbranch_vccnz .LBB39_1545
; %bb.1544:
	global_load_sshort v2, v[8:9], off
	s_waitcnt vmcnt(0)
	v_cvt_f64_i32_e32 v[14:15], v2
.LBB39_1545:
	s_mov_b64 s[0:1], 0
.LBB39_1546:
	s_andn2_b64 vcc, exec, s[0:1]
	s_cbranch_vccnz .LBB39_1552
; %bb.1547:
	s_cmp_gt_i32 s22, 0
	s_cbranch_scc0 .LBB39_1549
; %bb.1548:
	global_load_sbyte v2, v[8:9], off
	s_mov_b64 s[0:1], 0
	s_waitcnt vmcnt(0)
	v_cvt_f64_i32_e32 v[14:15], v2
	s_branch .LBB39_1550
.LBB39_1549:
	s_mov_b64 s[0:1], -1
                                        ; implicit-def: $vgpr14_vgpr15
.LBB39_1550:
	s_andn2_b64 vcc, exec, s[0:1]
	s_cbranch_vccnz .LBB39_1552
; %bb.1551:
	global_load_ubyte v2, v[8:9], off
	s_waitcnt vmcnt(0)
	v_cvt_f64_u32_e32 v[14:15], v2
.LBB39_1552:
	s_mov_b64 s[12:13], -1
.LBB39_1553:
	s_andn2_b64 vcc, exec, s[12:13]
	s_cbranch_vccnz .LBB39_1989
; %bb.1554:
	s_waitcnt vmcnt(0)
	v_fma_f64 v[16:17], |v[14:15]|, -0.5, 0.5
	v_mul_f64 v[8:9], v[14:15], v[14:15]
	v_cmp_ge_f64_e64 vcc, |v[14:15]|, 0.5
	s_mov_b32 s0, 0x9fea6a70
	v_mov_b32_e32 v18, 0x78a05eaf
	v_mov_b32_e32 v19, 0xbf90a5a3
	s_mov_b32 s1, 0x3fa05985
	v_cndmask_b32_e32 v9, v9, v17, vcc
	v_cndmask_b32_e32 v8, v8, v16, vcc
	v_fma_f64 v[18:19], v[8:9], s[0:1], v[18:19]
	s_mov_b32 s0, 0x37024d6a
	s_mov_b32 s1, 0x3f940521
	v_fma_f64 v[18:19], v[8:9], v[18:19], s[0:1]
	s_mov_b32 s0, 0x98a70509
	s_mov_b32 s1, 0x3f7ab3a0
	;; [unrolled: 3-line block ×10, first 2 shown]
	v_fma_f64 v[18:19], v[8:9], v[18:19], s[0:1]
	v_mul_f64 v[18:19], v[8:9], v[18:19]
	v_fma_f64 v[8:9], |v[14:15]|, v[18:19], |v[14:15]|
	s_and_saveexec_b64 s[0:1], vcc
	s_cbranch_execz .LBB39_1556
; %bb.1555:
	v_rsq_f64_e32 v[8:9], v[16:17]
	v_cmp_eq_f64_e32 vcc, 0, v[16:17]
	s_mov_b32 s10, 0x54442d18
	s_mov_b32 s11, 0x3fe921fb
	v_mov_b32_e32 v2, 0x3ff921fb
	v_mov_b32_e32 v6, 0x54442d18
	v_mul_f64 v[21:22], v[16:17], v[8:9]
	v_mul_f64 v[8:9], v[8:9], 0.5
	v_fma_f64 v[23:24], -v[8:9], v[21:22], 0.5
	v_fma_f64 v[21:22], v[21:22], v[23:24], v[21:22]
	v_fma_f64 v[8:9], v[8:9], v[23:24], v[8:9]
	v_fma_f64 v[23:24], -v[21:22], v[21:22], v[16:17]
	v_fma_f64 v[8:9], v[23:24], v[8:9], v[21:22]
	v_cndmask_b32_e32 v9, v9, v17, vcc
	v_cndmask_b32_e32 v8, v8, v16, vcc
	v_add_f64 v[21:22], v[8:9], v[8:9]
	v_mul_f64 v[23:24], v[8:9], v[8:9]
	v_rcp_f64_e32 v[25:26], v[21:22]
	v_add_f64 v[27:28], v[16:17], -v[23:24]
	v_fma_f64 v[31:32], v[8:9], v[8:9], -v[23:24]
	v_add_f64 v[16:17], v[16:17], -v[27:28]
	v_fma_f64 v[29:30], -v[21:22], v[25:26], 1.0
	v_add_f64 v[16:17], v[16:17], -v[23:24]
	v_fma_f64 v[23:24], v[29:30], v[25:26], v[25:26]
	v_add_f64 v[16:17], v[16:17], -v[31:32]
	v_fma_f64 v[25:26], -v[21:22], v[23:24], 1.0
	v_add_f64 v[16:17], v[27:28], v[16:17]
	v_fma_f64 v[23:24], v[25:26], v[23:24], v[23:24]
	v_mul_f64 v[25:26], v[16:17], v[23:24]
	v_fma_f64 v[16:17], -v[21:22], v[25:26], v[16:17]
	v_fma_f64 v[16:17], v[16:17], v[23:24], v[25:26]
	v_cndmask_b32_e64 v17, v17, 0, vcc
	v_cndmask_b32_e64 v16, v16, 0, vcc
	v_add_f64 v[21:22], v[8:9], v[16:17]
	v_cmp_neq_f64_e64 vcc, |v[14:15]|, 1.0
	v_add_f64 v[8:9], v[21:22], -v[8:9]
	v_mul_f64 v[23:24], v[18:19], v[21:22]
	v_add_f64 v[8:9], v[16:17], -v[8:9]
	v_fma_f64 v[16:17], v[21:22], v[18:19], -v[23:24]
	v_fma_f64 v[16:17], v[8:9], v[18:19], v[16:17]
	v_add_f64 v[18:19], v[23:24], v[16:17]
	v_add_f64 v[25:26], v[21:22], v[18:19]
	v_add_f64 v[23:24], v[18:19], -v[23:24]
	v_add_f64 v[21:22], v[25:26], -v[21:22]
	v_add_f64 v[16:17], v[16:17], -v[23:24]
	v_add_f64 v[18:19], v[18:19], -v[21:22]
	v_add_f64 v[8:9], v[8:9], v[16:17]
	v_add_f64 v[8:9], v[8:9], v[18:19]
	;; [unrolled: 1-line block ×3, first 2 shown]
	v_add_f64 v[18:19], -v[16:17], s[10:11]
	v_add_f64 v[23:24], v[16:17], -v[25:26]
	v_add_f64 v[21:22], -v[18:19], s[10:11]
	s_mov_b32 s10, 0x33145c07
	s_mov_b32 s11, 0x3c81a626
	v_add_f64 v[8:9], v[23:24], -v[8:9]
	v_add_f64 v[16:17], v[21:22], -v[16:17]
	v_add_f64 v[16:17], v[16:17], s[10:11]
	v_add_f64 v[8:9], v[8:9], v[16:17]
	;; [unrolled: 1-line block ×4, first 2 shown]
	v_cndmask_b32_e32 v9, v2, v9, vcc
	v_cndmask_b32_e32 v8, v6, v8, vcc
.LBB39_1556:
	s_or_b64 exec, exec, s[0:1]
	v_mul_lo_u32 v6, s2, v20
	s_brev_b32 s0, -2
	v_mov_b32_e32 v2, s9
	v_bfi_b32 v1, s0, v1, v3
	v_ashrrev_i32_e32 v3, 31, v6
	s_and_b32 s20, s33, 0xff
	v_add_co_u32_e32 v16, vcc, s8, v6
	s_cmp_lt_i32 s20, 11
	v_addc_co_u32_e32 v17, vcc, v2, v3, vcc
	s_cbranch_scc1 .LBB39_1634
; %bb.1557:
	s_and_b32 s3, 0xffff, s20
	s_mov_b64 s[16:17], -1
	s_mov_b64 s[10:11], 0
	s_cmp_gt_i32 s3, 25
	s_mov_b64 s[12:13], 0
	s_mov_b64 s[0:1], 0
	s_cbranch_scc0 .LBB39_1590
; %bb.1558:
	s_cmp_gt_i32 s3, 28
	s_cbranch_scc0 .LBB39_1573
; %bb.1559:
	s_cmp_gt_i32 s3, 43
	;; [unrolled: 3-line block ×3, first 2 shown]
	s_cbranch_scc0 .LBB39_1563
; %bb.1561:
	s_mov_b64 s[0:1], -1
	s_mov_b64 s[16:17], 0
	s_cmp_eq_u32 s3, 46
	s_cbranch_scc0 .LBB39_1563
; %bb.1562:
	v_cvt_f32_f64_e32 v2, v[0:1]
	s_movk_i32 s0, 0x7fff
	v_mov_b32_e32 v3, 0x7fc0
	s_mov_b64 s[12:13], -1
	v_bfe_u32 v12, v2, 16, 1
	v_cmp_o_f32_e32 vcc, v2, v2
	v_add3_u32 v2, v2, v12, s0
	v_cndmask_b32_sdwa v2, v3, v2, vcc dst_sel:DWORD dst_unused:UNUSED_PAD src0_sel:DWORD src1_sel:WORD_1
	global_store_dword v[16:17], v2, off
	s_mov_b64 s[0:1], 0
.LBB39_1563:
	s_and_b64 vcc, exec, s[16:17]
	s_cbranch_vccz .LBB39_1568
; %bb.1564:
	s_cmp_eq_u32 s3, 44
	s_mov_b64 s[0:1], -1
	s_cbranch_scc0 .LBB39_1568
; %bb.1565:
	v_cvt_f32_f64_e32 v2, v[0:1]
	s_movk_i32 s0, 0xff
	v_mov_b32_e32 v12, 0xff
	v_bfe_u32 v3, v2, 23, 8
	v_cmp_ne_u32_e32 vcc, s0, v3
	s_and_saveexec_b64 s[12:13], vcc
; %bb.1566:
	s_mov_b32 s0, 0x3fffff
	v_lshrrev_b32_e32 v12, 23, v2
	v_and_b32_e32 v14, 0x400000, v2
	v_and_or_b32 v2, v2, s0, v3
	v_cmp_ne_u32_e32 vcc, 0, v14
	v_cmp_ne_u32_e64 s[0:1], 0, v2
	s_and_b64 s[0:1], vcc, s[0:1]
	v_cndmask_b32_e64 v2, 0, 1, s[0:1]
	v_add_u32_e32 v12, v12, v2
; %bb.1567:
	s_or_b64 exec, exec, s[12:13]
	s_mov_b64 s[0:1], 0
	s_mov_b64 s[12:13], -1
	global_store_byte v[16:17], v12, off
.LBB39_1568:
	s_mov_b64 s[16:17], 0
.LBB39_1569:
	s_and_b64 vcc, exec, s[16:17]
	s_cbranch_vccz .LBB39_1572
; %bb.1570:
	s_cmp_eq_u32 s3, 29
	s_mov_b64 s[0:1], -1
	s_cbranch_scc0 .LBB39_1572
; %bb.1571:
	v_trunc_f64_e32 v[2:3], v[0:1]
	s_movk_i32 s0, 0xffe0
	s_mov_b64 s[12:13], -1
	v_ldexp_f64 v[18:19], v[2:3], s0
	s_mov_b32 s0, 0
	s_mov_b32 s1, 0xc1f00000
	v_floor_f64_e32 v[18:19], v[18:19]
	v_fma_f64 v[2:3], v[18:19], s[0:1], v[2:3]
	v_cvt_u32_f64_e32 v19, v[18:19]
	s_mov_b64 s[0:1], 0
	v_cvt_u32_f64_e32 v18, v[2:3]
	global_store_dwordx2 v[16:17], v[18:19], off
.LBB39_1572:
	s_mov_b64 s[16:17], 0
.LBB39_1573:
	s_and_b64 vcc, exec, s[16:17]
	s_cbranch_vccz .LBB39_1589
; %bb.1574:
	s_cmp_lt_i32 s3, 27
	s_mov_b64 s[12:13], -1
	s_cbranch_scc1 .LBB39_1580
; %bb.1575:
	v_cvt_u32_f64_e32 v2, v[0:1]
	s_cmp_gt_i32 s3, 27
	s_cbranch_scc0 .LBB39_1577
; %bb.1576:
	s_mov_b64 s[12:13], 0
	global_store_dword v[16:17], v2, off
.LBB39_1577:
	s_andn2_b64 vcc, exec, s[12:13]
	s_cbranch_vccnz .LBB39_1579
; %bb.1578:
	global_store_short v[16:17], v2, off
.LBB39_1579:
	s_mov_b64 s[12:13], 0
.LBB39_1580:
	s_andn2_b64 vcc, exec, s[12:13]
	s_cbranch_vccnz .LBB39_1588
; %bb.1581:
	v_cvt_f32_f64_e32 v2, v[0:1]
	s_mov_b32 s12, 0x43800000
	v_mov_b32_e32 v12, 0x80
	v_and_b32_e32 v3, 0x7fffffff, v2
	v_cmp_gt_u32_e32 vcc, s12, v3
	s_and_saveexec_b64 s[12:13], vcc
	s_cbranch_execz .LBB39_1587
; %bb.1582:
	s_mov_b32 s16, 0x3bffffff
	v_cmp_lt_u32_e32 vcc, s16, v3
	s_mov_b64 s[16:17], 0
                                        ; implicit-def: $vgpr3
	s_and_saveexec_b64 s[18:19], vcc
	s_xor_b64 s[18:19], exec, s[18:19]
	s_cbranch_execz .LBB39_2036
; %bb.1583:
	v_bfe_u32 v3, v2, 20, 1
	s_mov_b32 s21, 0x487ffff
	v_add3_u32 v3, v2, v3, s21
	s_mov_b64 s[16:17], exec
	v_lshrrev_b32_e32 v3, 20, v3
	s_andn2_saveexec_b64 s[18:19], s[18:19]
	s_cbranch_execnz .LBB39_2037
.LBB39_1584:
	s_or_b64 exec, exec, s[18:19]
	v_mov_b32_e32 v12, 0
	s_and_saveexec_b64 s[18:19], s[16:17]
.LBB39_1585:
	v_lshrrev_b32_e32 v2, 24, v2
	s_movk_i32 s16, 0x80
	v_and_or_b32 v12, v2, s16, v3
.LBB39_1586:
	s_or_b64 exec, exec, s[18:19]
.LBB39_1587:
	s_or_b64 exec, exec, s[12:13]
	global_store_byte v[16:17], v12, off
.LBB39_1588:
	s_mov_b64 s[12:13], -1
.LBB39_1589:
	s_mov_b64 s[16:17], 0
.LBB39_1590:
	s_and_b64 vcc, exec, s[16:17]
	s_cbranch_vccz .LBB39_1630
; %bb.1591:
	s_cmp_gt_i32 s3, 22
	s_mov_b64 s[10:11], -1
	s_cbranch_scc0 .LBB39_1623
; %bb.1592:
	s_cmp_lt_i32 s3, 24
	s_cbranch_scc1 .LBB39_1612
; %bb.1593:
	s_cmp_gt_i32 s3, 24
	s_cbranch_scc0 .LBB39_1601
; %bb.1594:
	v_cvt_f32_f64_e32 v2, v[0:1]
	s_mov_b32 s10, 0x47800000
	v_mov_b32_e32 v12, 0x80
	v_and_b32_e32 v3, 0x7fffffff, v2
	v_cmp_gt_u32_e32 vcc, s10, v3
	s_and_saveexec_b64 s[10:11], vcc
	s_cbranch_execz .LBB39_1600
; %bb.1595:
	s_mov_b32 s12, 0x37ffffff
	v_cmp_lt_u32_e32 vcc, s12, v3
	s_mov_b64 s[12:13], 0
                                        ; implicit-def: $vgpr3
	s_and_saveexec_b64 s[16:17], vcc
	s_xor_b64 s[16:17], exec, s[16:17]
	s_cbranch_execz .LBB39_2039
; %bb.1596:
	v_bfe_u32 v3, v2, 21, 1
	s_mov_b32 s18, 0x88fffff
	v_add3_u32 v3, v2, v3, s18
	s_mov_b64 s[12:13], exec
	v_lshrrev_b32_e32 v3, 21, v3
	s_andn2_saveexec_b64 s[16:17], s[16:17]
	s_cbranch_execnz .LBB39_2040
.LBB39_1597:
	s_or_b64 exec, exec, s[16:17]
	v_mov_b32_e32 v12, 0
	s_and_saveexec_b64 s[16:17], s[12:13]
.LBB39_1598:
	v_lshrrev_b32_e32 v2, 24, v2
	s_movk_i32 s12, 0x80
	v_and_or_b32 v12, v2, s12, v3
.LBB39_1599:
	s_or_b64 exec, exec, s[16:17]
.LBB39_1600:
	s_or_b64 exec, exec, s[10:11]
	s_mov_b64 s[10:11], 0
	global_store_byte v[16:17], v12, off
.LBB39_1601:
	s_and_b64 vcc, exec, s[10:11]
	s_cbranch_vccz .LBB39_1611
; %bb.1602:
	v_cvt_f32_f64_e32 v2, v[0:1]
	s_mov_b32 s10, 0x43f00000
                                        ; implicit-def: $vgpr3
	v_and_b32_e32 v12, 0x7fffffff, v2
	v_cmp_gt_u32_e32 vcc, s10, v12
	s_and_saveexec_b64 s[10:11], vcc
	s_xor_b64 s[10:11], exec, s[10:11]
	s_cbranch_execz .LBB39_1608
; %bb.1603:
	s_mov_b32 s12, 0x3c7fffff
	v_cmp_lt_u32_e32 vcc, s12, v12
                                        ; implicit-def: $vgpr3
	s_and_saveexec_b64 s[12:13], vcc
	s_xor_b64 s[12:13], exec, s[12:13]
; %bb.1604:
	v_bfe_u32 v3, v2, 20, 1
	s_mov_b32 s16, 0x407ffff
	v_add3_u32 v3, v2, v3, s16
	v_lshrrev_b32_e32 v12, 20, v3
	v_and_b32_e32 v3, 0xff00000, v3
	s_mov_b32 s16, 0x7f00000
	v_mov_b32_e32 v14, 0x7e
	v_cmp_ne_u32_e32 vcc, s16, v3
	v_cndmask_b32_e32 v3, v14, v12, vcc
; %bb.1605:
	s_andn2_saveexec_b64 s[12:13], s[12:13]
; %bb.1606:
	s_mov_b32 s16, 0x46800000
	v_add_f32_e64 v3, |v2|, s16
; %bb.1607:
	s_or_b64 exec, exec, s[12:13]
                                        ; implicit-def: $vgpr12
.LBB39_1608:
	s_andn2_saveexec_b64 s[10:11], s[10:11]
; %bb.1609:
	s_mov_b32 s12, 0x7f800000
	v_mov_b32_e32 v3, 0x7e
	v_mov_b32_e32 v14, 0x7f
	v_cmp_lt_u32_e32 vcc, s12, v12
	v_cndmask_b32_e32 v3, v3, v14, vcc
; %bb.1610:
	s_or_b64 exec, exec, s[10:11]
	v_lshrrev_b32_e32 v2, 24, v2
	s_movk_i32 s10, 0x80
	v_and_or_b32 v2, v2, s10, v3
	global_store_byte v[16:17], v2, off
.LBB39_1611:
	s_mov_b64 s[10:11], 0
.LBB39_1612:
	s_andn2_b64 vcc, exec, s[10:11]
	s_cbranch_vccnz .LBB39_1622
; %bb.1613:
	v_cvt_f32_f64_e32 v2, v[0:1]
	s_mov_b32 s10, 0x47800000
                                        ; implicit-def: $vgpr3
	v_and_b32_e32 v12, 0x7fffffff, v2
	v_cmp_gt_u32_e32 vcc, s10, v12
	s_and_saveexec_b64 s[10:11], vcc
	s_xor_b64 s[10:11], exec, s[10:11]
	s_cbranch_execz .LBB39_1619
; %bb.1614:
	s_mov_b32 s12, 0x387fffff
	v_cmp_lt_u32_e32 vcc, s12, v12
                                        ; implicit-def: $vgpr3
	s_and_saveexec_b64 s[12:13], vcc
	s_xor_b64 s[12:13], exec, s[12:13]
; %bb.1615:
	v_bfe_u32 v3, v2, 21, 1
	s_mov_b32 s16, 0x80fffff
	v_add3_u32 v3, v2, v3, s16
	v_lshrrev_b32_e32 v3, 21, v3
; %bb.1616:
	s_andn2_saveexec_b64 s[12:13], s[12:13]
; %bb.1617:
	s_mov_b32 s16, 0x43000000
	v_add_f32_e64 v3, |v2|, s16
; %bb.1618:
	s_or_b64 exec, exec, s[12:13]
                                        ; implicit-def: $vgpr12
.LBB39_1619:
	s_andn2_saveexec_b64 s[10:11], s[10:11]
; %bb.1620:
	s_mov_b32 s12, 0x7f800000
	v_mov_b32_e32 v3, 0x7c
	v_mov_b32_e32 v14, 0x7f
	v_cmp_lt_u32_e32 vcc, s12, v12
	v_cndmask_b32_e32 v3, v3, v14, vcc
; %bb.1621:
	s_or_b64 exec, exec, s[10:11]
	v_lshrrev_b32_e32 v2, 24, v2
	s_movk_i32 s10, 0x80
	v_and_or_b32 v2, v2, s10, v3
	global_store_byte v[16:17], v2, off
.LBB39_1622:
	s_mov_b64 s[10:11], 0
	s_mov_b64 s[12:13], -1
.LBB39_1623:
	s_andn2_b64 vcc, exec, s[10:11]
	s_mov_b64 s[10:11], 0
	s_cbranch_vccnz .LBB39_1630
; %bb.1624:
	s_cmp_gt_i32 s3, 14
	s_mov_b64 s[16:17], -1
	s_cbranch_scc0 .LBB39_1628
; %bb.1625:
	s_cmp_eq_u32 s3, 15
	s_mov_b64 s[0:1], -1
	s_cbranch_scc0 .LBB39_1627
; %bb.1626:
	v_cvt_f32_f64_e32 v2, v[0:1]
	s_movk_i32 s0, 0x7fff
	v_mov_b32_e32 v3, 0x7fc0
	s_mov_b64 s[12:13], -1
	v_bfe_u32 v12, v2, 16, 1
	v_cmp_o_f32_e32 vcc, v2, v2
	v_add3_u32 v2, v2, v12, s0
	v_cndmask_b32_sdwa v2, v3, v2, vcc dst_sel:DWORD dst_unused:UNUSED_PAD src0_sel:DWORD src1_sel:WORD_1
	global_store_short v[16:17], v2, off
	s_mov_b64 s[0:1], 0
.LBB39_1627:
	s_mov_b64 s[16:17], 0
.LBB39_1628:
	s_and_b64 vcc, exec, s[16:17]
	s_cbranch_vccz .LBB39_1630
; %bb.1629:
	s_cmp_lg_u32 s3, 11
	s_mov_b64 s[10:11], -1
	s_cselect_b64 s[0:1], -1, 0
.LBB39_1630:
	s_and_b64 vcc, exec, s[0:1]
	s_cbranch_vccnz .LBB39_2038
; %bb.1631:
	s_andn2_b64 vcc, exec, s[10:11]
	s_cbranch_vccnz .LBB39_1633
.LBB39_1632:
	v_cmp_neq_f64_e32 vcc, 0, v[0:1]
	s_mov_b64 s[12:13], -1
	v_cndmask_b32_e64 v2, 0, 1, vcc
	global_store_byte v[16:17], v2, off
.LBB39_1633:
	s_mov_b64 s[0:1], 0
	s_branch .LBB39_1635
.LBB39_1634:
	s_mov_b64 s[0:1], -1
	s_mov_b64 s[12:13], 0
.LBB39_1635:
	s_and_b64 vcc, exec, s[0:1]
	s_cbranch_vccz .LBB39_1674
; %bb.1636:
	s_and_b32 s3, 0xffff, s20
	s_cmp_lt_i32 s3, 5
	s_mov_b64 s[0:1], -1
	s_cbranch_scc1 .LBB39_1657
; %bb.1637:
	s_cmp_lt_i32 s3, 8
	s_cbranch_scc1 .LBB39_1647
; %bb.1638:
	s_cmp_lt_i32 s3, 9
	s_cbranch_scc1 .LBB39_1644
; %bb.1639:
	s_cmp_gt_i32 s3, 9
	s_cbranch_scc0 .LBB39_1641
; %bb.1640:
	v_mov_b32_e32 v2, 0
	v_mov_b32_e32 v3, v2
	global_store_dwordx4 v[16:17], v[0:3], off
	s_mov_b64 s[0:1], 0
.LBB39_1641:
	s_andn2_b64 vcc, exec, s[0:1]
	s_cbranch_vccnz .LBB39_1643
; %bb.1642:
	v_cvt_f32_f64_e32 v2, v[0:1]
	v_mov_b32_e32 v3, 0
	global_store_dwordx2 v[16:17], v[2:3], off
.LBB39_1643:
	s_mov_b64 s[0:1], 0
.LBB39_1644:
	s_andn2_b64 vcc, exec, s[0:1]
	s_cbranch_vccnz .LBB39_1646
; %bb.1645:
	s_movk_i32 s0, 0x1ff
	v_and_or_b32 v2, v1, s0, v0
	v_cmp_ne_u32_e32 vcc, 0, v2
	v_cndmask_b32_e64 v2, 0, 1, vcc
	v_lshrrev_b32_e32 v3, 8, v1
	s_movk_i32 s0, 0xffe
	v_bfe_u32 v12, v1, 20, 11
	v_and_or_b32 v2, v3, s0, v2
	v_sub_u32_e32 v14, 0x3f1, v12
	v_or_b32_e32 v3, 0x1000, v2
	v_med3_i32 v14, v14, 0, 13
	v_lshrrev_b32_e32 v18, v14, v3
	v_lshlrev_b32_e32 v14, v14, v18
	v_cmp_ne_u32_e32 vcc, v14, v3
	v_cndmask_b32_e64 v3, 0, 1, vcc
	v_add_u32_e32 v12, 0xfffffc10, v12
	v_or_b32_e32 v3, v18, v3
	v_lshl_or_b32 v14, v12, 12, v2
	v_cmp_gt_i32_e32 vcc, 1, v12
	v_cndmask_b32_e32 v3, v14, v3, vcc
	v_and_b32_e32 v14, 7, v3
	v_cmp_lt_i32_e32 vcc, 5, v14
	v_cndmask_b32_e64 v18, 0, 1, vcc
	v_cmp_eq_u32_e32 vcc, 3, v14
	v_cndmask_b32_e64 v14, 0, 1, vcc
	v_or_b32_e32 v14, v14, v18
	v_lshrrev_b32_e32 v3, 2, v3
	v_add_u32_e32 v3, v3, v14
	v_mov_b32_e32 v14, 0x7c00
	v_cmp_gt_i32_e32 vcc, 31, v12
	v_cndmask_b32_e32 v3, v14, v3, vcc
	v_mov_b32_e32 v18, 0x7e00
	v_cmp_ne_u32_e32 vcc, 0, v2
	s_movk_i32 s0, 0x40f
	v_cndmask_b32_e32 v2, v14, v18, vcc
	v_cmp_eq_u32_e32 vcc, s0, v12
	v_cndmask_b32_e32 v2, v3, v2, vcc
	v_lshrrev_b32_e32 v3, 16, v1
	s_mov_b32 s0, 0x8000
	v_and_or_b32 v2, v3, s0, v2
	v_and_b32_e32 v2, 0xffff, v2
	global_store_dword v[16:17], v2, off
.LBB39_1646:
	s_mov_b64 s[0:1], 0
.LBB39_1647:
	s_andn2_b64 vcc, exec, s[0:1]
	s_cbranch_vccnz .LBB39_1656
; %bb.1648:
	s_cmp_lt_i32 s3, 6
	s_mov_b64 s[0:1], -1
	s_cbranch_scc1 .LBB39_1654
; %bb.1649:
	s_cmp_gt_i32 s3, 6
	s_cbranch_scc0 .LBB39_1651
; %bb.1650:
	global_store_dwordx2 v[16:17], v[0:1], off
	s_mov_b64 s[0:1], 0
.LBB39_1651:
	s_andn2_b64 vcc, exec, s[0:1]
	s_cbranch_vccnz .LBB39_1653
; %bb.1652:
	v_cvt_f32_f64_e32 v2, v[0:1]
	global_store_dword v[16:17], v2, off
.LBB39_1653:
	s_mov_b64 s[0:1], 0
.LBB39_1654:
	s_andn2_b64 vcc, exec, s[0:1]
	s_cbranch_vccnz .LBB39_1656
; %bb.1655:
	s_movk_i32 s0, 0x1ff
	v_and_or_b32 v2, v1, s0, v0
	v_cmp_ne_u32_e32 vcc, 0, v2
	v_cndmask_b32_e64 v2, 0, 1, vcc
	v_lshrrev_b32_e32 v3, 8, v1
	s_movk_i32 s0, 0xffe
	v_bfe_u32 v12, v1, 20, 11
	v_and_or_b32 v2, v3, s0, v2
	v_sub_u32_e32 v14, 0x3f1, v12
	v_or_b32_e32 v3, 0x1000, v2
	v_med3_i32 v14, v14, 0, 13
	v_lshrrev_b32_e32 v18, v14, v3
	v_lshlrev_b32_e32 v14, v14, v18
	v_cmp_ne_u32_e32 vcc, v14, v3
	v_cndmask_b32_e64 v3, 0, 1, vcc
	v_add_u32_e32 v12, 0xfffffc10, v12
	v_or_b32_e32 v3, v18, v3
	v_lshl_or_b32 v14, v12, 12, v2
	v_cmp_gt_i32_e32 vcc, 1, v12
	v_cndmask_b32_e32 v3, v14, v3, vcc
	v_and_b32_e32 v14, 7, v3
	v_cmp_lt_i32_e32 vcc, 5, v14
	v_cndmask_b32_e64 v18, 0, 1, vcc
	v_cmp_eq_u32_e32 vcc, 3, v14
	v_cndmask_b32_e64 v14, 0, 1, vcc
	v_or_b32_e32 v14, v14, v18
	v_lshrrev_b32_e32 v3, 2, v3
	v_add_u32_e32 v3, v3, v14
	v_mov_b32_e32 v14, 0x7c00
	v_cmp_gt_i32_e32 vcc, 31, v12
	v_cndmask_b32_e32 v3, v14, v3, vcc
	v_mov_b32_e32 v18, 0x7e00
	v_cmp_ne_u32_e32 vcc, 0, v2
	s_movk_i32 s0, 0x40f
	v_cndmask_b32_e32 v2, v14, v18, vcc
	v_cmp_eq_u32_e32 vcc, s0, v12
	v_cndmask_b32_e32 v2, v3, v2, vcc
	v_lshrrev_b32_e32 v3, 16, v1
	s_mov_b32 s0, 0x8000
	v_and_or_b32 v2, v3, s0, v2
	global_store_short v[16:17], v2, off
.LBB39_1656:
	s_mov_b64 s[0:1], 0
.LBB39_1657:
	s_andn2_b64 vcc, exec, s[0:1]
	s_cbranch_vccnz .LBB39_1673
; %bb.1658:
	s_cmp_lt_i32 s3, 2
	s_mov_b64 s[0:1], -1
	s_cbranch_scc1 .LBB39_1668
; %bb.1659:
	s_cmp_lt_i32 s3, 3
	s_cbranch_scc1 .LBB39_1665
; %bb.1660:
	s_cmp_gt_i32 s3, 3
	s_cbranch_scc0 .LBB39_1662
; %bb.1661:
	v_trunc_f64_e32 v[2:3], v[0:1]
	s_movk_i32 s0, 0xffe0
	v_ldexp_f64 v[18:19], v[2:3], s0
	s_mov_b32 s0, 0
	s_mov_b32 s1, 0xc1f00000
	v_floor_f64_e32 v[18:19], v[18:19]
	v_fma_f64 v[2:3], v[18:19], s[0:1], v[2:3]
	v_cvt_i32_f64_e32 v19, v[18:19]
	s_mov_b64 s[0:1], 0
	v_cvt_u32_f64_e32 v18, v[2:3]
	global_store_dwordx2 v[16:17], v[18:19], off
.LBB39_1662:
	s_andn2_b64 vcc, exec, s[0:1]
	s_cbranch_vccnz .LBB39_1664
; %bb.1663:
	v_cvt_i32_f64_e32 v2, v[0:1]
	global_store_dword v[16:17], v2, off
.LBB39_1664:
	s_mov_b64 s[0:1], 0
.LBB39_1665:
	s_andn2_b64 vcc, exec, s[0:1]
	s_cbranch_vccnz .LBB39_1667
; %bb.1666:
	v_cvt_i32_f64_e32 v2, v[0:1]
	global_store_short v[16:17], v2, off
.LBB39_1667:
	s_mov_b64 s[0:1], 0
.LBB39_1668:
	s_andn2_b64 vcc, exec, s[0:1]
	s_cbranch_vccnz .LBB39_1673
; %bb.1669:
	s_cmp_gt_i32 s3, 0
	s_mov_b64 s[0:1], -1
	s_cbranch_scc0 .LBB39_1671
; %bb.1670:
	v_cvt_i32_f64_e32 v2, v[0:1]
	s_mov_b64 s[0:1], 0
	global_store_byte v[16:17], v2, off
.LBB39_1671:
	s_andn2_b64 vcc, exec, s[0:1]
	s_cbranch_vccnz .LBB39_1673
; %bb.1672:
	v_trunc_f64_e32 v[0:1], v[0:1]
	s_movk_i32 s0, 0xffe0
	v_ldexp_f64 v[2:3], v[0:1], s0
	s_mov_b32 s0, 0
	s_mov_b32 s1, 0xc1f00000
	v_floor_f64_e32 v[2:3], v[2:3]
	v_fma_f64 v[0:1], v[2:3], s[0:1], v[0:1]
	v_cvt_u32_f64_e32 v0, v[0:1]
	global_store_byte v[16:17], v0, off
.LBB39_1673:
	s_mov_b64 s[12:13], -1
.LBB39_1674:
	s_andn2_b64 vcc, exec, s[12:13]
	s_cbranch_vccnz .LBB39_1989
; %bb.1675:
	s_lshl_b32 s18, s2, 7
	v_add_u32_e32 v2, s18, v6
	s_brev_b32 s0, -2
	v_ashrrev_i32_e32 v1, 31, v2
	v_mov_b32_e32 v3, s9
	v_add_co_u32_e32 v0, vcc, s8, v2
	v_bfi_b32 v5, s0, v5, v7
	s_cmp_lt_i32 s20, 11
	v_addc_co_u32_e32 v1, vcc, v3, v1, vcc
	s_cbranch_scc1 .LBB39_1753
; %bb.1676:
	s_and_b32 s19, 0xffff, s20
	s_mov_b64 s[12:13], -1
	s_mov_b64 s[2:3], 0
	s_cmp_gt_i32 s19, 25
	s_mov_b64 s[10:11], 0
	s_mov_b64 s[0:1], 0
	s_cbranch_scc0 .LBB39_1709
; %bb.1677:
	s_cmp_gt_i32 s19, 28
	s_cbranch_scc0 .LBB39_1692
; %bb.1678:
	s_cmp_gt_i32 s19, 43
	;; [unrolled: 3-line block ×3, first 2 shown]
	s_cbranch_scc0 .LBB39_1682
; %bb.1680:
	s_mov_b64 s[0:1], -1
	s_mov_b64 s[12:13], 0
	s_cmp_eq_u32 s19, 46
	s_cbranch_scc0 .LBB39_1682
; %bb.1681:
	v_cvt_f32_f64_e32 v3, v[4:5]
	s_movk_i32 s0, 0x7fff
	v_mov_b32_e32 v6, 0x7fc0
	s_mov_b64 s[10:11], -1
	v_bfe_u32 v7, v3, 16, 1
	v_cmp_o_f32_e32 vcc, v3, v3
	v_add3_u32 v3, v3, v7, s0
	v_cndmask_b32_sdwa v3, v6, v3, vcc dst_sel:DWORD dst_unused:UNUSED_PAD src0_sel:DWORD src1_sel:WORD_1
	global_store_dword v[0:1], v3, off
	s_mov_b64 s[0:1], 0
.LBB39_1682:
	s_and_b64 vcc, exec, s[12:13]
	s_cbranch_vccz .LBB39_1687
; %bb.1683:
	s_cmp_eq_u32 s19, 44
	s_mov_b64 s[0:1], -1
	s_cbranch_scc0 .LBB39_1687
; %bb.1684:
	v_cvt_f32_f64_e32 v3, v[4:5]
	s_movk_i32 s0, 0xff
	v_mov_b32_e32 v7, 0xff
	v_bfe_u32 v6, v3, 23, 8
	v_cmp_ne_u32_e32 vcc, s0, v6
	s_and_saveexec_b64 s[10:11], vcc
; %bb.1685:
	s_mov_b32 s0, 0x3fffff
	v_lshrrev_b32_e32 v7, 23, v3
	v_and_b32_e32 v12, 0x400000, v3
	v_and_or_b32 v3, v3, s0, v6
	v_cmp_ne_u32_e32 vcc, 0, v12
	v_cmp_ne_u32_e64 s[0:1], 0, v3
	s_and_b64 s[0:1], vcc, s[0:1]
	v_cndmask_b32_e64 v3, 0, 1, s[0:1]
	v_add_u32_e32 v7, v7, v3
; %bb.1686:
	s_or_b64 exec, exec, s[10:11]
	s_mov_b64 s[0:1], 0
	s_mov_b64 s[10:11], -1
	global_store_byte v[0:1], v7, off
.LBB39_1687:
	s_mov_b64 s[12:13], 0
.LBB39_1688:
	s_and_b64 vcc, exec, s[12:13]
	s_cbranch_vccz .LBB39_1691
; %bb.1689:
	s_cmp_eq_u32 s19, 29
	s_mov_b64 s[0:1], -1
	s_cbranch_scc0 .LBB39_1691
; %bb.1690:
	v_trunc_f64_e32 v[6:7], v[4:5]
	s_movk_i32 s0, 0xffe0
	s_mov_b64 s[10:11], -1
	v_ldexp_f64 v[16:17], v[6:7], s0
	s_mov_b32 s0, 0
	s_mov_b32 s1, 0xc1f00000
	v_floor_f64_e32 v[16:17], v[16:17]
	v_fma_f64 v[6:7], v[16:17], s[0:1], v[6:7]
	v_cvt_u32_f64_e32 v17, v[16:17]
	s_mov_b64 s[0:1], 0
	v_cvt_u32_f64_e32 v16, v[6:7]
	global_store_dwordx2 v[0:1], v[16:17], off
.LBB39_1691:
	s_mov_b64 s[12:13], 0
.LBB39_1692:
	s_and_b64 vcc, exec, s[12:13]
	s_cbranch_vccz .LBB39_1708
; %bb.1693:
	s_cmp_lt_i32 s19, 27
	s_mov_b64 s[10:11], -1
	s_cbranch_scc1 .LBB39_1699
; %bb.1694:
	v_cvt_u32_f64_e32 v3, v[4:5]
	s_cmp_gt_i32 s19, 27
	s_cbranch_scc0 .LBB39_1696
; %bb.1695:
	s_mov_b64 s[10:11], 0
	global_store_dword v[0:1], v3, off
.LBB39_1696:
	s_andn2_b64 vcc, exec, s[10:11]
	s_cbranch_vccnz .LBB39_1698
; %bb.1697:
	global_store_short v[0:1], v3, off
.LBB39_1698:
	s_mov_b64 s[10:11], 0
.LBB39_1699:
	s_andn2_b64 vcc, exec, s[10:11]
	s_cbranch_vccnz .LBB39_1707
; %bb.1700:
	v_cvt_f32_f64_e32 v3, v[4:5]
	s_mov_b32 s10, 0x43800000
	v_mov_b32_e32 v7, 0x80
	v_and_b32_e32 v6, 0x7fffffff, v3
	v_cmp_gt_u32_e32 vcc, s10, v6
	s_and_saveexec_b64 s[10:11], vcc
	s_cbranch_execz .LBB39_1706
; %bb.1701:
	s_mov_b32 s12, 0x3bffffff
	v_cmp_lt_u32_e32 vcc, s12, v6
	s_mov_b64 s[12:13], 0
                                        ; implicit-def: $vgpr6
	s_and_saveexec_b64 s[16:17], vcc
	s_xor_b64 s[16:17], exec, s[16:17]
	s_cbranch_execz .LBB39_2041
; %bb.1702:
	v_bfe_u32 v6, v3, 20, 1
	s_mov_b32 s21, 0x487ffff
	v_add3_u32 v6, v3, v6, s21
	s_mov_b64 s[12:13], exec
	v_lshrrev_b32_e32 v6, 20, v6
	s_andn2_saveexec_b64 s[16:17], s[16:17]
	s_cbranch_execnz .LBB39_2042
.LBB39_1703:
	s_or_b64 exec, exec, s[16:17]
	v_mov_b32_e32 v7, 0
	s_and_saveexec_b64 s[16:17], s[12:13]
.LBB39_1704:
	v_lshrrev_b32_e32 v3, 24, v3
	s_movk_i32 s12, 0x80
	v_and_or_b32 v7, v3, s12, v6
.LBB39_1705:
	s_or_b64 exec, exec, s[16:17]
.LBB39_1706:
	s_or_b64 exec, exec, s[10:11]
	global_store_byte v[0:1], v7, off
.LBB39_1707:
	s_mov_b64 s[10:11], -1
.LBB39_1708:
	s_mov_b64 s[12:13], 0
.LBB39_1709:
	s_and_b64 vcc, exec, s[12:13]
	s_cbranch_vccz .LBB39_1749
; %bb.1710:
	s_cmp_gt_i32 s19, 22
	s_mov_b64 s[2:3], -1
	s_cbranch_scc0 .LBB39_1742
; %bb.1711:
	s_cmp_lt_i32 s19, 24
	s_cbranch_scc1 .LBB39_1731
; %bb.1712:
	s_cmp_gt_i32 s19, 24
	s_cbranch_scc0 .LBB39_1720
; %bb.1713:
	v_cvt_f32_f64_e32 v3, v[4:5]
	s_mov_b32 s2, 0x47800000
	v_mov_b32_e32 v7, 0x80
	v_and_b32_e32 v6, 0x7fffffff, v3
	v_cmp_gt_u32_e32 vcc, s2, v6
	s_and_saveexec_b64 s[2:3], vcc
	s_cbranch_execz .LBB39_1719
; %bb.1714:
	s_mov_b32 s10, 0x37ffffff
	v_cmp_lt_u32_e32 vcc, s10, v6
	s_mov_b64 s[10:11], 0
                                        ; implicit-def: $vgpr6
	s_and_saveexec_b64 s[12:13], vcc
	s_xor_b64 s[12:13], exec, s[12:13]
	s_cbranch_execz .LBB39_2044
; %bb.1715:
	v_bfe_u32 v6, v3, 21, 1
	s_mov_b32 s16, 0x88fffff
	v_add3_u32 v6, v3, v6, s16
	s_mov_b64 s[10:11], exec
	v_lshrrev_b32_e32 v6, 21, v6
	s_andn2_saveexec_b64 s[12:13], s[12:13]
	s_cbranch_execnz .LBB39_2045
.LBB39_1716:
	s_or_b64 exec, exec, s[12:13]
	v_mov_b32_e32 v7, 0
	s_and_saveexec_b64 s[12:13], s[10:11]
.LBB39_1717:
	v_lshrrev_b32_e32 v3, 24, v3
	s_movk_i32 s10, 0x80
	v_and_or_b32 v7, v3, s10, v6
.LBB39_1718:
	s_or_b64 exec, exec, s[12:13]
.LBB39_1719:
	s_or_b64 exec, exec, s[2:3]
	s_mov_b64 s[2:3], 0
	global_store_byte v[0:1], v7, off
.LBB39_1720:
	s_and_b64 vcc, exec, s[2:3]
	s_cbranch_vccz .LBB39_1730
; %bb.1721:
	v_cvt_f32_f64_e32 v3, v[4:5]
	s_mov_b32 s2, 0x43f00000
                                        ; implicit-def: $vgpr6
	v_and_b32_e32 v7, 0x7fffffff, v3
	v_cmp_gt_u32_e32 vcc, s2, v7
	s_and_saveexec_b64 s[2:3], vcc
	s_xor_b64 s[2:3], exec, s[2:3]
	s_cbranch_execz .LBB39_1727
; %bb.1722:
	s_mov_b32 s10, 0x3c7fffff
	v_cmp_lt_u32_e32 vcc, s10, v7
                                        ; implicit-def: $vgpr6
	s_and_saveexec_b64 s[10:11], vcc
	s_xor_b64 s[10:11], exec, s[10:11]
; %bb.1723:
	v_bfe_u32 v6, v3, 20, 1
	s_mov_b32 s12, 0x407ffff
	v_add3_u32 v6, v3, v6, s12
	v_lshrrev_b32_e32 v7, 20, v6
	v_and_b32_e32 v6, 0xff00000, v6
	s_mov_b32 s12, 0x7f00000
	v_mov_b32_e32 v12, 0x7e
	v_cmp_ne_u32_e32 vcc, s12, v6
	v_cndmask_b32_e32 v6, v12, v7, vcc
; %bb.1724:
	s_andn2_saveexec_b64 s[10:11], s[10:11]
; %bb.1725:
	s_mov_b32 s12, 0x46800000
	v_add_f32_e64 v6, |v3|, s12
; %bb.1726:
	s_or_b64 exec, exec, s[10:11]
                                        ; implicit-def: $vgpr7
.LBB39_1727:
	s_andn2_saveexec_b64 s[2:3], s[2:3]
; %bb.1728:
	s_mov_b32 s10, 0x7f800000
	v_mov_b32_e32 v6, 0x7e
	v_mov_b32_e32 v12, 0x7f
	v_cmp_lt_u32_e32 vcc, s10, v7
	v_cndmask_b32_e32 v6, v6, v12, vcc
; %bb.1729:
	s_or_b64 exec, exec, s[2:3]
	v_lshrrev_b32_e32 v3, 24, v3
	s_movk_i32 s2, 0x80
	v_and_or_b32 v3, v3, s2, v6
	global_store_byte v[0:1], v3, off
.LBB39_1730:
	s_mov_b64 s[2:3], 0
.LBB39_1731:
	s_andn2_b64 vcc, exec, s[2:3]
	s_cbranch_vccnz .LBB39_1741
; %bb.1732:
	v_cvt_f32_f64_e32 v3, v[4:5]
	s_mov_b32 s2, 0x47800000
                                        ; implicit-def: $vgpr6
	v_and_b32_e32 v7, 0x7fffffff, v3
	v_cmp_gt_u32_e32 vcc, s2, v7
	s_and_saveexec_b64 s[2:3], vcc
	s_xor_b64 s[2:3], exec, s[2:3]
	s_cbranch_execz .LBB39_1738
; %bb.1733:
	s_mov_b32 s10, 0x387fffff
	v_cmp_lt_u32_e32 vcc, s10, v7
                                        ; implicit-def: $vgpr6
	s_and_saveexec_b64 s[10:11], vcc
	s_xor_b64 s[10:11], exec, s[10:11]
; %bb.1734:
	v_bfe_u32 v6, v3, 21, 1
	s_mov_b32 s12, 0x80fffff
	v_add3_u32 v6, v3, v6, s12
	v_lshrrev_b32_e32 v6, 21, v6
; %bb.1735:
	s_andn2_saveexec_b64 s[10:11], s[10:11]
; %bb.1736:
	s_mov_b32 s12, 0x43000000
	v_add_f32_e64 v6, |v3|, s12
; %bb.1737:
	s_or_b64 exec, exec, s[10:11]
                                        ; implicit-def: $vgpr7
.LBB39_1738:
	s_andn2_saveexec_b64 s[2:3], s[2:3]
; %bb.1739:
	s_mov_b32 s10, 0x7f800000
	v_mov_b32_e32 v6, 0x7c
	v_mov_b32_e32 v12, 0x7f
	v_cmp_lt_u32_e32 vcc, s10, v7
	v_cndmask_b32_e32 v6, v6, v12, vcc
; %bb.1740:
	s_or_b64 exec, exec, s[2:3]
	v_lshrrev_b32_e32 v3, 24, v3
	s_movk_i32 s2, 0x80
	v_and_or_b32 v3, v3, s2, v6
	global_store_byte v[0:1], v3, off
.LBB39_1741:
	s_mov_b64 s[2:3], 0
	s_mov_b64 s[10:11], -1
.LBB39_1742:
	s_andn2_b64 vcc, exec, s[2:3]
	s_mov_b64 s[2:3], 0
	s_cbranch_vccnz .LBB39_1749
; %bb.1743:
	s_cmp_gt_i32 s19, 14
	s_mov_b64 s[12:13], -1
	s_cbranch_scc0 .LBB39_1747
; %bb.1744:
	s_cmp_eq_u32 s19, 15
	s_mov_b64 s[0:1], -1
	s_cbranch_scc0 .LBB39_1746
; %bb.1745:
	v_cvt_f32_f64_e32 v3, v[4:5]
	s_movk_i32 s0, 0x7fff
	v_mov_b32_e32 v6, 0x7fc0
	s_mov_b64 s[10:11], -1
	v_bfe_u32 v7, v3, 16, 1
	v_cmp_o_f32_e32 vcc, v3, v3
	v_add3_u32 v3, v3, v7, s0
	v_cndmask_b32_sdwa v3, v6, v3, vcc dst_sel:DWORD dst_unused:UNUSED_PAD src0_sel:DWORD src1_sel:WORD_1
	global_store_short v[0:1], v3, off
	s_mov_b64 s[0:1], 0
.LBB39_1746:
	s_mov_b64 s[12:13], 0
.LBB39_1747:
	s_and_b64 vcc, exec, s[12:13]
	s_cbranch_vccz .LBB39_1749
; %bb.1748:
	s_cmp_lg_u32 s19, 11
	s_mov_b64 s[2:3], -1
	s_cselect_b64 s[0:1], -1, 0
.LBB39_1749:
	s_and_b64 vcc, exec, s[0:1]
	s_cbranch_vccnz .LBB39_2043
; %bb.1750:
	s_andn2_b64 vcc, exec, s[2:3]
	s_cbranch_vccnz .LBB39_1752
.LBB39_1751:
	v_cmp_neq_f64_e32 vcc, 0, v[4:5]
	s_mov_b64 s[10:11], -1
	v_cndmask_b32_e64 v3, 0, 1, vcc
	global_store_byte v[0:1], v3, off
.LBB39_1752:
	s_mov_b64 s[0:1], 0
	s_branch .LBB39_1754
.LBB39_1753:
	s_mov_b64 s[0:1], -1
	s_mov_b64 s[10:11], 0
.LBB39_1754:
	s_and_b64 vcc, exec, s[0:1]
	s_cbranch_vccz .LBB39_1793
; %bb.1755:
	s_and_b32 s2, 0xffff, s20
	s_cmp_lt_i32 s2, 5
	s_mov_b64 s[0:1], -1
	s_cbranch_scc1 .LBB39_1776
; %bb.1756:
	s_cmp_lt_i32 s2, 8
	s_cbranch_scc1 .LBB39_1766
; %bb.1757:
	s_cmp_lt_i32 s2, 9
	s_cbranch_scc1 .LBB39_1763
; %bb.1758:
	s_cmp_gt_i32 s2, 9
	s_cbranch_scc0 .LBB39_1760
; %bb.1759:
	v_mov_b32_e32 v6, 0
	v_mov_b32_e32 v7, v6
	global_store_dwordx4 v[0:1], v[4:7], off
	s_mov_b64 s[0:1], 0
.LBB39_1760:
	s_andn2_b64 vcc, exec, s[0:1]
	s_cbranch_vccnz .LBB39_1762
; %bb.1761:
	v_cvt_f32_f64_e32 v6, v[4:5]
	v_mov_b32_e32 v7, 0
	global_store_dwordx2 v[0:1], v[6:7], off
.LBB39_1762:
	s_mov_b64 s[0:1], 0
.LBB39_1763:
	s_andn2_b64 vcc, exec, s[0:1]
	s_cbranch_vccnz .LBB39_1765
; %bb.1764:
	s_movk_i32 s0, 0x1ff
	v_and_or_b32 v3, v5, s0, v4
	v_cmp_ne_u32_e32 vcc, 0, v3
	v_cndmask_b32_e64 v3, 0, 1, vcc
	v_lshrrev_b32_e32 v6, 8, v5
	s_movk_i32 s0, 0xffe
	v_bfe_u32 v7, v5, 20, 11
	v_and_or_b32 v3, v6, s0, v3
	v_sub_u32_e32 v12, 0x3f1, v7
	v_or_b32_e32 v6, 0x1000, v3
	v_med3_i32 v12, v12, 0, 13
	v_lshrrev_b32_e32 v14, v12, v6
	v_lshlrev_b32_e32 v12, v12, v14
	v_cmp_ne_u32_e32 vcc, v12, v6
	v_cndmask_b32_e64 v6, 0, 1, vcc
	v_add_u32_e32 v7, 0xfffffc10, v7
	v_or_b32_e32 v6, v14, v6
	v_lshl_or_b32 v12, v7, 12, v3
	v_cmp_gt_i32_e32 vcc, 1, v7
	v_cndmask_b32_e32 v6, v12, v6, vcc
	v_and_b32_e32 v12, 7, v6
	v_cmp_lt_i32_e32 vcc, 5, v12
	v_cndmask_b32_e64 v14, 0, 1, vcc
	v_cmp_eq_u32_e32 vcc, 3, v12
	v_cndmask_b32_e64 v12, 0, 1, vcc
	v_or_b32_e32 v12, v12, v14
	v_lshrrev_b32_e32 v6, 2, v6
	v_add_u32_e32 v6, v6, v12
	v_mov_b32_e32 v12, 0x7c00
	v_cmp_gt_i32_e32 vcc, 31, v7
	v_cndmask_b32_e32 v6, v12, v6, vcc
	v_mov_b32_e32 v14, 0x7e00
	v_cmp_ne_u32_e32 vcc, 0, v3
	s_movk_i32 s0, 0x40f
	v_cndmask_b32_e32 v3, v12, v14, vcc
	v_cmp_eq_u32_e32 vcc, s0, v7
	v_cndmask_b32_e32 v3, v6, v3, vcc
	v_lshrrev_b32_e32 v6, 16, v5
	s_mov_b32 s0, 0x8000
	v_and_or_b32 v3, v6, s0, v3
	v_and_b32_e32 v3, 0xffff, v3
	global_store_dword v[0:1], v3, off
.LBB39_1765:
	s_mov_b64 s[0:1], 0
.LBB39_1766:
	s_andn2_b64 vcc, exec, s[0:1]
	s_cbranch_vccnz .LBB39_1775
; %bb.1767:
	s_cmp_lt_i32 s2, 6
	s_mov_b64 s[0:1], -1
	s_cbranch_scc1 .LBB39_1773
; %bb.1768:
	s_cmp_gt_i32 s2, 6
	s_cbranch_scc0 .LBB39_1770
; %bb.1769:
	global_store_dwordx2 v[0:1], v[4:5], off
	s_mov_b64 s[0:1], 0
.LBB39_1770:
	s_andn2_b64 vcc, exec, s[0:1]
	s_cbranch_vccnz .LBB39_1772
; %bb.1771:
	v_cvt_f32_f64_e32 v3, v[4:5]
	global_store_dword v[0:1], v3, off
.LBB39_1772:
	s_mov_b64 s[0:1], 0
.LBB39_1773:
	s_andn2_b64 vcc, exec, s[0:1]
	s_cbranch_vccnz .LBB39_1775
; %bb.1774:
	s_movk_i32 s0, 0x1ff
	v_and_or_b32 v3, v5, s0, v4
	v_cmp_ne_u32_e32 vcc, 0, v3
	v_cndmask_b32_e64 v3, 0, 1, vcc
	v_lshrrev_b32_e32 v6, 8, v5
	s_movk_i32 s0, 0xffe
	v_bfe_u32 v7, v5, 20, 11
	v_and_or_b32 v3, v6, s0, v3
	v_sub_u32_e32 v12, 0x3f1, v7
	v_or_b32_e32 v6, 0x1000, v3
	v_med3_i32 v12, v12, 0, 13
	v_lshrrev_b32_e32 v14, v12, v6
	v_lshlrev_b32_e32 v12, v12, v14
	v_cmp_ne_u32_e32 vcc, v12, v6
	v_cndmask_b32_e64 v6, 0, 1, vcc
	v_add_u32_e32 v7, 0xfffffc10, v7
	v_or_b32_e32 v6, v14, v6
	v_lshl_or_b32 v12, v7, 12, v3
	v_cmp_gt_i32_e32 vcc, 1, v7
	v_cndmask_b32_e32 v6, v12, v6, vcc
	v_and_b32_e32 v12, 7, v6
	v_cmp_lt_i32_e32 vcc, 5, v12
	v_cndmask_b32_e64 v14, 0, 1, vcc
	v_cmp_eq_u32_e32 vcc, 3, v12
	v_cndmask_b32_e64 v12, 0, 1, vcc
	v_or_b32_e32 v12, v12, v14
	v_lshrrev_b32_e32 v6, 2, v6
	v_add_u32_e32 v6, v6, v12
	v_mov_b32_e32 v12, 0x7c00
	v_cmp_gt_i32_e32 vcc, 31, v7
	v_cndmask_b32_e32 v6, v12, v6, vcc
	v_mov_b32_e32 v14, 0x7e00
	v_cmp_ne_u32_e32 vcc, 0, v3
	s_movk_i32 s0, 0x40f
	v_cndmask_b32_e32 v3, v12, v14, vcc
	v_cmp_eq_u32_e32 vcc, s0, v7
	v_cndmask_b32_e32 v3, v6, v3, vcc
	v_lshrrev_b32_e32 v6, 16, v5
	s_mov_b32 s0, 0x8000
	v_and_or_b32 v3, v6, s0, v3
	global_store_short v[0:1], v3, off
.LBB39_1775:
	s_mov_b64 s[0:1], 0
.LBB39_1776:
	s_andn2_b64 vcc, exec, s[0:1]
	s_cbranch_vccnz .LBB39_1792
; %bb.1777:
	s_cmp_lt_i32 s2, 2
	s_mov_b64 s[0:1], -1
	s_cbranch_scc1 .LBB39_1787
; %bb.1778:
	s_cmp_lt_i32 s2, 3
	s_cbranch_scc1 .LBB39_1784
; %bb.1779:
	s_cmp_gt_i32 s2, 3
	s_cbranch_scc0 .LBB39_1781
; %bb.1780:
	v_trunc_f64_e32 v[6:7], v[4:5]
	s_movk_i32 s0, 0xffe0
	v_ldexp_f64 v[16:17], v[6:7], s0
	s_mov_b32 s0, 0
	s_mov_b32 s1, 0xc1f00000
	v_floor_f64_e32 v[16:17], v[16:17]
	v_fma_f64 v[6:7], v[16:17], s[0:1], v[6:7]
	v_cvt_i32_f64_e32 v17, v[16:17]
	s_mov_b64 s[0:1], 0
	v_cvt_u32_f64_e32 v16, v[6:7]
	global_store_dwordx2 v[0:1], v[16:17], off
.LBB39_1781:
	s_andn2_b64 vcc, exec, s[0:1]
	s_cbranch_vccnz .LBB39_1783
; %bb.1782:
	v_cvt_i32_f64_e32 v3, v[4:5]
	global_store_dword v[0:1], v3, off
.LBB39_1783:
	s_mov_b64 s[0:1], 0
.LBB39_1784:
	s_andn2_b64 vcc, exec, s[0:1]
	s_cbranch_vccnz .LBB39_1786
; %bb.1785:
	v_cvt_i32_f64_e32 v3, v[4:5]
	global_store_short v[0:1], v3, off
.LBB39_1786:
	s_mov_b64 s[0:1], 0
.LBB39_1787:
	s_andn2_b64 vcc, exec, s[0:1]
	s_cbranch_vccnz .LBB39_1792
; %bb.1788:
	s_cmp_gt_i32 s2, 0
	s_mov_b64 s[0:1], -1
	s_cbranch_scc0 .LBB39_1790
; %bb.1789:
	v_cvt_i32_f64_e32 v3, v[4:5]
	s_mov_b64 s[0:1], 0
	global_store_byte v[0:1], v3, off
.LBB39_1790:
	s_andn2_b64 vcc, exec, s[0:1]
	s_cbranch_vccnz .LBB39_1792
; %bb.1791:
	v_trunc_f64_e32 v[3:4], v[4:5]
	s_movk_i32 s0, 0xffe0
	v_ldexp_f64 v[5:6], v[3:4], s0
	s_mov_b32 s0, 0
	s_mov_b32 s1, 0xc1f00000
	v_floor_f64_e32 v[5:6], v[5:6]
	v_fma_f64 v[3:4], v[5:6], s[0:1], v[3:4]
	v_cvt_u32_f64_e32 v3, v[3:4]
	global_store_byte v[0:1], v3, off
.LBB39_1792:
	s_mov_b64 s[10:11], -1
.LBB39_1793:
	s_andn2_b64 vcc, exec, s[10:11]
	s_cbranch_vccnz .LBB39_1989
; %bb.1794:
	v_add_u32_e32 v2, s18, v2
	s_brev_b32 s0, -2
	v_ashrrev_i32_e32 v1, 31, v2
	v_mov_b32_e32 v3, s9
	v_add_co_u32_e32 v0, vcc, s8, v2
	v_bfi_b32 v11, s0, v11, v13
	s_cmp_lt_i32 s20, 11
	v_addc_co_u32_e32 v1, vcc, v3, v1, vcc
	s_cbranch_scc1 .LBB39_1872
; %bb.1795:
	s_and_b32 s19, 0xffff, s20
	s_mov_b64 s[12:13], -1
	s_mov_b64 s[2:3], 0
	s_cmp_gt_i32 s19, 25
	s_mov_b64 s[10:11], 0
	s_mov_b64 s[0:1], 0
	s_cbranch_scc0 .LBB39_1828
; %bb.1796:
	s_cmp_gt_i32 s19, 28
	s_cbranch_scc0 .LBB39_1811
; %bb.1797:
	s_cmp_gt_i32 s19, 43
	;; [unrolled: 3-line block ×3, first 2 shown]
	s_cbranch_scc0 .LBB39_1801
; %bb.1799:
	s_mov_b64 s[0:1], -1
	s_mov_b64 s[12:13], 0
	s_cmp_eq_u32 s19, 46
	s_cbranch_scc0 .LBB39_1801
; %bb.1800:
	v_cvt_f32_f64_e32 v3, v[10:11]
	s_movk_i32 s0, 0x7fff
	v_mov_b32_e32 v4, 0x7fc0
	s_mov_b64 s[10:11], -1
	v_bfe_u32 v5, v3, 16, 1
	v_cmp_o_f32_e32 vcc, v3, v3
	v_add3_u32 v3, v3, v5, s0
	v_cndmask_b32_sdwa v3, v4, v3, vcc dst_sel:DWORD dst_unused:UNUSED_PAD src0_sel:DWORD src1_sel:WORD_1
	global_store_dword v[0:1], v3, off
	s_mov_b64 s[0:1], 0
.LBB39_1801:
	s_and_b64 vcc, exec, s[12:13]
	s_cbranch_vccz .LBB39_1806
; %bb.1802:
	s_cmp_eq_u32 s19, 44
	s_mov_b64 s[0:1], -1
	s_cbranch_scc0 .LBB39_1806
; %bb.1803:
	v_cvt_f32_f64_e32 v3, v[10:11]
	s_movk_i32 s0, 0xff
	v_mov_b32_e32 v5, 0xff
	v_bfe_u32 v4, v3, 23, 8
	v_cmp_ne_u32_e32 vcc, s0, v4
	s_and_saveexec_b64 s[10:11], vcc
; %bb.1804:
	s_mov_b32 s0, 0x3fffff
	v_lshrrev_b32_e32 v5, 23, v3
	v_and_b32_e32 v6, 0x400000, v3
	v_and_or_b32 v3, v3, s0, v4
	v_cmp_ne_u32_e32 vcc, 0, v6
	v_cmp_ne_u32_e64 s[0:1], 0, v3
	s_and_b64 s[0:1], vcc, s[0:1]
	v_cndmask_b32_e64 v3, 0, 1, s[0:1]
	v_add_u32_e32 v5, v5, v3
; %bb.1805:
	s_or_b64 exec, exec, s[10:11]
	s_mov_b64 s[0:1], 0
	s_mov_b64 s[10:11], -1
	global_store_byte v[0:1], v5, off
.LBB39_1806:
	s_mov_b64 s[12:13], 0
.LBB39_1807:
	s_and_b64 vcc, exec, s[12:13]
	s_cbranch_vccz .LBB39_1810
; %bb.1808:
	s_cmp_eq_u32 s19, 29
	s_mov_b64 s[0:1], -1
	s_cbranch_scc0 .LBB39_1810
; %bb.1809:
	v_trunc_f64_e32 v[3:4], v[10:11]
	s_movk_i32 s0, 0xffe0
	s_mov_b64 s[10:11], -1
	v_ldexp_f64 v[5:6], v[3:4], s0
	s_mov_b32 s0, 0
	s_mov_b32 s1, 0xc1f00000
	v_floor_f64_e32 v[5:6], v[5:6]
	v_fma_f64 v[3:4], v[5:6], s[0:1], v[3:4]
	v_cvt_u32_f64_e32 v5, v[5:6]
	s_mov_b64 s[0:1], 0
	v_cvt_u32_f64_e32 v4, v[3:4]
	global_store_dwordx2 v[0:1], v[4:5], off
.LBB39_1810:
	s_mov_b64 s[12:13], 0
.LBB39_1811:
	s_and_b64 vcc, exec, s[12:13]
	s_cbranch_vccz .LBB39_1827
; %bb.1812:
	s_cmp_lt_i32 s19, 27
	s_mov_b64 s[10:11], -1
	s_cbranch_scc1 .LBB39_1818
; %bb.1813:
	v_cvt_u32_f64_e32 v3, v[10:11]
	s_cmp_gt_i32 s19, 27
	s_cbranch_scc0 .LBB39_1815
; %bb.1814:
	s_mov_b64 s[10:11], 0
	global_store_dword v[0:1], v3, off
.LBB39_1815:
	s_andn2_b64 vcc, exec, s[10:11]
	s_cbranch_vccnz .LBB39_1817
; %bb.1816:
	global_store_short v[0:1], v3, off
.LBB39_1817:
	s_mov_b64 s[10:11], 0
.LBB39_1818:
	s_andn2_b64 vcc, exec, s[10:11]
	s_cbranch_vccnz .LBB39_1826
; %bb.1819:
	v_cvt_f32_f64_e32 v3, v[10:11]
	s_mov_b32 s10, 0x43800000
	v_mov_b32_e32 v5, 0x80
	v_and_b32_e32 v4, 0x7fffffff, v3
	v_cmp_gt_u32_e32 vcc, s10, v4
	s_and_saveexec_b64 s[10:11], vcc
	s_cbranch_execz .LBB39_1825
; %bb.1820:
	s_mov_b32 s12, 0x3bffffff
	v_cmp_lt_u32_e32 vcc, s12, v4
	s_mov_b64 s[12:13], 0
                                        ; implicit-def: $vgpr4
	s_and_saveexec_b64 s[16:17], vcc
	s_xor_b64 s[16:17], exec, s[16:17]
	s_cbranch_execz .LBB39_2046
; %bb.1821:
	v_bfe_u32 v4, v3, 20, 1
	s_mov_b32 s21, 0x487ffff
	v_add3_u32 v4, v3, v4, s21
	s_mov_b64 s[12:13], exec
	v_lshrrev_b32_e32 v4, 20, v4
	s_andn2_saveexec_b64 s[16:17], s[16:17]
	s_cbranch_execnz .LBB39_2047
.LBB39_1822:
	s_or_b64 exec, exec, s[16:17]
	v_mov_b32_e32 v5, 0
	s_and_saveexec_b64 s[16:17], s[12:13]
.LBB39_1823:
	v_lshrrev_b32_e32 v3, 24, v3
	s_movk_i32 s12, 0x80
	v_and_or_b32 v5, v3, s12, v4
.LBB39_1824:
	s_or_b64 exec, exec, s[16:17]
.LBB39_1825:
	s_or_b64 exec, exec, s[10:11]
	global_store_byte v[0:1], v5, off
.LBB39_1826:
	s_mov_b64 s[10:11], -1
.LBB39_1827:
	s_mov_b64 s[12:13], 0
.LBB39_1828:
	s_and_b64 vcc, exec, s[12:13]
	s_cbranch_vccz .LBB39_1868
; %bb.1829:
	s_cmp_gt_i32 s19, 22
	s_mov_b64 s[2:3], -1
	s_cbranch_scc0 .LBB39_1861
; %bb.1830:
	s_cmp_lt_i32 s19, 24
	s_cbranch_scc1 .LBB39_1850
; %bb.1831:
	s_cmp_gt_i32 s19, 24
	s_cbranch_scc0 .LBB39_1839
; %bb.1832:
	v_cvt_f32_f64_e32 v3, v[10:11]
	s_mov_b32 s2, 0x47800000
	v_mov_b32_e32 v5, 0x80
	v_and_b32_e32 v4, 0x7fffffff, v3
	v_cmp_gt_u32_e32 vcc, s2, v4
	s_and_saveexec_b64 s[2:3], vcc
	s_cbranch_execz .LBB39_1838
; %bb.1833:
	s_mov_b32 s10, 0x37ffffff
	v_cmp_lt_u32_e32 vcc, s10, v4
	s_mov_b64 s[10:11], 0
                                        ; implicit-def: $vgpr4
	s_and_saveexec_b64 s[12:13], vcc
	s_xor_b64 s[12:13], exec, s[12:13]
	s_cbranch_execz .LBB39_2049
; %bb.1834:
	v_bfe_u32 v4, v3, 21, 1
	s_mov_b32 s16, 0x88fffff
	v_add3_u32 v4, v3, v4, s16
	s_mov_b64 s[10:11], exec
	v_lshrrev_b32_e32 v4, 21, v4
	s_andn2_saveexec_b64 s[12:13], s[12:13]
	s_cbranch_execnz .LBB39_2050
.LBB39_1835:
	s_or_b64 exec, exec, s[12:13]
	v_mov_b32_e32 v5, 0
	s_and_saveexec_b64 s[12:13], s[10:11]
.LBB39_1836:
	v_lshrrev_b32_e32 v3, 24, v3
	s_movk_i32 s10, 0x80
	v_and_or_b32 v5, v3, s10, v4
.LBB39_1837:
	s_or_b64 exec, exec, s[12:13]
.LBB39_1838:
	s_or_b64 exec, exec, s[2:3]
	s_mov_b64 s[2:3], 0
	global_store_byte v[0:1], v5, off
.LBB39_1839:
	s_and_b64 vcc, exec, s[2:3]
	s_cbranch_vccz .LBB39_1849
; %bb.1840:
	v_cvt_f32_f64_e32 v3, v[10:11]
	s_mov_b32 s2, 0x43f00000
                                        ; implicit-def: $vgpr4
	v_and_b32_e32 v5, 0x7fffffff, v3
	v_cmp_gt_u32_e32 vcc, s2, v5
	s_and_saveexec_b64 s[2:3], vcc
	s_xor_b64 s[2:3], exec, s[2:3]
	s_cbranch_execz .LBB39_1846
; %bb.1841:
	s_mov_b32 s10, 0x3c7fffff
	v_cmp_lt_u32_e32 vcc, s10, v5
                                        ; implicit-def: $vgpr4
	s_and_saveexec_b64 s[10:11], vcc
	s_xor_b64 s[10:11], exec, s[10:11]
; %bb.1842:
	v_bfe_u32 v4, v3, 20, 1
	s_mov_b32 s12, 0x407ffff
	v_add3_u32 v4, v3, v4, s12
	v_lshrrev_b32_e32 v5, 20, v4
	v_and_b32_e32 v4, 0xff00000, v4
	s_mov_b32 s12, 0x7f00000
	v_mov_b32_e32 v6, 0x7e
	v_cmp_ne_u32_e32 vcc, s12, v4
	v_cndmask_b32_e32 v4, v6, v5, vcc
; %bb.1843:
	s_andn2_saveexec_b64 s[10:11], s[10:11]
; %bb.1844:
	s_mov_b32 s12, 0x46800000
	v_add_f32_e64 v4, |v3|, s12
; %bb.1845:
	s_or_b64 exec, exec, s[10:11]
                                        ; implicit-def: $vgpr5
.LBB39_1846:
	s_andn2_saveexec_b64 s[2:3], s[2:3]
; %bb.1847:
	s_mov_b32 s10, 0x7f800000
	v_mov_b32_e32 v4, 0x7e
	v_mov_b32_e32 v6, 0x7f
	v_cmp_lt_u32_e32 vcc, s10, v5
	v_cndmask_b32_e32 v4, v4, v6, vcc
; %bb.1848:
	s_or_b64 exec, exec, s[2:3]
	v_lshrrev_b32_e32 v3, 24, v3
	s_movk_i32 s2, 0x80
	v_and_or_b32 v3, v3, s2, v4
	global_store_byte v[0:1], v3, off
.LBB39_1849:
	s_mov_b64 s[2:3], 0
.LBB39_1850:
	s_andn2_b64 vcc, exec, s[2:3]
	s_cbranch_vccnz .LBB39_1860
; %bb.1851:
	v_cvt_f32_f64_e32 v3, v[10:11]
	s_mov_b32 s2, 0x47800000
                                        ; implicit-def: $vgpr4
	v_and_b32_e32 v5, 0x7fffffff, v3
	v_cmp_gt_u32_e32 vcc, s2, v5
	s_and_saveexec_b64 s[2:3], vcc
	s_xor_b64 s[2:3], exec, s[2:3]
	s_cbranch_execz .LBB39_1857
; %bb.1852:
	s_mov_b32 s10, 0x387fffff
	v_cmp_lt_u32_e32 vcc, s10, v5
                                        ; implicit-def: $vgpr4
	s_and_saveexec_b64 s[10:11], vcc
	s_xor_b64 s[10:11], exec, s[10:11]
; %bb.1853:
	v_bfe_u32 v4, v3, 21, 1
	s_mov_b32 s12, 0x80fffff
	v_add3_u32 v4, v3, v4, s12
	v_lshrrev_b32_e32 v4, 21, v4
; %bb.1854:
	s_andn2_saveexec_b64 s[10:11], s[10:11]
; %bb.1855:
	s_mov_b32 s12, 0x43000000
	v_add_f32_e64 v4, |v3|, s12
; %bb.1856:
	s_or_b64 exec, exec, s[10:11]
                                        ; implicit-def: $vgpr5
.LBB39_1857:
	s_andn2_saveexec_b64 s[2:3], s[2:3]
; %bb.1858:
	s_mov_b32 s10, 0x7f800000
	v_mov_b32_e32 v4, 0x7c
	v_mov_b32_e32 v6, 0x7f
	v_cmp_lt_u32_e32 vcc, s10, v5
	v_cndmask_b32_e32 v4, v4, v6, vcc
; %bb.1859:
	s_or_b64 exec, exec, s[2:3]
	v_lshrrev_b32_e32 v3, 24, v3
	s_movk_i32 s2, 0x80
	v_and_or_b32 v3, v3, s2, v4
	global_store_byte v[0:1], v3, off
.LBB39_1860:
	s_mov_b64 s[2:3], 0
	s_mov_b64 s[10:11], -1
.LBB39_1861:
	s_andn2_b64 vcc, exec, s[2:3]
	s_mov_b64 s[2:3], 0
	s_cbranch_vccnz .LBB39_1868
; %bb.1862:
	s_cmp_gt_i32 s19, 14
	s_mov_b64 s[12:13], -1
	s_cbranch_scc0 .LBB39_1866
; %bb.1863:
	s_cmp_eq_u32 s19, 15
	s_mov_b64 s[0:1], -1
	s_cbranch_scc0 .LBB39_1865
; %bb.1864:
	v_cvt_f32_f64_e32 v3, v[10:11]
	s_movk_i32 s0, 0x7fff
	v_mov_b32_e32 v4, 0x7fc0
	s_mov_b64 s[10:11], -1
	v_bfe_u32 v5, v3, 16, 1
	v_cmp_o_f32_e32 vcc, v3, v3
	v_add3_u32 v3, v3, v5, s0
	v_cndmask_b32_sdwa v3, v4, v3, vcc dst_sel:DWORD dst_unused:UNUSED_PAD src0_sel:DWORD src1_sel:WORD_1
	global_store_short v[0:1], v3, off
	s_mov_b64 s[0:1], 0
.LBB39_1865:
	s_mov_b64 s[12:13], 0
.LBB39_1866:
	s_and_b64 vcc, exec, s[12:13]
	s_cbranch_vccz .LBB39_1868
; %bb.1867:
	s_cmp_lg_u32 s19, 11
	s_mov_b64 s[2:3], -1
	s_cselect_b64 s[0:1], -1, 0
.LBB39_1868:
	s_and_b64 vcc, exec, s[0:1]
	s_cbranch_vccnz .LBB39_2048
; %bb.1869:
	s_andn2_b64 vcc, exec, s[2:3]
	s_cbranch_vccnz .LBB39_1871
.LBB39_1870:
	v_cmp_neq_f64_e32 vcc, 0, v[10:11]
	s_mov_b64 s[10:11], -1
	v_cndmask_b32_e64 v3, 0, 1, vcc
	global_store_byte v[0:1], v3, off
.LBB39_1871:
	s_mov_b64 s[0:1], 0
	s_branch .LBB39_1873
.LBB39_1872:
	s_mov_b64 s[0:1], -1
	s_mov_b64 s[10:11], 0
.LBB39_1873:
	s_and_b64 vcc, exec, s[0:1]
	s_cbranch_vccz .LBB39_1912
; %bb.1874:
	s_and_b32 s2, 0xffff, s20
	s_cmp_lt_i32 s2, 5
	s_mov_b64 s[0:1], -1
	s_cbranch_scc1 .LBB39_1895
; %bb.1875:
	s_cmp_lt_i32 s2, 8
	s_cbranch_scc1 .LBB39_1885
; %bb.1876:
	s_cmp_lt_i32 s2, 9
	s_cbranch_scc1 .LBB39_1882
; %bb.1877:
	s_cmp_gt_i32 s2, 9
	s_cbranch_scc0 .LBB39_1879
; %bb.1878:
	v_mov_b32_e32 v12, 0
	v_mov_b32_e32 v13, v12
	global_store_dwordx4 v[0:1], v[10:13], off
	s_mov_b64 s[0:1], 0
.LBB39_1879:
	s_andn2_b64 vcc, exec, s[0:1]
	s_cbranch_vccnz .LBB39_1881
; %bb.1880:
	v_cvt_f32_f64_e32 v3, v[10:11]
	v_mov_b32_e32 v4, 0
	global_store_dwordx2 v[0:1], v[3:4], off
.LBB39_1881:
	s_mov_b64 s[0:1], 0
.LBB39_1882:
	s_andn2_b64 vcc, exec, s[0:1]
	s_cbranch_vccnz .LBB39_1884
; %bb.1883:
	s_movk_i32 s0, 0x1ff
	v_and_or_b32 v3, v11, s0, v10
	v_cmp_ne_u32_e32 vcc, 0, v3
	v_cndmask_b32_e64 v3, 0, 1, vcc
	v_lshrrev_b32_e32 v4, 8, v11
	s_movk_i32 s0, 0xffe
	v_bfe_u32 v5, v11, 20, 11
	v_and_or_b32 v3, v4, s0, v3
	v_sub_u32_e32 v6, 0x3f1, v5
	v_or_b32_e32 v4, 0x1000, v3
	v_med3_i32 v6, v6, 0, 13
	v_lshrrev_b32_e32 v7, v6, v4
	v_lshlrev_b32_e32 v6, v6, v7
	v_cmp_ne_u32_e32 vcc, v6, v4
	v_cndmask_b32_e64 v4, 0, 1, vcc
	v_add_u32_e32 v5, 0xfffffc10, v5
	v_or_b32_e32 v4, v7, v4
	v_lshl_or_b32 v6, v5, 12, v3
	v_cmp_gt_i32_e32 vcc, 1, v5
	v_cndmask_b32_e32 v4, v6, v4, vcc
	v_and_b32_e32 v6, 7, v4
	v_cmp_lt_i32_e32 vcc, 5, v6
	v_cndmask_b32_e64 v7, 0, 1, vcc
	v_cmp_eq_u32_e32 vcc, 3, v6
	v_cndmask_b32_e64 v6, 0, 1, vcc
	v_or_b32_e32 v6, v6, v7
	v_lshrrev_b32_e32 v4, 2, v4
	v_add_u32_e32 v4, v4, v6
	v_mov_b32_e32 v6, 0x7c00
	v_cmp_gt_i32_e32 vcc, 31, v5
	v_cndmask_b32_e32 v4, v6, v4, vcc
	v_mov_b32_e32 v7, 0x7e00
	v_cmp_ne_u32_e32 vcc, 0, v3
	s_movk_i32 s0, 0x40f
	v_cndmask_b32_e32 v3, v6, v7, vcc
	v_cmp_eq_u32_e32 vcc, s0, v5
	v_cndmask_b32_e32 v3, v4, v3, vcc
	v_lshrrev_b32_e32 v4, 16, v11
	s_mov_b32 s0, 0x8000
	v_and_or_b32 v3, v4, s0, v3
	v_and_b32_e32 v3, 0xffff, v3
	global_store_dword v[0:1], v3, off
.LBB39_1884:
	s_mov_b64 s[0:1], 0
.LBB39_1885:
	s_andn2_b64 vcc, exec, s[0:1]
	s_cbranch_vccnz .LBB39_1894
; %bb.1886:
	s_cmp_lt_i32 s2, 6
	s_mov_b64 s[0:1], -1
	s_cbranch_scc1 .LBB39_1892
; %bb.1887:
	s_cmp_gt_i32 s2, 6
	s_cbranch_scc0 .LBB39_1889
; %bb.1888:
	global_store_dwordx2 v[0:1], v[10:11], off
	s_mov_b64 s[0:1], 0
.LBB39_1889:
	s_andn2_b64 vcc, exec, s[0:1]
	s_cbranch_vccnz .LBB39_1891
; %bb.1890:
	v_cvt_f32_f64_e32 v3, v[10:11]
	global_store_dword v[0:1], v3, off
.LBB39_1891:
	s_mov_b64 s[0:1], 0
.LBB39_1892:
	s_andn2_b64 vcc, exec, s[0:1]
	s_cbranch_vccnz .LBB39_1894
; %bb.1893:
	s_movk_i32 s0, 0x1ff
	v_and_or_b32 v3, v11, s0, v10
	v_cmp_ne_u32_e32 vcc, 0, v3
	v_cndmask_b32_e64 v3, 0, 1, vcc
	v_lshrrev_b32_e32 v4, 8, v11
	s_movk_i32 s0, 0xffe
	v_bfe_u32 v5, v11, 20, 11
	v_and_or_b32 v3, v4, s0, v3
	v_sub_u32_e32 v6, 0x3f1, v5
	v_or_b32_e32 v4, 0x1000, v3
	v_med3_i32 v6, v6, 0, 13
	v_lshrrev_b32_e32 v7, v6, v4
	v_lshlrev_b32_e32 v6, v6, v7
	v_cmp_ne_u32_e32 vcc, v6, v4
	v_cndmask_b32_e64 v4, 0, 1, vcc
	v_add_u32_e32 v5, 0xfffffc10, v5
	v_or_b32_e32 v4, v7, v4
	v_lshl_or_b32 v6, v5, 12, v3
	v_cmp_gt_i32_e32 vcc, 1, v5
	v_cndmask_b32_e32 v4, v6, v4, vcc
	v_and_b32_e32 v6, 7, v4
	v_cmp_lt_i32_e32 vcc, 5, v6
	v_cndmask_b32_e64 v7, 0, 1, vcc
	v_cmp_eq_u32_e32 vcc, 3, v6
	v_cndmask_b32_e64 v6, 0, 1, vcc
	v_or_b32_e32 v6, v6, v7
	v_lshrrev_b32_e32 v4, 2, v4
	v_add_u32_e32 v4, v4, v6
	v_mov_b32_e32 v6, 0x7c00
	v_cmp_gt_i32_e32 vcc, 31, v5
	v_cndmask_b32_e32 v4, v6, v4, vcc
	v_mov_b32_e32 v7, 0x7e00
	v_cmp_ne_u32_e32 vcc, 0, v3
	s_movk_i32 s0, 0x40f
	v_cndmask_b32_e32 v3, v6, v7, vcc
	v_cmp_eq_u32_e32 vcc, s0, v5
	v_cndmask_b32_e32 v3, v4, v3, vcc
	v_lshrrev_b32_e32 v4, 16, v11
	s_mov_b32 s0, 0x8000
	v_and_or_b32 v3, v4, s0, v3
	global_store_short v[0:1], v3, off
.LBB39_1894:
	s_mov_b64 s[0:1], 0
.LBB39_1895:
	s_andn2_b64 vcc, exec, s[0:1]
	s_cbranch_vccnz .LBB39_1911
; %bb.1896:
	s_cmp_lt_i32 s2, 2
	s_mov_b64 s[0:1], -1
	s_cbranch_scc1 .LBB39_1906
; %bb.1897:
	s_cmp_lt_i32 s2, 3
	s_cbranch_scc1 .LBB39_1903
; %bb.1898:
	s_cmp_gt_i32 s2, 3
	s_cbranch_scc0 .LBB39_1900
; %bb.1899:
	v_trunc_f64_e32 v[3:4], v[10:11]
	s_movk_i32 s0, 0xffe0
	v_ldexp_f64 v[5:6], v[3:4], s0
	s_mov_b32 s0, 0
	s_mov_b32 s1, 0xc1f00000
	v_floor_f64_e32 v[5:6], v[5:6]
	v_fma_f64 v[3:4], v[5:6], s[0:1], v[3:4]
	v_cvt_i32_f64_e32 v5, v[5:6]
	s_mov_b64 s[0:1], 0
	v_cvt_u32_f64_e32 v4, v[3:4]
	global_store_dwordx2 v[0:1], v[4:5], off
.LBB39_1900:
	s_andn2_b64 vcc, exec, s[0:1]
	s_cbranch_vccnz .LBB39_1902
; %bb.1901:
	v_cvt_i32_f64_e32 v3, v[10:11]
	global_store_dword v[0:1], v3, off
.LBB39_1902:
	s_mov_b64 s[0:1], 0
.LBB39_1903:
	s_andn2_b64 vcc, exec, s[0:1]
	s_cbranch_vccnz .LBB39_1905
; %bb.1904:
	v_cvt_i32_f64_e32 v3, v[10:11]
	global_store_short v[0:1], v3, off
.LBB39_1905:
	s_mov_b64 s[0:1], 0
.LBB39_1906:
	s_andn2_b64 vcc, exec, s[0:1]
	s_cbranch_vccnz .LBB39_1911
; %bb.1907:
	s_cmp_gt_i32 s2, 0
	s_mov_b64 s[0:1], -1
	s_cbranch_scc0 .LBB39_1909
; %bb.1908:
	v_cvt_i32_f64_e32 v3, v[10:11]
	s_mov_b64 s[0:1], 0
	global_store_byte v[0:1], v3, off
.LBB39_1909:
	s_andn2_b64 vcc, exec, s[0:1]
	s_cbranch_vccnz .LBB39_1911
; %bb.1910:
	v_trunc_f64_e32 v[3:4], v[10:11]
	s_movk_i32 s0, 0xffe0
	v_ldexp_f64 v[5:6], v[3:4], s0
	s_mov_b32 s0, 0
	s_mov_b32 s1, 0xc1f00000
	v_floor_f64_e32 v[5:6], v[5:6]
	v_fma_f64 v[3:4], v[5:6], s[0:1], v[3:4]
	v_cvt_u32_f64_e32 v3, v[3:4]
	global_store_byte v[0:1], v3, off
.LBB39_1911:
	s_mov_b64 s[10:11], -1
.LBB39_1912:
	s_andn2_b64 vcc, exec, s[10:11]
	s_cbranch_vccnz .LBB39_1989
; %bb.1913:
	v_add_u32_e32 v0, s18, v2
	s_brev_b32 s0, -2
	v_ashrrev_i32_e32 v1, 31, v0
	v_mov_b32_e32 v2, s9
	v_add_co_u32_e32 v0, vcc, s8, v0
	v_bfi_b32 v9, s0, v9, v15
	s_cmp_lt_i32 s20, 11
	v_addc_co_u32_e32 v1, vcc, v2, v1, vcc
	s_cbranch_scc1 .LBB39_2034
; %bb.1914:
	s_and_b32 s16, 0xffff, s20
	s_mov_b64 s[8:9], -1
	s_mov_b64 s[2:3], 0
	s_cmp_gt_i32 s16, 25
	s_mov_b64 s[0:1], 0
	s_cbranch_scc0 .LBB39_1947
; %bb.1915:
	s_cmp_gt_i32 s16, 28
	s_cbranch_scc0 .LBB39_1931
; %bb.1916:
	s_cmp_gt_i32 s16, 43
	s_cbranch_scc0 .LBB39_1927
; %bb.1917:
	s_cmp_gt_i32 s16, 45
	s_cbranch_scc0 .LBB39_1921
; %bb.1918:
	s_cmp_eq_u32 s16, 46
	s_mov_b64 s[0:1], -1
	s_cbranch_scc0 .LBB39_1920
; %bb.1919:
	v_cvt_f32_f64_e32 v2, v[8:9]
	s_movk_i32 s0, 0x7fff
	v_mov_b32_e32 v3, 0x7fc0
	v_bfe_u32 v4, v2, 16, 1
	v_cmp_o_f32_e32 vcc, v2, v2
	v_add3_u32 v2, v2, v4, s0
	v_cndmask_b32_sdwa v2, v3, v2, vcc dst_sel:DWORD dst_unused:UNUSED_PAD src0_sel:DWORD src1_sel:WORD_1
	global_store_dword v[0:1], v2, off
	s_mov_b64 s[0:1], 0
.LBB39_1920:
	s_mov_b64 s[8:9], 0
.LBB39_1921:
	s_and_b64 vcc, exec, s[8:9]
	s_cbranch_vccz .LBB39_1926
; %bb.1922:
	s_cmp_eq_u32 s16, 44
	s_mov_b64 s[0:1], -1
	s_cbranch_scc0 .LBB39_1926
; %bb.1923:
	v_cvt_f32_f64_e32 v2, v[8:9]
	s_movk_i32 s0, 0xff
	v_mov_b32_e32 v4, 0xff
	v_bfe_u32 v3, v2, 23, 8
	v_cmp_ne_u32_e32 vcc, s0, v3
	s_and_saveexec_b64 s[8:9], vcc
; %bb.1924:
	s_mov_b32 s0, 0x3fffff
	v_lshrrev_b32_e32 v4, 23, v2
	v_and_b32_e32 v5, 0x400000, v2
	v_and_or_b32 v2, v2, s0, v3
	v_cmp_ne_u32_e32 vcc, 0, v5
	v_cmp_ne_u32_e64 s[0:1], 0, v2
	s_and_b64 s[0:1], vcc, s[0:1]
	v_cndmask_b32_e64 v2, 0, 1, s[0:1]
	v_add_u32_e32 v4, v4, v2
; %bb.1925:
	s_or_b64 exec, exec, s[8:9]
	s_mov_b64 s[0:1], 0
	global_store_byte v[0:1], v4, off
.LBB39_1926:
	s_mov_b64 s[8:9], 0
.LBB39_1927:
	s_and_b64 vcc, exec, s[8:9]
	s_cbranch_vccz .LBB39_1930
; %bb.1928:
	s_cmp_eq_u32 s16, 29
	s_mov_b64 s[0:1], -1
	s_cbranch_scc0 .LBB39_1930
; %bb.1929:
	v_trunc_f64_e32 v[2:3], v[8:9]
	s_movk_i32 s0, 0xffe0
	v_ldexp_f64 v[4:5], v[2:3], s0
	s_mov_b32 s0, 0
	s_mov_b32 s1, 0xc1f00000
	v_floor_f64_e32 v[4:5], v[4:5]
	v_fma_f64 v[2:3], v[4:5], s[0:1], v[2:3]
	v_cvt_u32_f64_e32 v4, v[4:5]
	s_mov_b64 s[0:1], 0
	v_cvt_u32_f64_e32 v3, v[2:3]
	global_store_dwordx2 v[0:1], v[3:4], off
.LBB39_1930:
	s_mov_b64 s[8:9], 0
.LBB39_1931:
	s_and_b64 vcc, exec, s[8:9]
	s_cbranch_vccz .LBB39_1946
; %bb.1932:
	s_cmp_lt_i32 s16, 27
	s_mov_b64 s[8:9], -1
	s_cbranch_scc1 .LBB39_1938
; %bb.1933:
	v_cvt_u32_f64_e32 v2, v[8:9]
	s_cmp_gt_i32 s16, 27
	s_cbranch_scc0 .LBB39_1935
; %bb.1934:
	global_store_dword v[0:1], v2, off
	s_mov_b64 s[8:9], 0
.LBB39_1935:
	s_andn2_b64 vcc, exec, s[8:9]
	s_cbranch_vccnz .LBB39_1937
; %bb.1936:
	global_store_short v[0:1], v2, off
.LBB39_1937:
	s_mov_b64 s[8:9], 0
.LBB39_1938:
	s_andn2_b64 vcc, exec, s[8:9]
	s_cbranch_vccnz .LBB39_1946
; %bb.1939:
	v_cvt_f32_f64_e32 v2, v[8:9]
	s_mov_b32 s8, 0x43800000
	v_mov_b32_e32 v4, 0x80
	v_and_b32_e32 v3, 0x7fffffff, v2
	v_cmp_gt_u32_e32 vcc, s8, v3
	s_and_saveexec_b64 s[8:9], vcc
	s_cbranch_execz .LBB39_1945
; %bb.1940:
	s_mov_b32 s10, 0x3bffffff
	v_cmp_lt_u32_e32 vcc, s10, v3
	s_mov_b64 s[10:11], 0
                                        ; implicit-def: $vgpr3
	s_and_saveexec_b64 s[12:13], vcc
	s_xor_b64 s[12:13], exec, s[12:13]
	s_cbranch_execz .LBB39_2051
; %bb.1941:
	v_bfe_u32 v3, v2, 20, 1
	s_mov_b32 s17, 0x487ffff
	v_add3_u32 v3, v2, v3, s17
	s_mov_b64 s[10:11], exec
	v_lshrrev_b32_e32 v3, 20, v3
	s_andn2_saveexec_b64 s[12:13], s[12:13]
	s_cbranch_execnz .LBB39_2052
.LBB39_1942:
	s_or_b64 exec, exec, s[12:13]
	v_mov_b32_e32 v4, 0
	s_and_saveexec_b64 s[12:13], s[10:11]
.LBB39_1943:
	v_lshrrev_b32_e32 v2, 24, v2
	s_movk_i32 s10, 0x80
	v_and_or_b32 v4, v2, s10, v3
.LBB39_1944:
	s_or_b64 exec, exec, s[12:13]
.LBB39_1945:
	s_or_b64 exec, exec, s[8:9]
	global_store_byte v[0:1], v4, off
.LBB39_1946:
	s_mov_b64 s[8:9], 0
.LBB39_1947:
	s_and_b64 vcc, exec, s[8:9]
	s_cbranch_vccz .LBB39_1987
; %bb.1948:
	s_cmp_gt_i32 s16, 22
	s_mov_b64 s[2:3], -1
	s_cbranch_scc0 .LBB39_1980
; %bb.1949:
	s_cmp_lt_i32 s16, 24
	s_cbranch_scc1 .LBB39_1969
; %bb.1950:
	s_cmp_gt_i32 s16, 24
	s_cbranch_scc0 .LBB39_1958
; %bb.1951:
	v_cvt_f32_f64_e32 v2, v[8:9]
	s_mov_b32 s2, 0x47800000
	v_mov_b32_e32 v4, 0x80
	v_and_b32_e32 v3, 0x7fffffff, v2
	v_cmp_gt_u32_e32 vcc, s2, v3
	s_and_saveexec_b64 s[2:3], vcc
	s_cbranch_execz .LBB39_1957
; %bb.1952:
	s_mov_b32 s8, 0x37ffffff
	v_cmp_lt_u32_e32 vcc, s8, v3
	s_mov_b64 s[8:9], 0
                                        ; implicit-def: $vgpr3
	s_and_saveexec_b64 s[10:11], vcc
	s_xor_b64 s[10:11], exec, s[10:11]
	s_cbranch_execz .LBB39_2054
; %bb.1953:
	v_bfe_u32 v3, v2, 21, 1
	s_mov_b32 s12, 0x88fffff
	v_add3_u32 v3, v2, v3, s12
	s_mov_b64 s[8:9], exec
	v_lshrrev_b32_e32 v3, 21, v3
	s_andn2_saveexec_b64 s[10:11], s[10:11]
	s_cbranch_execnz .LBB39_2055
.LBB39_1954:
	s_or_b64 exec, exec, s[10:11]
	v_mov_b32_e32 v4, 0
	s_and_saveexec_b64 s[10:11], s[8:9]
.LBB39_1955:
	v_lshrrev_b32_e32 v2, 24, v2
	s_movk_i32 s8, 0x80
	v_and_or_b32 v4, v2, s8, v3
.LBB39_1956:
	s_or_b64 exec, exec, s[10:11]
.LBB39_1957:
	s_or_b64 exec, exec, s[2:3]
	s_mov_b64 s[2:3], 0
	global_store_byte v[0:1], v4, off
.LBB39_1958:
	s_and_b64 vcc, exec, s[2:3]
	s_cbranch_vccz .LBB39_1968
; %bb.1959:
	v_cvt_f32_f64_e32 v2, v[8:9]
	s_mov_b32 s2, 0x43f00000
                                        ; implicit-def: $vgpr3
	v_and_b32_e32 v4, 0x7fffffff, v2
	v_cmp_gt_u32_e32 vcc, s2, v4
	s_and_saveexec_b64 s[2:3], vcc
	s_xor_b64 s[2:3], exec, s[2:3]
	s_cbranch_execz .LBB39_1965
; %bb.1960:
	s_mov_b32 s8, 0x3c7fffff
	v_cmp_lt_u32_e32 vcc, s8, v4
                                        ; implicit-def: $vgpr3
	s_and_saveexec_b64 s[8:9], vcc
	s_xor_b64 s[8:9], exec, s[8:9]
; %bb.1961:
	v_bfe_u32 v3, v2, 20, 1
	s_mov_b32 s10, 0x407ffff
	v_add3_u32 v3, v2, v3, s10
	v_lshrrev_b32_e32 v4, 20, v3
	v_and_b32_e32 v3, 0xff00000, v3
	s_mov_b32 s10, 0x7f00000
	v_mov_b32_e32 v5, 0x7e
	v_cmp_ne_u32_e32 vcc, s10, v3
	v_cndmask_b32_e32 v3, v5, v4, vcc
; %bb.1962:
	s_andn2_saveexec_b64 s[8:9], s[8:9]
; %bb.1963:
	s_mov_b32 s10, 0x46800000
	v_add_f32_e64 v3, |v2|, s10
; %bb.1964:
	s_or_b64 exec, exec, s[8:9]
                                        ; implicit-def: $vgpr4
.LBB39_1965:
	s_andn2_saveexec_b64 s[2:3], s[2:3]
; %bb.1966:
	s_mov_b32 s8, 0x7f800000
	v_mov_b32_e32 v3, 0x7e
	v_mov_b32_e32 v5, 0x7f
	v_cmp_lt_u32_e32 vcc, s8, v4
	v_cndmask_b32_e32 v3, v3, v5, vcc
; %bb.1967:
	s_or_b64 exec, exec, s[2:3]
	v_lshrrev_b32_e32 v2, 24, v2
	s_movk_i32 s2, 0x80
	v_and_or_b32 v2, v2, s2, v3
	global_store_byte v[0:1], v2, off
.LBB39_1968:
	s_mov_b64 s[2:3], 0
.LBB39_1969:
	s_andn2_b64 vcc, exec, s[2:3]
	s_cbranch_vccnz .LBB39_1979
; %bb.1970:
	v_cvt_f32_f64_e32 v2, v[8:9]
	s_mov_b32 s2, 0x47800000
                                        ; implicit-def: $vgpr3
	v_and_b32_e32 v4, 0x7fffffff, v2
	v_cmp_gt_u32_e32 vcc, s2, v4
	s_and_saveexec_b64 s[2:3], vcc
	s_xor_b64 s[2:3], exec, s[2:3]
	s_cbranch_execz .LBB39_1976
; %bb.1971:
	s_mov_b32 s8, 0x387fffff
	v_cmp_lt_u32_e32 vcc, s8, v4
                                        ; implicit-def: $vgpr3
	s_and_saveexec_b64 s[8:9], vcc
	s_xor_b64 s[8:9], exec, s[8:9]
; %bb.1972:
	v_bfe_u32 v3, v2, 21, 1
	s_mov_b32 s10, 0x80fffff
	v_add3_u32 v3, v2, v3, s10
	v_lshrrev_b32_e32 v3, 21, v3
; %bb.1973:
	s_andn2_saveexec_b64 s[8:9], s[8:9]
; %bb.1974:
	s_mov_b32 s10, 0x43000000
	v_add_f32_e64 v3, |v2|, s10
; %bb.1975:
	s_or_b64 exec, exec, s[8:9]
                                        ; implicit-def: $vgpr4
.LBB39_1976:
	s_andn2_saveexec_b64 s[2:3], s[2:3]
; %bb.1977:
	s_mov_b32 s8, 0x7f800000
	v_mov_b32_e32 v3, 0x7c
	v_mov_b32_e32 v5, 0x7f
	v_cmp_lt_u32_e32 vcc, s8, v4
	v_cndmask_b32_e32 v3, v3, v5, vcc
; %bb.1978:
	s_or_b64 exec, exec, s[2:3]
	v_lshrrev_b32_e32 v2, 24, v2
	s_movk_i32 s2, 0x80
	v_and_or_b32 v2, v2, s2, v3
	global_store_byte v[0:1], v2, off
.LBB39_1979:
	s_mov_b64 s[2:3], 0
.LBB39_1980:
	s_andn2_b64 vcc, exec, s[2:3]
	s_mov_b64 s[2:3], 0
	s_cbranch_vccnz .LBB39_1987
; %bb.1981:
	s_cmp_gt_i32 s16, 14
	s_mov_b64 s[8:9], -1
	s_cbranch_scc0 .LBB39_1985
; %bb.1982:
	s_cmp_eq_u32 s16, 15
	s_mov_b64 s[0:1], -1
	s_cbranch_scc0 .LBB39_1984
; %bb.1983:
	v_cvt_f32_f64_e32 v2, v[8:9]
	s_movk_i32 s0, 0x7fff
	v_mov_b32_e32 v3, 0x7fc0
	v_bfe_u32 v4, v2, 16, 1
	v_cmp_o_f32_e32 vcc, v2, v2
	v_add3_u32 v2, v2, v4, s0
	v_cndmask_b32_sdwa v2, v3, v2, vcc dst_sel:DWORD dst_unused:UNUSED_PAD src0_sel:DWORD src1_sel:WORD_1
	global_store_short v[0:1], v2, off
	s_mov_b64 s[0:1], 0
.LBB39_1984:
	s_mov_b64 s[8:9], 0
.LBB39_1985:
	s_and_b64 vcc, exec, s[8:9]
	s_cbranch_vccz .LBB39_1987
; %bb.1986:
	s_cmp_lg_u32 s16, 11
	s_mov_b64 s[2:3], -1
	s_cselect_b64 s[0:1], -1, 0
.LBB39_1987:
	s_and_b64 vcc, exec, s[0:1]
	s_cbranch_vccnz .LBB39_2053
.LBB39_1988:
	s_mov_b64 s[0:1], 0
	s_branch .LBB39_1990
.LBB39_1989:
	s_mov_b64 s[0:1], 0
	s_mov_b64 s[2:3], 0
                                        ; implicit-def: $sgpr20
                                        ; implicit-def: $vgpr0_vgpr1
                                        ; implicit-def: $vgpr8_vgpr9
.LBB39_1990:
	s_and_b64 s[12:13], s[2:3], exec
	s_andn2_b64 s[2:3], s[6:7], exec
	s_and_b64 s[6:7], s[14:15], exec
	s_and_b64 s[0:1], s[0:1], exec
	s_or_b64 s[6:7], s[2:3], s[6:7]
.LBB39_1991:
	s_or_b64 exec, exec, s[4:5]
	s_and_saveexec_b64 s[2:3], s[6:7]
	s_cbranch_execz .LBB39_1994
; %bb.1992:
	; divergent unreachable
	s_or_b64 exec, exec, s[2:3]
	s_and_saveexec_b64 s[2:3], s[12:13]
	s_xor_b64 s[2:3], exec, s[2:3]
	s_cbranch_execnz .LBB39_1995
.LBB39_1993:
	s_or_b64 exec, exec, s[2:3]
	s_and_saveexec_b64 s[2:3], s[0:1]
	s_cbranch_execnz .LBB39_1996
	s_branch .LBB39_2033
.LBB39_1994:
	s_or_b64 exec, exec, s[2:3]
	s_and_saveexec_b64 s[2:3], s[12:13]
	s_xor_b64 s[2:3], exec, s[2:3]
	s_cbranch_execz .LBB39_1993
.LBB39_1995:
	v_cmp_neq_f64_e32 vcc, 0, v[8:9]
	s_waitcnt vmcnt(0)
	v_cndmask_b32_e64 v2, 0, 1, vcc
	global_store_byte v[0:1], v2, off
	s_or_b64 exec, exec, s[2:3]
	s_and_saveexec_b64 s[2:3], s[0:1]
	s_cbranch_execz .LBB39_2033
.LBB39_1996:
	s_sext_i32_i16 s2, s20
	s_cmp_lt_i32 s2, 5
	s_mov_b64 s[0:1], -1
	s_cbranch_scc1 .LBB39_2017
; %bb.1997:
	s_cmp_lt_i32 s2, 8
	s_cbranch_scc1 .LBB39_2007
; %bb.1998:
	s_cmp_lt_i32 s2, 9
	s_cbranch_scc1 .LBB39_2004
; %bb.1999:
	s_cmp_gt_i32 s2, 9
	s_cbranch_scc0 .LBB39_2001
; %bb.2000:
	v_mov_b32_e32 v10, 0
	v_mov_b32_e32 v11, v10
	global_store_dwordx4 v[0:1], v[8:11], off
	s_mov_b64 s[0:1], 0
.LBB39_2001:
	s_andn2_b64 vcc, exec, s[0:1]
	s_cbranch_vccnz .LBB39_2003
; %bb.2002:
	s_waitcnt vmcnt(0)
	v_cvt_f32_f64_e32 v2, v[8:9]
	v_mov_b32_e32 v3, 0
	global_store_dwordx2 v[0:1], v[2:3], off
.LBB39_2003:
	s_mov_b64 s[0:1], 0
.LBB39_2004:
	s_andn2_b64 vcc, exec, s[0:1]
	s_cbranch_vccnz .LBB39_2006
; %bb.2005:
	s_movk_i32 s0, 0x1ff
	s_waitcnt vmcnt(0)
	v_and_or_b32 v2, v9, s0, v8
	v_cmp_ne_u32_e32 vcc, 0, v2
	v_cndmask_b32_e64 v2, 0, 1, vcc
	v_lshrrev_b32_e32 v3, 8, v9
	s_movk_i32 s0, 0xffe
	v_bfe_u32 v4, v9, 20, 11
	v_and_or_b32 v2, v3, s0, v2
	v_sub_u32_e32 v5, 0x3f1, v4
	v_or_b32_e32 v3, 0x1000, v2
	v_med3_i32 v5, v5, 0, 13
	v_lshrrev_b32_e32 v6, v5, v3
	v_lshlrev_b32_e32 v5, v5, v6
	v_cmp_ne_u32_e32 vcc, v5, v3
	v_cndmask_b32_e64 v3, 0, 1, vcc
	v_add_u32_e32 v4, 0xfffffc10, v4
	v_or_b32_e32 v3, v6, v3
	v_lshl_or_b32 v5, v4, 12, v2
	v_cmp_gt_i32_e32 vcc, 1, v4
	v_cndmask_b32_e32 v3, v5, v3, vcc
	v_and_b32_e32 v5, 7, v3
	v_cmp_lt_i32_e32 vcc, 5, v5
	v_cndmask_b32_e64 v6, 0, 1, vcc
	v_cmp_eq_u32_e32 vcc, 3, v5
	v_cndmask_b32_e64 v5, 0, 1, vcc
	v_or_b32_e32 v5, v5, v6
	v_lshrrev_b32_e32 v3, 2, v3
	v_add_u32_e32 v3, v3, v5
	v_mov_b32_e32 v5, 0x7c00
	v_cmp_gt_i32_e32 vcc, 31, v4
	v_cndmask_b32_e32 v3, v5, v3, vcc
	v_mov_b32_e32 v6, 0x7e00
	v_cmp_ne_u32_e32 vcc, 0, v2
	s_movk_i32 s0, 0x40f
	v_cndmask_b32_e32 v2, v5, v6, vcc
	v_cmp_eq_u32_e32 vcc, s0, v4
	v_cndmask_b32_e32 v2, v3, v2, vcc
	v_lshrrev_b32_e32 v3, 16, v9
	s_mov_b32 s0, 0x8000
	v_and_or_b32 v2, v3, s0, v2
	v_and_b32_e32 v2, 0xffff, v2
	global_store_dword v[0:1], v2, off
.LBB39_2006:
	s_mov_b64 s[0:1], 0
.LBB39_2007:
	s_andn2_b64 vcc, exec, s[0:1]
	s_cbranch_vccnz .LBB39_2016
; %bb.2008:
	s_sext_i32_i16 s2, s20
	s_cmp_lt_i32 s2, 6
	s_mov_b64 s[0:1], -1
	s_cbranch_scc1 .LBB39_2014
; %bb.2009:
	s_cmp_gt_i32 s2, 6
	s_cbranch_scc0 .LBB39_2011
; %bb.2010:
	global_store_dwordx2 v[0:1], v[8:9], off
	s_mov_b64 s[0:1], 0
.LBB39_2011:
	s_andn2_b64 vcc, exec, s[0:1]
	s_cbranch_vccnz .LBB39_2013
; %bb.2012:
	s_waitcnt vmcnt(0)
	v_cvt_f32_f64_e32 v2, v[8:9]
	global_store_dword v[0:1], v2, off
.LBB39_2013:
	s_mov_b64 s[0:1], 0
.LBB39_2014:
	s_andn2_b64 vcc, exec, s[0:1]
	s_cbranch_vccnz .LBB39_2016
; %bb.2015:
	s_movk_i32 s0, 0x1ff
	s_waitcnt vmcnt(0)
	v_and_or_b32 v2, v9, s0, v8
	v_cmp_ne_u32_e32 vcc, 0, v2
	v_cndmask_b32_e64 v2, 0, 1, vcc
	v_lshrrev_b32_e32 v3, 8, v9
	s_movk_i32 s0, 0xffe
	v_bfe_u32 v4, v9, 20, 11
	v_and_or_b32 v2, v3, s0, v2
	v_sub_u32_e32 v5, 0x3f1, v4
	v_or_b32_e32 v3, 0x1000, v2
	v_med3_i32 v5, v5, 0, 13
	v_lshrrev_b32_e32 v6, v5, v3
	v_lshlrev_b32_e32 v5, v5, v6
	v_cmp_ne_u32_e32 vcc, v5, v3
	v_cndmask_b32_e64 v3, 0, 1, vcc
	v_add_u32_e32 v4, 0xfffffc10, v4
	v_or_b32_e32 v3, v6, v3
	v_lshl_or_b32 v5, v4, 12, v2
	v_cmp_gt_i32_e32 vcc, 1, v4
	v_cndmask_b32_e32 v3, v5, v3, vcc
	v_and_b32_e32 v5, 7, v3
	v_cmp_lt_i32_e32 vcc, 5, v5
	v_cndmask_b32_e64 v6, 0, 1, vcc
	v_cmp_eq_u32_e32 vcc, 3, v5
	v_cndmask_b32_e64 v5, 0, 1, vcc
	v_or_b32_e32 v5, v5, v6
	v_lshrrev_b32_e32 v3, 2, v3
	v_add_u32_e32 v3, v3, v5
	v_mov_b32_e32 v5, 0x7c00
	v_cmp_gt_i32_e32 vcc, 31, v4
	v_cndmask_b32_e32 v3, v5, v3, vcc
	v_mov_b32_e32 v6, 0x7e00
	v_cmp_ne_u32_e32 vcc, 0, v2
	s_movk_i32 s0, 0x40f
	v_cndmask_b32_e32 v2, v5, v6, vcc
	v_cmp_eq_u32_e32 vcc, s0, v4
	v_cndmask_b32_e32 v2, v3, v2, vcc
	v_lshrrev_b32_e32 v3, 16, v9
	s_mov_b32 s0, 0x8000
	v_and_or_b32 v2, v3, s0, v2
	global_store_short v[0:1], v2, off
.LBB39_2016:
	s_mov_b64 s[0:1], 0
.LBB39_2017:
	s_andn2_b64 vcc, exec, s[0:1]
	s_cbranch_vccnz .LBB39_2033
; %bb.2018:
	s_sext_i32_i16 s2, s20
	s_cmp_lt_i32 s2, 2
	s_mov_b64 s[0:1], -1
	s_cbranch_scc1 .LBB39_2028
; %bb.2019:
	s_cmp_lt_i32 s2, 3
	s_cbranch_scc1 .LBB39_2025
; %bb.2020:
	s_cmp_gt_i32 s2, 3
	s_cbranch_scc0 .LBB39_2022
; %bb.2021:
	s_waitcnt vmcnt(0)
	v_trunc_f64_e32 v[2:3], v[8:9]
	s_movk_i32 s0, 0xffe0
	v_ldexp_f64 v[4:5], v[2:3], s0
	s_mov_b32 s0, 0
	s_mov_b32 s1, 0xc1f00000
	v_floor_f64_e32 v[4:5], v[4:5]
	v_fma_f64 v[2:3], v[4:5], s[0:1], v[2:3]
	v_cvt_i32_f64_e32 v4, v[4:5]
	s_mov_b64 s[0:1], 0
	v_cvt_u32_f64_e32 v3, v[2:3]
	global_store_dwordx2 v[0:1], v[3:4], off
.LBB39_2022:
	s_andn2_b64 vcc, exec, s[0:1]
	s_cbranch_vccnz .LBB39_2024
; %bb.2023:
	s_waitcnt vmcnt(0)
	v_cvt_i32_f64_e32 v2, v[8:9]
	global_store_dword v[0:1], v2, off
.LBB39_2024:
	s_mov_b64 s[0:1], 0
.LBB39_2025:
	s_andn2_b64 vcc, exec, s[0:1]
	s_cbranch_vccnz .LBB39_2027
; %bb.2026:
	s_waitcnt vmcnt(0)
	v_cvt_i32_f64_e32 v2, v[8:9]
	global_store_short v[0:1], v2, off
.LBB39_2027:
	s_mov_b64 s[0:1], 0
.LBB39_2028:
	s_andn2_b64 vcc, exec, s[0:1]
	s_cbranch_vccnz .LBB39_2033
; %bb.2029:
	s_sext_i32_i16 s0, s20
	s_cmp_gt_i32 s0, 0
	s_mov_b64 s[0:1], -1
	s_cbranch_scc0 .LBB39_2031
; %bb.2030:
	s_waitcnt vmcnt(0)
	v_cvt_i32_f64_e32 v2, v[8:9]
	s_mov_b64 s[0:1], 0
	global_store_byte v[0:1], v2, off
.LBB39_2031:
	s_andn2_b64 vcc, exec, s[0:1]
	s_cbranch_vccnz .LBB39_2033
; %bb.2032:
	s_waitcnt vmcnt(0)
	v_trunc_f64_e32 v[2:3], v[8:9]
	s_movk_i32 s0, 0xffe0
	v_ldexp_f64 v[4:5], v[2:3], s0
	s_mov_b32 s0, 0
	s_mov_b32 s1, 0xc1f00000
	v_floor_f64_e32 v[4:5], v[4:5]
	v_fma_f64 v[2:3], v[4:5], s[0:1], v[2:3]
	v_cvt_u32_f64_e32 v2, v[2:3]
	global_store_byte v[0:1], v2, off
	s_endpgm
.LBB39_2033:
	s_endpgm
.LBB39_2034:
	s_mov_b64 s[2:3], 0
	s_mov_b64 s[0:1], -1
	s_branch .LBB39_1990
.LBB39_2035:
	s_trap 2
	s_or_b64 s[14:15], s[14:15], exec
	s_cbranch_execz .LBB39_1502
	s_branch .LBB39_1503
.LBB39_2036:
	s_andn2_saveexec_b64 s[18:19], s[18:19]
	s_cbranch_execz .LBB39_1584
.LBB39_2037:
	s_mov_b32 s21, 0x46000000
	v_add_f32_e64 v3, |v2|, s21
	v_and_b32_e32 v3, 0xff, v3
	v_cmp_ne_u32_e32 vcc, 0, v3
	s_andn2_b64 s[16:17], s[16:17], exec
	s_and_b64 s[22:23], vcc, exec
	s_or_b64 s[16:17], s[16:17], s[22:23]
	s_or_b64 exec, exec, s[18:19]
	v_mov_b32_e32 v12, 0
	s_and_saveexec_b64 s[18:19], s[16:17]
	s_cbranch_execnz .LBB39_1585
	s_branch .LBB39_1586
.LBB39_2038:
	s_trap 2
	s_or_b64 s[14:15], s[14:15], exec
	s_cbranch_execz .LBB39_1632
	s_branch .LBB39_1633
.LBB39_2039:
	s_andn2_saveexec_b64 s[16:17], s[16:17]
	s_cbranch_execz .LBB39_1597
.LBB39_2040:
	s_mov_b32 s18, 0x42800000
	v_add_f32_e64 v3, |v2|, s18
	v_and_b32_e32 v3, 0xff, v3
	v_cmp_ne_u32_e32 vcc, 0, v3
	s_andn2_b64 s[12:13], s[12:13], exec
	s_and_b64 s[18:19], vcc, exec
	s_or_b64 s[12:13], s[12:13], s[18:19]
	s_or_b64 exec, exec, s[16:17]
	v_mov_b32_e32 v12, 0
	s_and_saveexec_b64 s[16:17], s[12:13]
	s_cbranch_execnz .LBB39_1598
	s_branch .LBB39_1599
.LBB39_2041:
	s_andn2_saveexec_b64 s[16:17], s[16:17]
	s_cbranch_execz .LBB39_1703
.LBB39_2042:
	s_mov_b32 s21, 0x46000000
	v_add_f32_e64 v6, |v3|, s21
	v_and_b32_e32 v6, 0xff, v6
	v_cmp_ne_u32_e32 vcc, 0, v6
	s_andn2_b64 s[12:13], s[12:13], exec
	s_and_b64 s[22:23], vcc, exec
	s_or_b64 s[12:13], s[12:13], s[22:23]
	s_or_b64 exec, exec, s[16:17]
	v_mov_b32_e32 v7, 0
	s_and_saveexec_b64 s[16:17], s[12:13]
	s_cbranch_execnz .LBB39_1704
	s_branch .LBB39_1705
.LBB39_2043:
	s_trap 2
	s_or_b64 s[14:15], s[14:15], exec
	s_cbranch_execz .LBB39_1751
	s_branch .LBB39_1752
.LBB39_2044:
	s_andn2_saveexec_b64 s[12:13], s[12:13]
	s_cbranch_execz .LBB39_1716
.LBB39_2045:
	s_mov_b32 s16, 0x42800000
	v_add_f32_e64 v6, |v3|, s16
	v_and_b32_e32 v6, 0xff, v6
	v_cmp_ne_u32_e32 vcc, 0, v6
	s_andn2_b64 s[10:11], s[10:11], exec
	s_and_b64 s[16:17], vcc, exec
	s_or_b64 s[10:11], s[10:11], s[16:17]
	s_or_b64 exec, exec, s[12:13]
	v_mov_b32_e32 v7, 0
	s_and_saveexec_b64 s[12:13], s[10:11]
	s_cbranch_execnz .LBB39_1717
	s_branch .LBB39_1718
.LBB39_2046:
	s_andn2_saveexec_b64 s[16:17], s[16:17]
	s_cbranch_execz .LBB39_1822
.LBB39_2047:
	s_mov_b32 s21, 0x46000000
	v_add_f32_e64 v4, |v3|, s21
	v_and_b32_e32 v4, 0xff, v4
	v_cmp_ne_u32_e32 vcc, 0, v4
	s_andn2_b64 s[12:13], s[12:13], exec
	s_and_b64 s[22:23], vcc, exec
	s_or_b64 s[12:13], s[12:13], s[22:23]
	s_or_b64 exec, exec, s[16:17]
	v_mov_b32_e32 v5, 0
	s_and_saveexec_b64 s[16:17], s[12:13]
	s_cbranch_execnz .LBB39_1823
	s_branch .LBB39_1824
.LBB39_2048:
	s_trap 2
	s_or_b64 s[14:15], s[14:15], exec
	s_cbranch_execz .LBB39_1870
	s_branch .LBB39_1871
.LBB39_2049:
	s_andn2_saveexec_b64 s[12:13], s[12:13]
	s_cbranch_execz .LBB39_1835
.LBB39_2050:
	s_mov_b32 s16, 0x42800000
	v_add_f32_e64 v4, |v3|, s16
	v_and_b32_e32 v4, 0xff, v4
	v_cmp_ne_u32_e32 vcc, 0, v4
	s_andn2_b64 s[10:11], s[10:11], exec
	s_and_b64 s[16:17], vcc, exec
	s_or_b64 s[10:11], s[10:11], s[16:17]
	s_or_b64 exec, exec, s[12:13]
	v_mov_b32_e32 v5, 0
	s_and_saveexec_b64 s[12:13], s[10:11]
	s_cbranch_execnz .LBB39_1836
	s_branch .LBB39_1837
.LBB39_2051:
	s_andn2_saveexec_b64 s[12:13], s[12:13]
	s_cbranch_execz .LBB39_1942
.LBB39_2052:
	s_mov_b32 s17, 0x46000000
	v_add_f32_e64 v3, |v2|, s17
	v_and_b32_e32 v3, 0xff, v3
	v_cmp_ne_u32_e32 vcc, 0, v3
	s_andn2_b64 s[10:11], s[10:11], exec
	s_and_b64 s[18:19], vcc, exec
	s_or_b64 s[10:11], s[10:11], s[18:19]
	s_or_b64 exec, exec, s[12:13]
	v_mov_b32_e32 v4, 0
	s_and_saveexec_b64 s[12:13], s[10:11]
	s_cbranch_execnz .LBB39_1943
	s_branch .LBB39_1944
.LBB39_2053:
	s_mov_b64 s[2:3], 0
	s_or_b64 s[14:15], s[14:15], exec
	s_trap 2
	s_branch .LBB39_1988
.LBB39_2054:
	s_andn2_saveexec_b64 s[10:11], s[10:11]
	s_cbranch_execz .LBB39_1954
.LBB39_2055:
	s_mov_b32 s12, 0x42800000
	v_add_f32_e64 v3, |v2|, s12
	v_and_b32_e32 v3, 0xff, v3
	v_cmp_ne_u32_e32 vcc, 0, v3
	s_andn2_b64 s[8:9], s[8:9], exec
	s_and_b64 s[12:13], vcc, exec
	s_or_b64 s[8:9], s[8:9], s[12:13]
	s_or_b64 exec, exec, s[10:11]
	v_mov_b32_e32 v4, 0
	s_and_saveexec_b64 s[10:11], s[8:9]
	s_cbranch_execnz .LBB39_1955
	s_branch .LBB39_1956
	.section	.rodata,"a",@progbits
	.p2align	6, 0x0
	.amdhsa_kernel _ZN2at6native32elementwise_kernel_manual_unrollILi128ELi4EZNS0_15gpu_kernel_implIZZZNS0_16asin_kernel_cudaERNS_18TensorIteratorBaseEENKUlvE0_clEvENKUlvE_clEvEUldE_EEvS4_RKT_EUlibE_EEviT1_
		.amdhsa_group_segment_fixed_size 0
		.amdhsa_private_segment_fixed_size 0
		.amdhsa_kernarg_size 40
		.amdhsa_user_sgpr_count 6
		.amdhsa_user_sgpr_private_segment_buffer 1
		.amdhsa_user_sgpr_dispatch_ptr 0
		.amdhsa_user_sgpr_queue_ptr 0
		.amdhsa_user_sgpr_kernarg_segment_ptr 1
		.amdhsa_user_sgpr_dispatch_id 0
		.amdhsa_user_sgpr_flat_scratch_init 0
		.amdhsa_user_sgpr_private_segment_size 0
		.amdhsa_uses_dynamic_stack 0
		.amdhsa_system_sgpr_private_segment_wavefront_offset 0
		.amdhsa_system_sgpr_workgroup_id_x 1
		.amdhsa_system_sgpr_workgroup_id_y 0
		.amdhsa_system_sgpr_workgroup_id_z 0
		.amdhsa_system_sgpr_workgroup_info 0
		.amdhsa_system_vgpr_workitem_id 0
		.amdhsa_next_free_vgpr 33
		.amdhsa_next_free_sgpr 44
		.amdhsa_reserve_vcc 1
		.amdhsa_reserve_flat_scratch 0
		.amdhsa_float_round_mode_32 0
		.amdhsa_float_round_mode_16_64 0
		.amdhsa_float_denorm_mode_32 3
		.amdhsa_float_denorm_mode_16_64 3
		.amdhsa_dx10_clamp 1
		.amdhsa_ieee_mode 1
		.amdhsa_fp16_overflow 0
		.amdhsa_exception_fp_ieee_invalid_op 0
		.amdhsa_exception_fp_denorm_src 0
		.amdhsa_exception_fp_ieee_div_zero 0
		.amdhsa_exception_fp_ieee_overflow 0
		.amdhsa_exception_fp_ieee_underflow 0
		.amdhsa_exception_fp_ieee_inexact 0
		.amdhsa_exception_int_div_zero 0
	.end_amdhsa_kernel
	.section	.text._ZN2at6native32elementwise_kernel_manual_unrollILi128ELi4EZNS0_15gpu_kernel_implIZZZNS0_16asin_kernel_cudaERNS_18TensorIteratorBaseEENKUlvE0_clEvENKUlvE_clEvEUldE_EEvS4_RKT_EUlibE_EEviT1_,"axG",@progbits,_ZN2at6native32elementwise_kernel_manual_unrollILi128ELi4EZNS0_15gpu_kernel_implIZZZNS0_16asin_kernel_cudaERNS_18TensorIteratorBaseEENKUlvE0_clEvENKUlvE_clEvEUldE_EEvS4_RKT_EUlibE_EEviT1_,comdat
.Lfunc_end39:
	.size	_ZN2at6native32elementwise_kernel_manual_unrollILi128ELi4EZNS0_15gpu_kernel_implIZZZNS0_16asin_kernel_cudaERNS_18TensorIteratorBaseEENKUlvE0_clEvENKUlvE_clEvEUldE_EEvS4_RKT_EUlibE_EEviT1_, .Lfunc_end39-_ZN2at6native32elementwise_kernel_manual_unrollILi128ELi4EZNS0_15gpu_kernel_implIZZZNS0_16asin_kernel_cudaERNS_18TensorIteratorBaseEENKUlvE0_clEvENKUlvE_clEvEUldE_EEvS4_RKT_EUlibE_EEviT1_
                                        ; -- End function
	.set _ZN2at6native32elementwise_kernel_manual_unrollILi128ELi4EZNS0_15gpu_kernel_implIZZZNS0_16asin_kernel_cudaERNS_18TensorIteratorBaseEENKUlvE0_clEvENKUlvE_clEvEUldE_EEvS4_RKT_EUlibE_EEviT1_.num_vgpr, 33
	.set _ZN2at6native32elementwise_kernel_manual_unrollILi128ELi4EZNS0_15gpu_kernel_implIZZZNS0_16asin_kernel_cudaERNS_18TensorIteratorBaseEENKUlvE0_clEvENKUlvE_clEvEUldE_EEvS4_RKT_EUlibE_EEviT1_.num_agpr, 0
	.set _ZN2at6native32elementwise_kernel_manual_unrollILi128ELi4EZNS0_15gpu_kernel_implIZZZNS0_16asin_kernel_cudaERNS_18TensorIteratorBaseEENKUlvE0_clEvENKUlvE_clEvEUldE_EEvS4_RKT_EUlibE_EEviT1_.numbered_sgpr, 44
	.set _ZN2at6native32elementwise_kernel_manual_unrollILi128ELi4EZNS0_15gpu_kernel_implIZZZNS0_16asin_kernel_cudaERNS_18TensorIteratorBaseEENKUlvE0_clEvENKUlvE_clEvEUldE_EEvS4_RKT_EUlibE_EEviT1_.num_named_barrier, 0
	.set _ZN2at6native32elementwise_kernel_manual_unrollILi128ELi4EZNS0_15gpu_kernel_implIZZZNS0_16asin_kernel_cudaERNS_18TensorIteratorBaseEENKUlvE0_clEvENKUlvE_clEvEUldE_EEvS4_RKT_EUlibE_EEviT1_.private_seg_size, 0
	.set _ZN2at6native32elementwise_kernel_manual_unrollILi128ELi4EZNS0_15gpu_kernel_implIZZZNS0_16asin_kernel_cudaERNS_18TensorIteratorBaseEENKUlvE0_clEvENKUlvE_clEvEUldE_EEvS4_RKT_EUlibE_EEviT1_.uses_vcc, 1
	.set _ZN2at6native32elementwise_kernel_manual_unrollILi128ELi4EZNS0_15gpu_kernel_implIZZZNS0_16asin_kernel_cudaERNS_18TensorIteratorBaseEENKUlvE0_clEvENKUlvE_clEvEUldE_EEvS4_RKT_EUlibE_EEviT1_.uses_flat_scratch, 0
	.set _ZN2at6native32elementwise_kernel_manual_unrollILi128ELi4EZNS0_15gpu_kernel_implIZZZNS0_16asin_kernel_cudaERNS_18TensorIteratorBaseEENKUlvE0_clEvENKUlvE_clEvEUldE_EEvS4_RKT_EUlibE_EEviT1_.has_dyn_sized_stack, 0
	.set _ZN2at6native32elementwise_kernel_manual_unrollILi128ELi4EZNS0_15gpu_kernel_implIZZZNS0_16asin_kernel_cudaERNS_18TensorIteratorBaseEENKUlvE0_clEvENKUlvE_clEvEUldE_EEvS4_RKT_EUlibE_EEviT1_.has_recursion, 0
	.set _ZN2at6native32elementwise_kernel_manual_unrollILi128ELi4EZNS0_15gpu_kernel_implIZZZNS0_16asin_kernel_cudaERNS_18TensorIteratorBaseEENKUlvE0_clEvENKUlvE_clEvEUldE_EEvS4_RKT_EUlibE_EEviT1_.has_indirect_call, 0
	.section	.AMDGPU.csdata,"",@progbits
; Kernel info:
; codeLenInByte = 41956
; TotalNumSgprs: 48
; NumVgprs: 33
; ScratchSize: 0
; MemoryBound: 1
; FloatMode: 240
; IeeeMode: 1
; LDSByteSize: 0 bytes/workgroup (compile time only)
; SGPRBlocks: 5
; VGPRBlocks: 8
; NumSGPRsForWavesPerEU: 48
; NumVGPRsForWavesPerEU: 33
; Occupancy: 7
; WaveLimiterHint : 0
; COMPUTE_PGM_RSRC2:SCRATCH_EN: 0
; COMPUTE_PGM_RSRC2:USER_SGPR: 6
; COMPUTE_PGM_RSRC2:TRAP_HANDLER: 0
; COMPUTE_PGM_RSRC2:TGID_X_EN: 1
; COMPUTE_PGM_RSRC2:TGID_Y_EN: 0
; COMPUTE_PGM_RSRC2:TGID_Z_EN: 0
; COMPUTE_PGM_RSRC2:TIDIG_COMP_CNT: 0
	.section	.text._ZN2at6native32elementwise_kernel_manual_unrollILi128ELi4EZNS0_15gpu_kernel_implIZZZNS0_16asin_kernel_cudaERNS_18TensorIteratorBaseEENKUlvE0_clEvENKUlvE_clEvEUldE_EEvS4_RKT_EUlibE0_EEviT1_,"axG",@progbits,_ZN2at6native32elementwise_kernel_manual_unrollILi128ELi4EZNS0_15gpu_kernel_implIZZZNS0_16asin_kernel_cudaERNS_18TensorIteratorBaseEENKUlvE0_clEvENKUlvE_clEvEUldE_EEvS4_RKT_EUlibE0_EEviT1_,comdat
	.globl	_ZN2at6native32elementwise_kernel_manual_unrollILi128ELi4EZNS0_15gpu_kernel_implIZZZNS0_16asin_kernel_cudaERNS_18TensorIteratorBaseEENKUlvE0_clEvENKUlvE_clEvEUldE_EEvS4_RKT_EUlibE0_EEviT1_ ; -- Begin function _ZN2at6native32elementwise_kernel_manual_unrollILi128ELi4EZNS0_15gpu_kernel_implIZZZNS0_16asin_kernel_cudaERNS_18TensorIteratorBaseEENKUlvE0_clEvENKUlvE_clEvEUldE_EEvS4_RKT_EUlibE0_EEviT1_
	.p2align	8
	.type	_ZN2at6native32elementwise_kernel_manual_unrollILi128ELi4EZNS0_15gpu_kernel_implIZZZNS0_16asin_kernel_cudaERNS_18TensorIteratorBaseEENKUlvE0_clEvENKUlvE_clEvEUldE_EEvS4_RKT_EUlibE0_EEviT1_,@function
_ZN2at6native32elementwise_kernel_manual_unrollILi128ELi4EZNS0_15gpu_kernel_implIZZZNS0_16asin_kernel_cudaERNS_18TensorIteratorBaseEENKUlvE0_clEvENKUlvE_clEvEUldE_EEvS4_RKT_EUlibE0_EEviT1_: ; @_ZN2at6native32elementwise_kernel_manual_unrollILi128ELi4EZNS0_15gpu_kernel_implIZZZNS0_16asin_kernel_cudaERNS_18TensorIteratorBaseEENKUlvE0_clEvENKUlvE_clEvEUldE_EEvS4_RKT_EUlibE0_EEviT1_
; %bb.0:
	s_load_dword s70, s[4:5], 0x0
	s_load_dword s33, s[4:5], 0x8
	s_add_u32 s34, s4, 8
	s_addc_u32 s35, s5, 0
	v_lshl_or_b32 v11, s6, 9, v0
	v_or_b32_e32 v5, 0x180, v11
	s_waitcnt lgkmcnt(0)
	s_add_i32 s72, s33, -1
	s_cmp_gt_u32 s72, 1
	v_cmp_le_i32_e32 vcc, s70, v5
	s_cselect_b64 s[40:41], -1, 0
	s_mov_b64 s[6:7], 0
	s_mov_b64 s[28:29], 0
	s_and_saveexec_b64 s[0:1], vcc
	s_xor_b64 s[42:43], exec, s[0:1]
	s_cbranch_execz .LBB40_1094
; %bb.1:
	v_mov_b32_e32 v0, 0
	global_load_ushort v0, v0, s[34:35] offset:345
	s_load_dwordx4 s[36:39], s[34:35], 0x4
	s_load_dwordx2 s[44:45], s[34:35], 0x14
	s_load_dwordx4 s[28:31], s[34:35], 0xc4
	s_load_dwordx4 s[24:27], s[34:35], 0x148
	s_cmp_lg_u32 s33, 0
	s_cselect_b64 s[50:51], -1, 0
	s_add_u32 s48, s34, 0xc4
	s_addc_u32 s49, s35, 0
	s_min_u32 s75, s72, 15
	s_cmp_gt_u32 s33, 1
	s_cselect_b64 s[46:47], -1, 0
	v_cmp_gt_i32_e32 vcc, s70, v11
	s_mov_b64 s[2:3], -1
	s_mov_b64 s[60:61], 0
	s_mov_b64 s[54:55], 0
	;; [unrolled: 1-line block ×3, first 2 shown]
	s_waitcnt vmcnt(0)
	v_readfirstlane_b32 s73, v0
	s_and_b32 s0, 0xffff, s73
	s_lshr_b32 s74, s0, 8
	s_and_saveexec_b64 s[56:57], vcc
	s_cbranch_execz .LBB40_268
; %bb.2:
	s_andn2_b64 vcc, exec, s[40:41]
	s_cbranch_vccnz .LBB40_7
; %bb.3:
	s_andn2_b64 vcc, exec, s[50:51]
	s_cbranch_vccnz .LBB40_8
; %bb.4:
	s_add_i32 s59, s75, 1
	s_cmp_eq_u32 s72, 2
	s_cbranch_scc1 .LBB40_9
; %bb.5:
	s_and_b32 s58, s59, 28
	v_mov_b32_e32 v0, 0
	s_mov_b32 s62, 0
	s_mov_b64 s[52:53], s[34:35]
	s_mov_b64 s[54:55], s[48:49]
	v_mov_b32_e32 v2, 0
	v_mov_b32_e32 v1, v11
.LBB40_6:                               ; =>This Inner Loop Header: Depth=1
	s_load_dwordx8 s[16:23], s[52:53], 0x4
	s_load_dwordx4 s[0:3], s[52:53], 0x24
	s_load_dwordx8 s[8:15], s[54:55], 0x0
	s_add_u32 s52, s52, 48
	s_addc_u32 s53, s53, 0
	s_waitcnt lgkmcnt(0)
	v_mul_hi_u32 v3, s17, v1
	s_add_i32 s62, s62, 4
	s_add_u32 s54, s54, 32
	s_addc_u32 s55, s55, 0
	v_add_u32_e32 v3, v1, v3
	v_lshrrev_b32_e32 v3, s18, v3
	v_mul_lo_u32 v4, v3, s16
	v_mul_hi_u32 v5, s20, v3
	s_cmp_lg_u32 s58, s62
	v_sub_u32_e32 v1, v1, v4
	v_add_u32_e32 v4, v3, v5
	v_mul_lo_u32 v5, v1, s8
	v_mul_lo_u32 v6, v1, s9
	v_lshrrev_b32_e32 v1, s21, v4
	v_mul_lo_u32 v4, v1, s19
	v_mul_hi_u32 v7, s23, v1
	v_sub_u32_e32 v3, v3, v4
	v_add_u32_e32 v4, v1, v7
	v_lshrrev_b32_e32 v4, s0, v4
	v_mul_hi_u32 v8, s2, v4
	v_mul_lo_u32 v9, v4, s22
	v_mul_lo_u32 v7, v3, s10
	v_mul_lo_u32 v3, v3, s11
	v_sub_u32_e32 v9, v1, v9
	v_add_u32_e32 v1, v4, v8
	v_lshrrev_b32_e32 v1, s3, v1
	v_mul_lo_u32 v8, v1, s1
	v_mul_lo_u32 v10, v9, s12
	;; [unrolled: 1-line block ×3, first 2 shown]
	v_add3_u32 v2, v5, v2, v7
	v_sub_u32_e32 v4, v4, v8
	v_mul_lo_u32 v8, v4, s14
	v_mul_lo_u32 v4, v4, s15
	v_add3_u32 v0, v6, v0, v3
	v_add3_u32 v2, v10, v2, v8
	;; [unrolled: 1-line block ×3, first 2 shown]
	s_cbranch_scc1 .LBB40_6
	s_branch .LBB40_10
.LBB40_7:
                                        ; implicit-def: $vgpr2
                                        ; implicit-def: $vgpr0
	s_branch .LBB40_14
.LBB40_8:
	v_mov_b32_e32 v2, 0
	v_mov_b32_e32 v0, 0
	s_branch .LBB40_13
.LBB40_9:
	s_mov_b32 s58, 0
	v_mov_b32_e32 v2, 0
	v_mov_b32_e32 v0, 0
	;; [unrolled: 1-line block ×3, first 2 shown]
.LBB40_10:
	s_and_b32 s8, s59, 3
	s_cmp_eq_u32 s8, 0
	s_cbranch_scc1 .LBB40_13
; %bb.11:
	s_lshl_b32 s0, s58, 3
	s_add_u32 s0, s34, s0
	s_addc_u32 s1, s35, 0
	s_add_u32 s0, s0, 0xc4
	s_addc_u32 s1, s1, 0
	s_mul_i32 s2, s58, 12
	s_add_u32 s2, s34, s2
	s_addc_u32 s3, s35, 0
.LBB40_12:                              ; =>This Inner Loop Header: Depth=1
	s_load_dwordx2 s[10:11], s[2:3], 0x4
	s_load_dword s9, s[2:3], 0xc
	s_load_dwordx2 s[12:13], s[0:1], 0x0
	s_add_u32 s2, s2, 12
	s_addc_u32 s3, s3, 0
	s_waitcnt lgkmcnt(0)
	v_mul_hi_u32 v3, s11, v1
	s_add_u32 s0, s0, 8
	s_addc_u32 s1, s1, 0
	s_add_i32 s8, s8, -1
	v_add_u32_e32 v3, v1, v3
	v_lshrrev_b32_e32 v4, s9, v3
	v_mul_lo_u32 v3, v4, s10
	s_cmp_lg_u32 s8, 0
	v_sub_u32_e32 v1, v1, v3
	v_mad_u64_u32 v[2:3], s[10:11], v1, s12, v[2:3]
	v_mad_u64_u32 v[0:1], s[10:11], v1, s13, v[0:1]
	v_mov_b32_e32 v1, v4
	s_cbranch_scc1 .LBB40_12
.LBB40_13:
	s_cbranch_execnz .LBB40_16
.LBB40_14:
	s_waitcnt lgkmcnt(0)
	v_mul_hi_u32 v0, s37, v11
	s_andn2_b64 vcc, exec, s[46:47]
	v_add_u32_e32 v0, v11, v0
	v_lshrrev_b32_e32 v1, s38, v0
	v_mul_lo_u32 v0, v1, s36
	v_sub_u32_e32 v0, v11, v0
	v_mul_lo_u32 v2, v0, s28
	v_mul_lo_u32 v0, v0, s29
	s_cbranch_vccnz .LBB40_16
; %bb.15:
	v_mul_hi_u32 v3, s44, v1
	v_add_u32_e32 v3, v1, v3
	v_lshrrev_b32_e32 v3, s45, v3
	v_mul_lo_u32 v3, v3, s39
	v_sub_u32_e32 v1, v1, v3
	v_mad_u64_u32 v[2:3], s[0:1], v1, s30, v[2:3]
	v_mad_u64_u32 v[0:1], s[0:1], v1, s31, v[0:1]
.LBB40_16:
	s_waitcnt lgkmcnt(0)
	v_mov_b32_e32 v1, s27
	s_and_b32 s12, 0xffff, s74
	v_add_co_u32_e32 v0, vcc, s26, v0
	s_cmp_lt_i32 s12, 11
	v_addc_co_u32_e32 v1, vcc, 0, v1, vcc
	s_cbranch_scc1 .LBB40_23
; %bb.17:
	s_cmp_gt_i32 s12, 25
	s_cbranch_scc0 .LBB40_34
; %bb.18:
	s_cmp_gt_i32 s12, 28
	s_cbranch_scc0 .LBB40_37
	;; [unrolled: 3-line block ×4, first 2 shown]
; %bb.21:
	s_cmp_eq_u32 s12, 46
	s_mov_b64 s[8:9], 0
	s_cbranch_scc0 .LBB40_43
; %bb.22:
	global_load_dword v3, v[0:1], off
	s_mov_b64 s[0:1], -1
	s_mov_b64 s[2:3], 0
	s_waitcnt vmcnt(0)
	v_lshlrev_b32_e32 v3, 16, v3
	v_cvt_f64_f32_e32 v[3:4], v3
	s_branch .LBB40_45
.LBB40_23:
	s_mov_b64 s[2:3], 0
                                        ; implicit-def: $vgpr3_vgpr4
	s_mov_b64 s[0:1], 0
	s_cbranch_execnz .LBB40_218
.LBB40_24:
	s_andn2_b64 vcc, exec, s[0:1]
	s_cbranch_vccnz .LBB40_265
.LBB40_25:
	s_waitcnt vmcnt(0)
	v_fma_f64 v[5:6], |v[3:4]|, -0.5, 0.5
	v_mul_f64 v[0:1], v[3:4], v[3:4]
	v_cmp_ge_f64_e64 vcc, |v[3:4]|, 0.5
	s_mov_b32 s0, 0x9fea6a70
	v_mov_b32_e32 v7, 0x78a05eaf
	v_mov_b32_e32 v8, 0xbf90a5a3
	s_mov_b32 s1, 0x3fa05985
	v_cndmask_b32_e32 v1, v1, v6, vcc
	v_cndmask_b32_e32 v0, v0, v5, vcc
	v_fma_f64 v[7:8], v[0:1], s[0:1], v[7:8]
	s_mov_b32 s0, 0x37024d6a
	s_mov_b32 s1, 0x3f940521
	v_fma_f64 v[7:8], v[0:1], v[7:8], s[0:1]
	s_mov_b32 s0, 0x98a70509
	s_mov_b32 s1, 0x3f7ab3a0
	;; [unrolled: 3-line block ×10, first 2 shown]
	v_fma_f64 v[7:8], v[0:1], v[7:8], s[0:1]
	v_mul_f64 v[7:8], v[0:1], v[7:8]
	v_fma_f64 v[0:1], |v[3:4]|, v[7:8], |v[3:4]|
	s_and_saveexec_b64 s[0:1], vcc
	s_cbranch_execz .LBB40_27
; %bb.26:
	v_rsq_f64_e32 v[0:1], v[5:6]
	v_cmp_eq_f64_e32 vcc, 0, v[5:6]
	s_mov_b32 s8, 0x54442d18
	s_mov_b32 s9, 0x3fe921fb
	v_mul_f64 v[9:10], v[5:6], v[0:1]
	v_mul_f64 v[0:1], v[0:1], 0.5
	v_fma_f64 v[12:13], -v[0:1], v[9:10], 0.5
	v_fma_f64 v[9:10], v[9:10], v[12:13], v[9:10]
	v_fma_f64 v[0:1], v[0:1], v[12:13], v[0:1]
	v_fma_f64 v[12:13], -v[9:10], v[9:10], v[5:6]
	v_fma_f64 v[0:1], v[12:13], v[0:1], v[9:10]
	v_cndmask_b32_e32 v1, v1, v6, vcc
	v_cndmask_b32_e32 v0, v0, v5, vcc
	v_add_f64 v[9:10], v[0:1], v[0:1]
	v_mul_f64 v[12:13], v[0:1], v[0:1]
	v_rcp_f64_e32 v[14:15], v[9:10]
	v_add_f64 v[16:17], v[5:6], -v[12:13]
	v_fma_f64 v[20:21], v[0:1], v[0:1], -v[12:13]
	v_add_f64 v[5:6], v[5:6], -v[16:17]
	v_fma_f64 v[18:19], -v[9:10], v[14:15], 1.0
	v_add_f64 v[5:6], v[5:6], -v[12:13]
	v_fma_f64 v[12:13], v[18:19], v[14:15], v[14:15]
	v_add_f64 v[5:6], v[5:6], -v[20:21]
	v_fma_f64 v[14:15], -v[9:10], v[12:13], 1.0
	v_add_f64 v[5:6], v[16:17], v[5:6]
	v_fma_f64 v[12:13], v[14:15], v[12:13], v[12:13]
	v_mul_f64 v[14:15], v[5:6], v[12:13]
	v_fma_f64 v[5:6], -v[9:10], v[14:15], v[5:6]
	v_fma_f64 v[5:6], v[5:6], v[12:13], v[14:15]
	v_cndmask_b32_e64 v6, v6, 0, vcc
	v_cndmask_b32_e64 v5, v5, 0, vcc
	v_add_f64 v[9:10], v[0:1], v[5:6]
	v_cmp_neq_f64_e64 vcc, |v[3:4]|, 1.0
	v_mov_b32_e32 v3, 0x54442d18
	v_add_f64 v[0:1], v[9:10], -v[0:1]
	v_mul_f64 v[12:13], v[7:8], v[9:10]
	v_add_f64 v[0:1], v[5:6], -v[0:1]
	v_fma_f64 v[5:6], v[9:10], v[7:8], -v[12:13]
	v_fma_f64 v[5:6], v[0:1], v[7:8], v[5:6]
	v_add_f64 v[7:8], v[12:13], v[5:6]
	v_add_f64 v[14:15], v[9:10], v[7:8]
	v_add_f64 v[12:13], v[7:8], -v[12:13]
	v_add_f64 v[9:10], v[14:15], -v[9:10]
	;; [unrolled: 1-line block ×4, first 2 shown]
	v_add_f64 v[0:1], v[0:1], v[5:6]
	v_add_f64 v[0:1], v[0:1], v[7:8]
	;; [unrolled: 1-line block ×3, first 2 shown]
	v_add_f64 v[7:8], -v[5:6], s[8:9]
	v_add_f64 v[12:13], v[5:6], -v[14:15]
	v_add_f64 v[9:10], -v[7:8], s[8:9]
	s_mov_b32 s8, 0x33145c07
	s_mov_b32 s9, 0x3c81a626
	v_add_f64 v[0:1], v[12:13], -v[0:1]
	v_add_f64 v[5:6], v[9:10], -v[5:6]
	v_add_f64 v[5:6], v[5:6], s[8:9]
	v_add_f64 v[0:1], v[0:1], v[5:6]
	v_mov_b32_e32 v5, 0x3ff921fb
	v_add_f64 v[0:1], v[7:8], v[0:1]
	v_add_f64 v[0:1], v[0:1], v[0:1]
	v_cndmask_b32_e32 v1, v5, v1, vcc
	v_cndmask_b32_e32 v0, v3, v0, vcc
.LBB40_27:
	s_or_b64 exec, exec, s[0:1]
	s_brev_b32 s0, -2
	v_bfi_b32 v1, s0, v1, v4
	v_mov_b32_e32 v3, s25
	s_and_b32 s14, s73, 0xff
	v_add_co_u32_e32 v4, vcc, s24, v2
	s_cmp_lt_i32 s14, 11
	v_addc_co_u32_e32 v5, vcc, 0, v3, vcc
	s_cbranch_scc1 .LBB40_35
; %bb.28:
	s_and_b32 s15, 0xffff, s14
	s_cmp_gt_i32 s15, 25
	s_cbranch_scc0 .LBB40_38
; %bb.29:
	s_cmp_gt_i32 s15, 28
	s_cbranch_scc0 .LBB40_40
; %bb.30:
	;; [unrolled: 3-line block ×4, first 2 shown]
	s_mov_b64 s[10:11], 0
	s_mov_b64 s[0:1], -1
	s_cmp_eq_u32 s15, 46
	s_mov_b64 s[8:9], 0
	s_cbranch_scc0 .LBB40_49
; %bb.33:
	v_cvt_f32_f64_e32 v2, v[0:1]
	s_movk_i32 s0, 0x7fff
	v_mov_b32_e32 v3, 0x7fc0
	s_mov_b64 s[8:9], -1
	v_bfe_u32 v6, v2, 16, 1
	v_cmp_o_f32_e32 vcc, v2, v2
	v_add3_u32 v2, v2, v6, s0
	v_cndmask_b32_sdwa v2, v3, v2, vcc dst_sel:DWORD dst_unused:UNUSED_PAD src0_sel:DWORD src1_sel:WORD_1
	global_store_dword v[4:5], v2, off
	s_mov_b64 s[0:1], 0
	s_branch .LBB40_49
.LBB40_34:
	s_mov_b64 s[2:3], 0
	s_mov_b64 s[0:1], 0
                                        ; implicit-def: $vgpr3_vgpr4
	s_cbranch_execnz .LBB40_185
	s_branch .LBB40_217
.LBB40_35:
	s_mov_b64 s[0:1], 0
	s_mov_b64 s[8:9], 0
	s_cbranch_execnz .LBB40_118
.LBB40_36:
	s_andn2_b64 vcc, exec, s[8:9]
	s_cbranch_vccnz .LBB40_266
	s_branch .LBB40_156
.LBB40_37:
	s_mov_b64 s[8:9], -1
	s_mov_b64 s[2:3], 0
	s_mov_b64 s[0:1], 0
                                        ; implicit-def: $vgpr3_vgpr4
	s_branch .LBB40_164
.LBB40_38:
	s_mov_b64 s[10:11], -1
	s_mov_b64 s[0:1], 0
	s_mov_b64 s[8:9], 0
	s_branch .LBB40_76
.LBB40_39:
	s_mov_b64 s[8:9], -1
	s_mov_b64 s[2:3], 0
	s_mov_b64 s[0:1], 0
                                        ; implicit-def: $vgpr3_vgpr4
	s_branch .LBB40_159
.LBB40_40:
	s_mov_b64 s[10:11], -1
	s_mov_b64 s[0:1], 0
	s_mov_b64 s[8:9], 0
	s_branch .LBB40_59
.LBB40_41:
	s_mov_b64 s[8:9], -1
	s_mov_b64 s[2:3], 0
	s_branch .LBB40_44
.LBB40_42:
	s_mov_b64 s[10:11], -1
	s_mov_b64 s[0:1], 0
	s_mov_b64 s[8:9], 0
	s_branch .LBB40_55
.LBB40_43:
	s_mov_b64 s[2:3], -1
.LBB40_44:
	s_mov_b64 s[0:1], 0
                                        ; implicit-def: $vgpr3_vgpr4
.LBB40_45:
	s_and_b64 vcc, exec, s[8:9]
	s_cbranch_vccz .LBB40_158
; %bb.46:
	s_cmp_eq_u32 s12, 44
	s_cbranch_scc0 .LBB40_157
; %bb.47:
	global_load_ubyte v5, v[0:1], off
	s_movk_i32 s2, 0xff
	v_bfrev_b32_e32 v6, 4
	v_mov_b32_e32 v7, 0x7ff80000
	v_bfrev_b32_e32 v8, 28
	s_mov_b64 s[0:1], -1
	s_waitcnt vmcnt(0)
	v_lshlrev_b32_e32 v3, 23, v5
	v_cvt_f64_f32_e32 v[3:4], v3
	v_cmp_ne_u32_e32 vcc, s2, v5
	s_mov_b64 s[2:3], 0
	v_cndmask_b32_e32 v3, v6, v3, vcc
	v_cndmask_b32_e32 v4, v7, v4, vcc
	v_cmp_ne_u32_e32 vcc, 0, v5
	v_cndmask_b32_e32 v4, v8, v4, vcc
	v_cndmask_b32_e32 v3, 0, v3, vcc
	s_branch .LBB40_158
.LBB40_48:
	s_mov_b64 s[10:11], -1
	s_mov_b64 s[0:1], 0
	s_mov_b64 s[8:9], 0
.LBB40_49:
	s_and_b64 vcc, exec, s[10:11]
	s_cbranch_vccz .LBB40_54
; %bb.50:
	s_cmp_eq_u32 s15, 44
	s_mov_b64 s[0:1], -1
	s_cbranch_scc0 .LBB40_54
; %bb.51:
	v_cvt_f32_f64_e32 v2, v[0:1]
	s_movk_i32 s0, 0xff
	v_mov_b32_e32 v6, 0xff
	v_bfe_u32 v3, v2, 23, 8
	v_cmp_ne_u32_e32 vcc, s0, v3
	s_and_saveexec_b64 s[8:9], vcc
; %bb.52:
	s_mov_b32 s0, 0x3fffff
	v_lshrrev_b32_e32 v6, 23, v2
	v_and_b32_e32 v7, 0x400000, v2
	v_and_or_b32 v2, v2, s0, v3
	v_cmp_ne_u32_e32 vcc, 0, v7
	v_cmp_ne_u32_e64 s[0:1], 0, v2
	s_and_b64 s[0:1], vcc, s[0:1]
	v_cndmask_b32_e64 v2, 0, 1, s[0:1]
	v_add_u32_e32 v6, v6, v2
; %bb.53:
	s_or_b64 exec, exec, s[8:9]
	s_mov_b64 s[8:9], -1
	s_mov_b64 s[0:1], 0
	global_store_byte v[4:5], v6, off
.LBB40_54:
	s_mov_b64 s[10:11], 0
.LBB40_55:
	s_and_b64 vcc, exec, s[10:11]
	s_cbranch_vccz .LBB40_58
; %bb.56:
	s_cmp_eq_u32 s15, 29
	s_mov_b64 s[0:1], -1
	s_cbranch_scc0 .LBB40_58
; %bb.57:
	v_trunc_f64_e32 v[2:3], v[0:1]
	s_movk_i32 s0, 0xffe0
	s_mov_b64 s[8:9], -1
	s_mov_b64 s[10:11], 0
	v_ldexp_f64 v[6:7], v[2:3], s0
	s_mov_b32 s0, 0
	s_mov_b32 s1, 0xc1f00000
	v_floor_f64_e32 v[6:7], v[6:7]
	v_fma_f64 v[2:3], v[6:7], s[0:1], v[2:3]
	v_cvt_u32_f64_e32 v7, v[6:7]
	s_mov_b64 s[0:1], 0
	v_cvt_u32_f64_e32 v6, v[2:3]
	global_store_dwordx2 v[4:5], v[6:7], off
	s_branch .LBB40_59
.LBB40_58:
	s_mov_b64 s[10:11], 0
.LBB40_59:
	s_and_b64 vcc, exec, s[10:11]
	s_cbranch_vccz .LBB40_75
; %bb.60:
	s_cmp_lt_i32 s15, 27
	s_mov_b64 s[8:9], -1
	s_cbranch_scc1 .LBB40_66
; %bb.61:
	v_cvt_u32_f64_e32 v2, v[0:1]
	s_cmp_gt_i32 s15, 27
	s_cbranch_scc0 .LBB40_63
; %bb.62:
	s_mov_b64 s[8:9], 0
	global_store_dword v[4:5], v2, off
.LBB40_63:
	s_andn2_b64 vcc, exec, s[8:9]
	s_cbranch_vccnz .LBB40_65
; %bb.64:
	global_store_short v[4:5], v2, off
.LBB40_65:
	s_mov_b64 s[8:9], 0
.LBB40_66:
	s_andn2_b64 vcc, exec, s[8:9]
	s_cbranch_vccnz .LBB40_74
; %bb.67:
	v_cvt_f32_f64_e32 v2, v[0:1]
	s_mov_b32 s8, 0x43800000
	v_mov_b32_e32 v6, 0x80
	v_and_b32_e32 v3, 0x7fffffff, v2
	v_cmp_gt_u32_e32 vcc, s8, v3
	s_and_saveexec_b64 s[8:9], vcc
	s_cbranch_execz .LBB40_73
; %bb.68:
	s_mov_b32 s10, 0x3bffffff
	v_cmp_lt_u32_e32 vcc, s10, v3
	s_mov_b64 s[10:11], 0
                                        ; implicit-def: $vgpr3
	s_and_saveexec_b64 s[12:13], vcc
	s_xor_b64 s[12:13], exec, s[12:13]
	s_cbranch_execz .LBB40_311
; %bb.69:
	v_bfe_u32 v3, v2, 20, 1
	s_mov_b32 s16, 0x487ffff
	v_add3_u32 v3, v2, v3, s16
	s_mov_b64 s[10:11], exec
	v_lshrrev_b32_e32 v3, 20, v3
	s_andn2_saveexec_b64 s[12:13], s[12:13]
	s_cbranch_execnz .LBB40_312
.LBB40_70:
	s_or_b64 exec, exec, s[12:13]
	v_mov_b32_e32 v6, 0
	s_and_saveexec_b64 s[12:13], s[10:11]
.LBB40_71:
	v_lshrrev_b32_e32 v2, 24, v2
	s_movk_i32 s10, 0x80
	v_and_or_b32 v6, v2, s10, v3
.LBB40_72:
	s_or_b64 exec, exec, s[12:13]
.LBB40_73:
	s_or_b64 exec, exec, s[8:9]
	global_store_byte v[4:5], v6, off
.LBB40_74:
	s_mov_b64 s[8:9], -1
.LBB40_75:
	s_mov_b64 s[10:11], 0
.LBB40_76:
	s_and_b64 vcc, exec, s[10:11]
	s_cbranch_vccz .LBB40_117
; %bb.77:
	s_cmp_gt_i32 s15, 22
	s_mov_b64 s[10:11], -1
	s_cbranch_scc0 .LBB40_109
; %bb.78:
	s_cmp_lt_i32 s15, 24
	s_mov_b64 s[8:9], -1
	s_cbranch_scc1 .LBB40_98
; %bb.79:
	s_cmp_gt_i32 s15, 24
	s_cbranch_scc0 .LBB40_87
; %bb.80:
	v_cvt_f32_f64_e32 v2, v[0:1]
	s_mov_b32 s8, 0x47800000
	v_mov_b32_e32 v6, 0x80
	v_and_b32_e32 v3, 0x7fffffff, v2
	v_cmp_gt_u32_e32 vcc, s8, v3
	s_and_saveexec_b64 s[8:9], vcc
	s_cbranch_execz .LBB40_86
; %bb.81:
	s_mov_b32 s10, 0x37ffffff
	v_cmp_lt_u32_e32 vcc, s10, v3
	s_mov_b64 s[10:11], 0
                                        ; implicit-def: $vgpr3
	s_and_saveexec_b64 s[12:13], vcc
	s_xor_b64 s[12:13], exec, s[12:13]
	s_cbranch_execz .LBB40_315
; %bb.82:
	v_bfe_u32 v3, v2, 21, 1
	s_mov_b32 s16, 0x88fffff
	v_add3_u32 v3, v2, v3, s16
	s_mov_b64 s[10:11], exec
	v_lshrrev_b32_e32 v3, 21, v3
	s_andn2_saveexec_b64 s[12:13], s[12:13]
	s_cbranch_execnz .LBB40_316
.LBB40_83:
	s_or_b64 exec, exec, s[12:13]
	v_mov_b32_e32 v6, 0
	s_and_saveexec_b64 s[12:13], s[10:11]
.LBB40_84:
	v_lshrrev_b32_e32 v2, 24, v2
	s_movk_i32 s10, 0x80
	v_and_or_b32 v6, v2, s10, v3
.LBB40_85:
	s_or_b64 exec, exec, s[12:13]
.LBB40_86:
	s_or_b64 exec, exec, s[8:9]
	s_mov_b64 s[8:9], 0
	global_store_byte v[4:5], v6, off
.LBB40_87:
	s_and_b64 vcc, exec, s[8:9]
	s_cbranch_vccz .LBB40_97
; %bb.88:
	v_cvt_f32_f64_e32 v2, v[0:1]
	s_mov_b32 s8, 0x43f00000
                                        ; implicit-def: $vgpr3
	v_and_b32_e32 v6, 0x7fffffff, v2
	v_cmp_gt_u32_e32 vcc, s8, v6
	s_and_saveexec_b64 s[8:9], vcc
	s_xor_b64 s[8:9], exec, s[8:9]
	s_cbranch_execz .LBB40_94
; %bb.89:
	s_mov_b32 s10, 0x3c7fffff
	v_cmp_lt_u32_e32 vcc, s10, v6
                                        ; implicit-def: $vgpr3
	s_and_saveexec_b64 s[10:11], vcc
	s_xor_b64 s[10:11], exec, s[10:11]
; %bb.90:
	v_bfe_u32 v3, v2, 20, 1
	s_mov_b32 s12, 0x407ffff
	v_add3_u32 v3, v2, v3, s12
	v_lshrrev_b32_e32 v6, 20, v3
	v_and_b32_e32 v3, 0xff00000, v3
	s_mov_b32 s12, 0x7f00000
	v_mov_b32_e32 v7, 0x7e
	v_cmp_ne_u32_e32 vcc, s12, v3
	v_cndmask_b32_e32 v3, v7, v6, vcc
; %bb.91:
	s_andn2_saveexec_b64 s[10:11], s[10:11]
; %bb.92:
	s_mov_b32 s12, 0x46800000
	v_add_f32_e64 v3, |v2|, s12
; %bb.93:
	s_or_b64 exec, exec, s[10:11]
                                        ; implicit-def: $vgpr6
.LBB40_94:
	s_andn2_saveexec_b64 s[8:9], s[8:9]
; %bb.95:
	s_mov_b32 s10, 0x7f800000
	v_mov_b32_e32 v3, 0x7e
	v_mov_b32_e32 v7, 0x7f
	v_cmp_lt_u32_e32 vcc, s10, v6
	v_cndmask_b32_e32 v3, v3, v7, vcc
; %bb.96:
	s_or_b64 exec, exec, s[8:9]
	v_lshrrev_b32_e32 v2, 24, v2
	s_movk_i32 s8, 0x80
	v_and_or_b32 v2, v2, s8, v3
	global_store_byte v[4:5], v2, off
.LBB40_97:
	s_mov_b64 s[8:9], 0
.LBB40_98:
	s_andn2_b64 vcc, exec, s[8:9]
	s_cbranch_vccnz .LBB40_108
; %bb.99:
	v_cvt_f32_f64_e32 v2, v[0:1]
	s_mov_b32 s8, 0x47800000
                                        ; implicit-def: $vgpr3
	v_and_b32_e32 v6, 0x7fffffff, v2
	v_cmp_gt_u32_e32 vcc, s8, v6
	s_and_saveexec_b64 s[8:9], vcc
	s_xor_b64 s[8:9], exec, s[8:9]
	s_cbranch_execz .LBB40_105
; %bb.100:
	s_mov_b32 s10, 0x387fffff
	v_cmp_lt_u32_e32 vcc, s10, v6
                                        ; implicit-def: $vgpr3
	s_and_saveexec_b64 s[10:11], vcc
	s_xor_b64 s[10:11], exec, s[10:11]
; %bb.101:
	v_bfe_u32 v3, v2, 21, 1
	s_mov_b32 s12, 0x80fffff
	v_add3_u32 v3, v2, v3, s12
	v_lshrrev_b32_e32 v3, 21, v3
; %bb.102:
	s_andn2_saveexec_b64 s[10:11], s[10:11]
; %bb.103:
	s_mov_b32 s12, 0x43000000
	v_add_f32_e64 v3, |v2|, s12
; %bb.104:
	s_or_b64 exec, exec, s[10:11]
                                        ; implicit-def: $vgpr6
.LBB40_105:
	s_andn2_saveexec_b64 s[8:9], s[8:9]
; %bb.106:
	s_mov_b32 s10, 0x7f800000
	v_mov_b32_e32 v3, 0x7c
	v_mov_b32_e32 v7, 0x7f
	v_cmp_lt_u32_e32 vcc, s10, v6
	v_cndmask_b32_e32 v3, v3, v7, vcc
; %bb.107:
	s_or_b64 exec, exec, s[8:9]
	v_lshrrev_b32_e32 v2, 24, v2
	s_movk_i32 s8, 0x80
	v_and_or_b32 v2, v2, s8, v3
	global_store_byte v[4:5], v2, off
.LBB40_108:
	s_mov_b64 s[10:11], 0
	s_mov_b64 s[8:9], -1
.LBB40_109:
	s_andn2_b64 vcc, exec, s[10:11]
	s_cbranch_vccnz .LBB40_117
; %bb.110:
	s_cmp_gt_i32 s15, 14
	s_mov_b64 s[10:11], -1
	s_cbranch_scc0 .LBB40_114
; %bb.111:
	s_cmp_eq_u32 s15, 15
	s_mov_b64 s[0:1], -1
	s_cbranch_scc0 .LBB40_113
; %bb.112:
	v_cvt_f32_f64_e32 v2, v[0:1]
	s_movk_i32 s0, 0x7fff
	v_mov_b32_e32 v3, 0x7fc0
	s_mov_b64 s[8:9], -1
	v_bfe_u32 v6, v2, 16, 1
	v_cmp_o_f32_e32 vcc, v2, v2
	v_add3_u32 v2, v2, v6, s0
	v_cndmask_b32_sdwa v2, v3, v2, vcc dst_sel:DWORD dst_unused:UNUSED_PAD src0_sel:DWORD src1_sel:WORD_1
	global_store_short v[4:5], v2, off
	s_mov_b64 s[0:1], 0
.LBB40_113:
	s_mov_b64 s[10:11], 0
.LBB40_114:
	s_and_b64 vcc, exec, s[10:11]
	s_cbranch_vccz .LBB40_117
; %bb.115:
	s_cmp_eq_u32 s15, 11
	s_mov_b64 s[0:1], -1
	s_cbranch_scc0 .LBB40_117
; %bb.116:
	v_cmp_neq_f64_e32 vcc, 0, v[0:1]
	s_mov_b64 s[0:1], 0
	s_mov_b64 s[8:9], -1
	v_cndmask_b32_e64 v2, 0, 1, vcc
	global_store_byte v[4:5], v2, off
.LBB40_117:
	s_branch .LBB40_36
.LBB40_118:
	s_and_b32 s10, 0xffff, s14
	s_cmp_lt_i32 s10, 5
	s_mov_b64 s[8:9], -1
	s_cbranch_scc1 .LBB40_139
; %bb.119:
	s_cmp_lt_i32 s10, 8
	s_cbranch_scc1 .LBB40_129
; %bb.120:
	s_cmp_lt_i32 s10, 9
	s_cbranch_scc1 .LBB40_126
; %bb.121:
	s_cmp_gt_i32 s10, 9
	s_cbranch_scc0 .LBB40_123
; %bb.122:
	v_mov_b32_e32 v2, 0
	v_mov_b32_e32 v3, v2
	global_store_dwordx4 v[4:5], v[0:3], off
	s_mov_b64 s[8:9], 0
.LBB40_123:
	s_andn2_b64 vcc, exec, s[8:9]
	s_cbranch_vccnz .LBB40_125
; %bb.124:
	v_cvt_f32_f64_e32 v2, v[0:1]
	v_mov_b32_e32 v3, 0
	global_store_dwordx2 v[4:5], v[2:3], off
.LBB40_125:
	s_mov_b64 s[8:9], 0
.LBB40_126:
	s_andn2_b64 vcc, exec, s[8:9]
	s_cbranch_vccnz .LBB40_128
; %bb.127:
	s_movk_i32 s8, 0x1ff
	v_and_or_b32 v2, v1, s8, v0
	v_cmp_ne_u32_e32 vcc, 0, v2
	v_cndmask_b32_e64 v2, 0, 1, vcc
	v_lshrrev_b32_e32 v3, 8, v1
	s_movk_i32 s8, 0xffe
	v_bfe_u32 v6, v1, 20, 11
	v_and_or_b32 v2, v3, s8, v2
	v_sub_u32_e32 v7, 0x3f1, v6
	v_or_b32_e32 v3, 0x1000, v2
	v_med3_i32 v7, v7, 0, 13
	v_lshrrev_b32_e32 v8, v7, v3
	v_lshlrev_b32_e32 v7, v7, v8
	v_cmp_ne_u32_e32 vcc, v7, v3
	v_cndmask_b32_e64 v3, 0, 1, vcc
	v_add_u32_e32 v6, 0xfffffc10, v6
	v_or_b32_e32 v3, v8, v3
	v_lshl_or_b32 v7, v6, 12, v2
	v_cmp_gt_i32_e32 vcc, 1, v6
	v_cndmask_b32_e32 v3, v7, v3, vcc
	v_and_b32_e32 v7, 7, v3
	v_cmp_lt_i32_e32 vcc, 5, v7
	v_cndmask_b32_e64 v8, 0, 1, vcc
	v_cmp_eq_u32_e32 vcc, 3, v7
	v_cndmask_b32_e64 v7, 0, 1, vcc
	v_or_b32_e32 v7, v7, v8
	v_lshrrev_b32_e32 v3, 2, v3
	v_add_u32_e32 v3, v3, v7
	v_mov_b32_e32 v7, 0x7c00
	v_cmp_gt_i32_e32 vcc, 31, v6
	v_cndmask_b32_e32 v3, v7, v3, vcc
	v_mov_b32_e32 v8, 0x7e00
	v_cmp_ne_u32_e32 vcc, 0, v2
	s_movk_i32 s8, 0x40f
	v_cndmask_b32_e32 v2, v7, v8, vcc
	v_cmp_eq_u32_e32 vcc, s8, v6
	v_cndmask_b32_e32 v2, v3, v2, vcc
	v_lshrrev_b32_e32 v3, 16, v1
	s_mov_b32 s8, 0x8000
	v_and_or_b32 v2, v3, s8, v2
	v_and_b32_e32 v2, 0xffff, v2
	global_store_dword v[4:5], v2, off
.LBB40_128:
	s_mov_b64 s[8:9], 0
.LBB40_129:
	s_andn2_b64 vcc, exec, s[8:9]
	s_cbranch_vccnz .LBB40_138
; %bb.130:
	s_cmp_lt_i32 s10, 6
	s_mov_b64 s[8:9], -1
	s_cbranch_scc1 .LBB40_136
; %bb.131:
	s_cmp_gt_i32 s10, 6
	s_cbranch_scc0 .LBB40_133
; %bb.132:
	global_store_dwordx2 v[4:5], v[0:1], off
	s_mov_b64 s[8:9], 0
.LBB40_133:
	s_andn2_b64 vcc, exec, s[8:9]
	s_cbranch_vccnz .LBB40_135
; %bb.134:
	v_cvt_f32_f64_e32 v2, v[0:1]
	global_store_dword v[4:5], v2, off
.LBB40_135:
	s_mov_b64 s[8:9], 0
.LBB40_136:
	s_andn2_b64 vcc, exec, s[8:9]
	s_cbranch_vccnz .LBB40_138
; %bb.137:
	s_movk_i32 s8, 0x1ff
	v_and_or_b32 v2, v1, s8, v0
	v_cmp_ne_u32_e32 vcc, 0, v2
	v_cndmask_b32_e64 v2, 0, 1, vcc
	v_lshrrev_b32_e32 v3, 8, v1
	s_movk_i32 s8, 0xffe
	v_bfe_u32 v6, v1, 20, 11
	v_and_or_b32 v2, v3, s8, v2
	v_sub_u32_e32 v7, 0x3f1, v6
	v_or_b32_e32 v3, 0x1000, v2
	v_med3_i32 v7, v7, 0, 13
	v_lshrrev_b32_e32 v8, v7, v3
	v_lshlrev_b32_e32 v7, v7, v8
	v_cmp_ne_u32_e32 vcc, v7, v3
	v_cndmask_b32_e64 v3, 0, 1, vcc
	v_add_u32_e32 v6, 0xfffffc10, v6
	v_or_b32_e32 v3, v8, v3
	v_lshl_or_b32 v7, v6, 12, v2
	v_cmp_gt_i32_e32 vcc, 1, v6
	v_cndmask_b32_e32 v3, v7, v3, vcc
	v_and_b32_e32 v7, 7, v3
	v_cmp_lt_i32_e32 vcc, 5, v7
	v_cndmask_b32_e64 v8, 0, 1, vcc
	v_cmp_eq_u32_e32 vcc, 3, v7
	v_cndmask_b32_e64 v7, 0, 1, vcc
	v_or_b32_e32 v7, v7, v8
	v_lshrrev_b32_e32 v3, 2, v3
	v_add_u32_e32 v3, v3, v7
	v_mov_b32_e32 v7, 0x7c00
	v_cmp_gt_i32_e32 vcc, 31, v6
	v_cndmask_b32_e32 v3, v7, v3, vcc
	v_mov_b32_e32 v8, 0x7e00
	v_cmp_ne_u32_e32 vcc, 0, v2
	s_movk_i32 s8, 0x40f
	v_cndmask_b32_e32 v2, v7, v8, vcc
	v_cmp_eq_u32_e32 vcc, s8, v6
	v_cndmask_b32_e32 v2, v3, v2, vcc
	v_lshrrev_b32_e32 v3, 16, v1
	s_mov_b32 s8, 0x8000
	v_and_or_b32 v2, v3, s8, v2
	global_store_short v[4:5], v2, off
.LBB40_138:
	s_mov_b64 s[8:9], 0
.LBB40_139:
	s_andn2_b64 vcc, exec, s[8:9]
	s_cbranch_vccnz .LBB40_155
; %bb.140:
	s_cmp_lt_i32 s10, 2
	s_mov_b64 s[8:9], -1
	s_cbranch_scc1 .LBB40_150
; %bb.141:
	s_cmp_lt_i32 s10, 3
	s_cbranch_scc1 .LBB40_147
; %bb.142:
	s_cmp_gt_i32 s10, 3
	s_cbranch_scc0 .LBB40_144
; %bb.143:
	v_trunc_f64_e32 v[2:3], v[0:1]
	s_movk_i32 s8, 0xffe0
	v_ldexp_f64 v[6:7], v[2:3], s8
	s_mov_b32 s8, 0
	s_mov_b32 s9, 0xc1f00000
	v_floor_f64_e32 v[6:7], v[6:7]
	v_fma_f64 v[2:3], v[6:7], s[8:9], v[2:3]
	v_cvt_i32_f64_e32 v7, v[6:7]
	s_mov_b64 s[8:9], 0
	v_cvt_u32_f64_e32 v6, v[2:3]
	global_store_dwordx2 v[4:5], v[6:7], off
.LBB40_144:
	s_andn2_b64 vcc, exec, s[8:9]
	s_cbranch_vccnz .LBB40_146
; %bb.145:
	v_cvt_i32_f64_e32 v2, v[0:1]
	global_store_dword v[4:5], v2, off
.LBB40_146:
	s_mov_b64 s[8:9], 0
.LBB40_147:
	s_andn2_b64 vcc, exec, s[8:9]
	s_cbranch_vccnz .LBB40_149
; %bb.148:
	v_cvt_i32_f64_e32 v2, v[0:1]
	global_store_short v[4:5], v2, off
.LBB40_149:
	s_mov_b64 s[8:9], 0
.LBB40_150:
	s_andn2_b64 vcc, exec, s[8:9]
	s_cbranch_vccnz .LBB40_155
; %bb.151:
	s_cmp_gt_i32 s10, 0
	s_mov_b64 s[8:9], -1
	s_cbranch_scc0 .LBB40_153
; %bb.152:
	v_cvt_i32_f64_e32 v2, v[0:1]
	s_mov_b64 s[8:9], 0
	global_store_byte v[4:5], v2, off
.LBB40_153:
	s_andn2_b64 vcc, exec, s[8:9]
	s_cbranch_vccnz .LBB40_155
; %bb.154:
	v_trunc_f64_e32 v[0:1], v[0:1]
	s_movk_i32 s8, 0xffe0
	v_ldexp_f64 v[2:3], v[0:1], s8
	s_mov_b32 s8, 0
	s_mov_b32 s9, 0xc1f00000
	v_floor_f64_e32 v[2:3], v[2:3]
	v_fma_f64 v[0:1], v[2:3], s[8:9], v[0:1]
	v_cvt_u32_f64_e32 v0, v[0:1]
	global_store_byte v[4:5], v0, off
.LBB40_155:
.LBB40_156:
	v_add_u32_e32 v11, 0x80, v11
	s_mov_b64 s[8:9], -1
	s_branch .LBB40_267
.LBB40_157:
	s_mov_b64 s[2:3], -1
                                        ; implicit-def: $vgpr3_vgpr4
.LBB40_158:
	s_mov_b64 s[8:9], 0
.LBB40_159:
	s_and_b64 vcc, exec, s[8:9]
	s_cbranch_vccz .LBB40_163
; %bb.160:
	s_cmp_eq_u32 s12, 29
	s_cbranch_scc0 .LBB40_162
; %bb.161:
	global_load_dwordx2 v[3:4], v[0:1], off
	s_mov_b64 s[0:1], -1
	s_mov_b64 s[2:3], 0
	s_mov_b64 s[8:9], 0
	s_waitcnt vmcnt(0)
	v_cvt_f64_u32_e32 v[4:5], v4
	v_cvt_f64_u32_e32 v[6:7], v3
	v_ldexp_f64 v[4:5], v[4:5], 32
	v_add_f64 v[3:4], v[4:5], v[6:7]
	s_branch .LBB40_164
.LBB40_162:
	s_mov_b64 s[2:3], -1
                                        ; implicit-def: $vgpr3_vgpr4
.LBB40_163:
	s_mov_b64 s[8:9], 0
.LBB40_164:
	s_and_b64 vcc, exec, s[8:9]
	s_cbranch_vccz .LBB40_184
; %bb.165:
	s_cmp_lt_i32 s12, 27
	s_cbranch_scc1 .LBB40_168
; %bb.166:
	s_cmp_gt_i32 s12, 27
	s_cbranch_scc0 .LBB40_169
; %bb.167:
	global_load_dword v3, v[0:1], off
	s_mov_b64 s[0:1], 0
	s_waitcnt vmcnt(0)
	v_cvt_f64_u32_e32 v[3:4], v3
	s_branch .LBB40_170
.LBB40_168:
	s_mov_b64 s[0:1], -1
                                        ; implicit-def: $vgpr3_vgpr4
	s_branch .LBB40_173
.LBB40_169:
	s_mov_b64 s[0:1], -1
                                        ; implicit-def: $vgpr3_vgpr4
.LBB40_170:
	s_andn2_b64 vcc, exec, s[0:1]
	s_cbranch_vccnz .LBB40_172
; %bb.171:
	global_load_ushort v3, v[0:1], off
	s_waitcnt vmcnt(0)
	v_cvt_f64_u32_e32 v[3:4], v3
.LBB40_172:
	s_mov_b64 s[0:1], 0
.LBB40_173:
	s_andn2_b64 vcc, exec, s[0:1]
	s_cbranch_vccnz .LBB40_183
; %bb.174:
	global_load_ubyte v5, v[0:1], off
	s_movk_i32 s0, 0x7f
	s_waitcnt vmcnt(0)
	v_cmp_lt_i16_e32 vcc, s0, v5
	s_mov_b64 s[0:1], 0
	s_and_saveexec_b64 s[8:9], vcc
	s_xor_b64 s[8:9], exec, s[8:9]
	s_cbranch_execz .LBB40_178
; %bb.175:
	s_movk_i32 s0, 0x80
	v_cmp_eq_u16_e32 vcc, s0, v5
	s_mov_b64 s[0:1], -1
	s_and_saveexec_b64 s[10:11], vcc
; %bb.176:
	s_xor_b64 s[0:1], exec, -1
; %bb.177:
	s_or_b64 exec, exec, s[10:11]
	s_and_b64 s[0:1], s[0:1], exec
.LBB40_178:
	s_or_saveexec_b64 s[8:9], s[8:9]
	v_bfrev_b32_e32 v3, 4
	v_mov_b32_e32 v4, 0x7ff80000
	s_xor_b64 exec, exec, s[8:9]
; %bb.179:
	v_cmp_ne_u16_e32 vcc, 0, v5
	v_mov_b32_e32 v3, 0
	s_andn2_b64 s[0:1], s[0:1], exec
	s_and_b64 s[10:11], vcc, exec
	v_mov_b32_e32 v4, 0
	s_or_b64 s[0:1], s[0:1], s[10:11]
; %bb.180:
	s_or_b64 exec, exec, s[8:9]
	s_and_saveexec_b64 s[8:9], s[0:1]
	s_cbranch_execz .LBB40_182
; %bb.181:
	v_and_b32_e32 v4, 0xffff, v5
	v_lshlrev_b32_e32 v3, 24, v5
	v_and_b32_e32 v5, 7, v4
	v_ffbh_u32_e32 v7, v5
	v_min_u32_e32 v7, 32, v7
	v_subrev_u32_e32 v8, 28, v7
	v_bfe_u32 v6, v4, 3, 4
	v_lshlrev_b32_e32 v4, v8, v4
	v_sub_u32_e32 v7, 29, v7
	v_and_b32_e32 v4, 7, v4
	v_cmp_eq_u32_e32 vcc, 0, v6
	v_cndmask_b32_e32 v6, v6, v7, vcc
	v_cndmask_b32_e32 v4, v5, v4, vcc
	v_mov_b32_e32 v5, 0x3b800000
	v_lshlrev_b32_e32 v4, 20, v4
	v_and_b32_e32 v3, 0x80000000, v3
	v_lshl_add_u32 v5, v6, 23, v5
	v_or3_b32 v3, v3, v5, v4
	v_cvt_f64_f32_e32 v[3:4], v3
.LBB40_182:
	s_or_b64 exec, exec, s[8:9]
.LBB40_183:
	s_mov_b64 s[0:1], -1
.LBB40_184:
	s_branch .LBB40_217
.LBB40_185:
	s_cmp_gt_i32 s12, 22
	s_cbranch_scc0 .LBB40_197
; %bb.186:
	s_cmp_lt_i32 s12, 24
	s_cbranch_scc1 .LBB40_198
; %bb.187:
	s_cmp_gt_i32 s12, 24
	s_cbranch_scc0 .LBB40_199
; %bb.188:
	global_load_ubyte v5, v[0:1], off
	s_movk_i32 s0, 0x7f
	s_waitcnt vmcnt(0)
	v_cmp_lt_i16_e32 vcc, s0, v5
	s_mov_b64 s[0:1], 0
	s_and_saveexec_b64 s[8:9], vcc
	s_xor_b64 s[8:9], exec, s[8:9]
	s_cbranch_execz .LBB40_192
; %bb.189:
	s_movk_i32 s0, 0x80
	v_cmp_eq_u16_e32 vcc, s0, v5
	s_mov_b64 s[0:1], -1
	s_and_saveexec_b64 s[10:11], vcc
; %bb.190:
	s_xor_b64 s[0:1], exec, -1
; %bb.191:
	s_or_b64 exec, exec, s[10:11]
	s_and_b64 s[0:1], s[0:1], exec
.LBB40_192:
	s_or_saveexec_b64 s[8:9], s[8:9]
	v_bfrev_b32_e32 v3, 4
	v_mov_b32_e32 v4, 0x7ff80000
	s_xor_b64 exec, exec, s[8:9]
; %bb.193:
	v_cmp_ne_u16_e32 vcc, 0, v5
	v_mov_b32_e32 v3, 0
	s_andn2_b64 s[0:1], s[0:1], exec
	s_and_b64 s[10:11], vcc, exec
	v_mov_b32_e32 v4, 0
	s_or_b64 s[0:1], s[0:1], s[10:11]
; %bb.194:
	s_or_b64 exec, exec, s[8:9]
	s_and_saveexec_b64 s[8:9], s[0:1]
	s_cbranch_execz .LBB40_196
; %bb.195:
	v_and_b32_e32 v4, 0xffff, v5
	v_lshlrev_b32_e32 v3, 24, v5
	v_and_b32_e32 v5, 3, v4
	v_ffbh_u32_e32 v7, v5
	v_min_u32_e32 v7, 32, v7
	v_subrev_u32_e32 v8, 29, v7
	v_bfe_u32 v6, v4, 2, 5
	v_lshlrev_b32_e32 v4, v8, v4
	v_sub_u32_e32 v7, 30, v7
	v_and_b32_e32 v4, 3, v4
	v_cmp_eq_u32_e32 vcc, 0, v6
	v_cndmask_b32_e32 v6, v6, v7, vcc
	v_cndmask_b32_e32 v4, v5, v4, vcc
	v_mov_b32_e32 v5, 0x37800000
	v_lshlrev_b32_e32 v4, 21, v4
	v_and_b32_e32 v3, 0x80000000, v3
	v_lshl_add_u32 v5, v6, 23, v5
	v_or3_b32 v3, v3, v5, v4
	v_cvt_f64_f32_e32 v[3:4], v3
.LBB40_196:
	s_or_b64 exec, exec, s[8:9]
	s_mov_b64 s[0:1], 0
	s_branch .LBB40_200
.LBB40_197:
	s_mov_b64 s[8:9], -1
                                        ; implicit-def: $vgpr3_vgpr4
	s_branch .LBB40_206
.LBB40_198:
	s_mov_b64 s[0:1], -1
                                        ; implicit-def: $vgpr3_vgpr4
	s_branch .LBB40_203
.LBB40_199:
	s_mov_b64 s[0:1], -1
                                        ; implicit-def: $vgpr3_vgpr4
.LBB40_200:
	s_and_b64 vcc, exec, s[0:1]
	s_cbranch_vccz .LBB40_202
; %bb.201:
	global_load_ubyte v3, v[0:1], off
	s_mov_b32 s0, 0x7f800000
	s_waitcnt vmcnt(0)
	v_lshlrev_b32_e32 v3, 24, v3
	v_and_b32_e32 v4, 0x7f000000, v3
	v_ffbh_u32_e32 v5, v4
	v_min_u32_e32 v5, 32, v5
	v_sub_u32_e64 v5, v5, 4 clamp
	v_lshlrev_b32_e32 v7, v5, v4
	v_lshlrev_b32_e32 v5, 23, v5
	v_lshrrev_b32_e32 v7, 4, v7
	v_add_u32_e32 v6, 0x1000000, v4
	v_sub_u32_e32 v5, v7, v5
	v_ashrrev_i32_e32 v6, 8, v6
	v_add_u32_e32 v5, 0x3c000000, v5
	v_and_or_b32 v5, v6, s0, v5
	v_cmp_ne_u32_e32 vcc, 0, v4
	v_cndmask_b32_e32 v4, 0, v5, vcc
	s_brev_b32 s0, 1
	v_and_or_b32 v3, v3, s0, v4
	v_cvt_f64_f32_e32 v[3:4], v3
.LBB40_202:
	s_mov_b64 s[0:1], 0
.LBB40_203:
	s_andn2_b64 vcc, exec, s[0:1]
	s_cbranch_vccnz .LBB40_205
; %bb.204:
	global_load_ubyte v3, v[0:1], off
	s_movk_i32 s0, 0x7f00
	s_brev_b32 s1, 16
	s_waitcnt vmcnt(0)
	v_lshlrev_b16_e32 v4, 8, v3
	v_lshlrev_b32_e32 v3, 25, v3
	v_lshrrev_b32_e32 v5, 4, v3
	v_and_or_b32 v6, v4, s0, 0.5
	v_or_b32_e32 v5, 0x70000000, v5
	v_add_f32_e32 v6, -0.5, v6
	v_mul_f32_e32 v5, 0x7800000, v5
	v_cmp_gt_u32_e32 vcc, s1, v3
	v_bfe_i32 v4, v4, 0, 16
	v_cndmask_b32_e32 v3, v5, v6, vcc
	s_brev_b32 s0, 1
	v_and_or_b32 v3, v4, s0, v3
	v_cvt_f64_f32_e32 v[3:4], v3
.LBB40_205:
	s_mov_b64 s[8:9], 0
	s_mov_b64 s[0:1], -1
.LBB40_206:
	s_andn2_b64 vcc, exec, s[8:9]
	s_cbranch_vccnz .LBB40_217
; %bb.207:
	s_cmp_gt_i32 s12, 14
	s_cbranch_scc0 .LBB40_210
; %bb.208:
	s_cmp_eq_u32 s12, 15
	s_cbranch_scc0 .LBB40_211
; %bb.209:
	global_load_ushort v3, v[0:1], off
	s_mov_b64 s[0:1], -1
	s_mov_b64 s[2:3], 0
	s_waitcnt vmcnt(0)
	v_lshlrev_b32_e32 v3, 16, v3
	v_cvt_f64_f32_e32 v[3:4], v3
	s_branch .LBB40_212
.LBB40_210:
	s_mov_b64 s[8:9], -1
                                        ; implicit-def: $vgpr3_vgpr4
	s_branch .LBB40_213
.LBB40_211:
	s_mov_b64 s[2:3], -1
                                        ; implicit-def: $vgpr3_vgpr4
.LBB40_212:
	s_mov_b64 s[8:9], 0
.LBB40_213:
	s_and_b64 vcc, exec, s[8:9]
	s_cbranch_vccz .LBB40_217
; %bb.214:
	s_cmp_eq_u32 s12, 11
	s_cbranch_scc0 .LBB40_216
; %bb.215:
	global_load_ubyte v4, v[0:1], off
	v_mov_b32_e32 v5, 0x3ff00000
	v_mov_b32_e32 v3, 0
	s_mov_b64 s[0:1], -1
	s_mov_b64 s[2:3], 0
	s_waitcnt vmcnt(0)
	v_cmp_ne_u16_e32 vcc, 0, v4
	v_cndmask_b32_e32 v4, 0, v5, vcc
	s_branch .LBB40_217
.LBB40_216:
	s_mov_b64 s[2:3], -1
                                        ; implicit-def: $vgpr3_vgpr4
.LBB40_217:
	s_branch .LBB40_24
.LBB40_218:
	s_cmp_lt_i32 s12, 5
	s_cbranch_scc1 .LBB40_223
; %bb.219:
	s_cmp_lt_i32 s12, 8
	s_cbranch_scc1 .LBB40_224
; %bb.220:
	;; [unrolled: 3-line block ×3, first 2 shown]
	s_cmp_gt_i32 s12, 9
	s_cbranch_scc0 .LBB40_226
; %bb.222:
	global_load_dwordx2 v[3:4], v[0:1], off
	s_mov_b64 s[0:1], 0
	s_branch .LBB40_227
.LBB40_223:
                                        ; implicit-def: $vgpr3_vgpr4
	s_branch .LBB40_245
.LBB40_224:
	s_mov_b64 s[0:1], -1
                                        ; implicit-def: $vgpr3_vgpr4
	s_branch .LBB40_233
.LBB40_225:
	s_mov_b64 s[0:1], -1
                                        ; implicit-def: $vgpr3_vgpr4
	s_branch .LBB40_230
.LBB40_226:
	s_mov_b64 s[0:1], -1
                                        ; implicit-def: $vgpr3_vgpr4
.LBB40_227:
	s_andn2_b64 vcc, exec, s[0:1]
	s_cbranch_vccnz .LBB40_229
; %bb.228:
	global_load_dword v3, v[0:1], off
	s_waitcnt vmcnt(0)
	v_cvt_f64_f32_e32 v[3:4], v3
.LBB40_229:
	s_mov_b64 s[0:1], 0
.LBB40_230:
	s_andn2_b64 vcc, exec, s[0:1]
	s_cbranch_vccnz .LBB40_232
; %bb.231:
	global_load_dword v3, v[0:1], off
	s_waitcnt vmcnt(0)
	v_cvt_f32_f16_e32 v3, v3
	v_cvt_f64_f32_e32 v[3:4], v3
.LBB40_232:
	s_mov_b64 s[0:1], 0
.LBB40_233:
	s_andn2_b64 vcc, exec, s[0:1]
	s_cbranch_vccnz .LBB40_244
; %bb.234:
	s_cmp_lt_i32 s12, 6
	s_cbranch_scc1 .LBB40_237
; %bb.235:
	s_cmp_gt_i32 s12, 6
	s_cbranch_scc0 .LBB40_238
; %bb.236:
	global_load_dwordx2 v[3:4], v[0:1], off
	s_mov_b64 s[0:1], 0
	s_branch .LBB40_239
.LBB40_237:
	s_mov_b64 s[0:1], -1
                                        ; implicit-def: $vgpr3_vgpr4
	s_branch .LBB40_242
.LBB40_238:
	s_mov_b64 s[0:1], -1
                                        ; implicit-def: $vgpr3_vgpr4
.LBB40_239:
	s_andn2_b64 vcc, exec, s[0:1]
	s_cbranch_vccnz .LBB40_241
; %bb.240:
	global_load_dword v3, v[0:1], off
	s_waitcnt vmcnt(0)
	v_cvt_f64_f32_e32 v[3:4], v3
.LBB40_241:
	s_mov_b64 s[0:1], 0
.LBB40_242:
	s_andn2_b64 vcc, exec, s[0:1]
	s_cbranch_vccnz .LBB40_244
; %bb.243:
	global_load_ushort v3, v[0:1], off
	s_waitcnt vmcnt(0)
	v_cvt_f32_f16_e32 v3, v3
	v_cvt_f64_f32_e32 v[3:4], v3
.LBB40_244:
	s_cbranch_execnz .LBB40_264
.LBB40_245:
	s_cmp_lt_i32 s12, 2
	s_cbranch_scc1 .LBB40_249
; %bb.246:
	s_cmp_lt_i32 s12, 3
	s_cbranch_scc1 .LBB40_250
; %bb.247:
	s_cmp_gt_i32 s12, 3
	s_cbranch_scc0 .LBB40_251
; %bb.248:
	global_load_dwordx2 v[3:4], v[0:1], off
	s_mov_b64 s[0:1], 0
	s_waitcnt vmcnt(0)
	v_cvt_f64_i32_e32 v[4:5], v4
	v_cvt_f64_u32_e32 v[6:7], v3
	v_ldexp_f64 v[4:5], v[4:5], 32
	v_add_f64 v[3:4], v[4:5], v[6:7]
	s_branch .LBB40_252
.LBB40_249:
	s_mov_b64 s[0:1], -1
                                        ; implicit-def: $vgpr3_vgpr4
	s_branch .LBB40_258
.LBB40_250:
	s_mov_b64 s[0:1], -1
                                        ; implicit-def: $vgpr3_vgpr4
	s_branch .LBB40_255
.LBB40_251:
	s_mov_b64 s[0:1], -1
                                        ; implicit-def: $vgpr3_vgpr4
.LBB40_252:
	s_andn2_b64 vcc, exec, s[0:1]
	s_cbranch_vccnz .LBB40_254
; %bb.253:
	global_load_dword v3, v[0:1], off
	s_waitcnt vmcnt(0)
	v_cvt_f64_i32_e32 v[3:4], v3
.LBB40_254:
	s_mov_b64 s[0:1], 0
.LBB40_255:
	s_andn2_b64 vcc, exec, s[0:1]
	s_cbranch_vccnz .LBB40_257
; %bb.256:
	global_load_sshort v3, v[0:1], off
	s_waitcnt vmcnt(0)
	v_cvt_f64_i32_e32 v[3:4], v3
.LBB40_257:
	s_mov_b64 s[0:1], 0
.LBB40_258:
	s_andn2_b64 vcc, exec, s[0:1]
	s_cbranch_vccnz .LBB40_264
; %bb.259:
	s_cmp_gt_i32 s12, 0
	s_cbranch_scc0 .LBB40_261
; %bb.260:
	global_load_sbyte v3, v[0:1], off
	s_mov_b64 s[0:1], 0
	s_waitcnt vmcnt(0)
	v_cvt_f64_i32_e32 v[3:4], v3
	s_branch .LBB40_262
.LBB40_261:
	s_mov_b64 s[0:1], -1
                                        ; implicit-def: $vgpr3_vgpr4
.LBB40_262:
	s_andn2_b64 vcc, exec, s[0:1]
	s_cbranch_vccnz .LBB40_264
; %bb.263:
	global_load_ubyte v0, v[0:1], off
	s_waitcnt vmcnt(0)
	v_cvt_f64_u32_e32 v[3:4], v0
.LBB40_264:
	s_branch .LBB40_25
.LBB40_265:
	s_mov_b64 s[0:1], 0
.LBB40_266:
	s_mov_b64 s[8:9], 0
                                        ; implicit-def: $vgpr11
.LBB40_267:
	s_and_b64 s[52:53], s[0:1], exec
	s_and_b64 s[54:55], s[2:3], exec
	s_orn2_b64 s[2:3], s[8:9], exec
.LBB40_268:
	s_or_b64 exec, exec, s[56:57]
	s_mov_b64 s[10:11], 0
	s_mov_b64 s[0:1], 0
                                        ; implicit-def: $vgpr0_vgpr1
                                        ; implicit-def: $vgpr2
                                        ; implicit-def: $vgpr6_vgpr7
	s_and_saveexec_b64 s[56:57], s[2:3]
	s_cbranch_execz .LBB40_275
; %bb.269:
	v_cmp_gt_i32_e32 vcc, s70, v11
	s_mov_b64 s[0:1], -1
	s_mov_b64 s[58:59], s[54:55]
	s_mov_b64 s[60:61], s[52:53]
	s_and_saveexec_b64 s[62:63], vcc
	s_cbranch_execz .LBB40_546
; %bb.270:
	s_andn2_b64 vcc, exec, s[40:41]
	s_cbranch_vccnz .LBB40_278
; %bb.271:
	s_andn2_b64 vcc, exec, s[50:51]
	s_cbranch_vccnz .LBB40_279
; %bb.272:
	s_add_i32 s65, s75, 1
	s_cmp_eq_u32 s72, 2
	s_cbranch_scc1 .LBB40_280
; %bb.273:
	s_and_b32 s64, s65, 28
	v_mov_b32_e32 v0, 0
	s_mov_b32 s66, 0
	s_mov_b64 s[58:59], s[34:35]
	s_mov_b64 s[60:61], s[48:49]
	v_mov_b32_e32 v2, 0
	v_mov_b32_e32 v1, v11
.LBB40_274:                             ; =>This Inner Loop Header: Depth=1
	s_load_dwordx8 s[16:23], s[58:59], 0x4
	s_load_dwordx4 s[0:3], s[58:59], 0x24
	s_load_dwordx8 s[8:15], s[60:61], 0x0
	s_add_u32 s58, s58, 48
	s_addc_u32 s59, s59, 0
	s_waitcnt vmcnt(0) lgkmcnt(0)
	v_mul_hi_u32 v3, s17, v1
	s_add_i32 s66, s66, 4
	s_add_u32 s60, s60, 32
	s_addc_u32 s61, s61, 0
	v_add_u32_e32 v3, v1, v3
	v_lshrrev_b32_e32 v3, s18, v3
	v_mul_lo_u32 v4, v3, s16
	v_mul_hi_u32 v5, s20, v3
	s_cmp_eq_u32 s64, s66
	v_sub_u32_e32 v1, v1, v4
	v_add_u32_e32 v4, v3, v5
	v_mul_lo_u32 v5, v1, s8
	v_mul_lo_u32 v6, v1, s9
	v_lshrrev_b32_e32 v1, s21, v4
	v_mul_lo_u32 v4, v1, s19
	v_mul_hi_u32 v7, s23, v1
	v_sub_u32_e32 v3, v3, v4
	v_add_u32_e32 v4, v1, v7
	v_lshrrev_b32_e32 v4, s0, v4
	v_mul_hi_u32 v8, s2, v4
	v_mul_lo_u32 v9, v4, s22
	v_mul_lo_u32 v7, v3, s10
	;; [unrolled: 1-line block ×3, first 2 shown]
	v_sub_u32_e32 v9, v1, v9
	v_add_u32_e32 v1, v4, v8
	v_lshrrev_b32_e32 v1, s3, v1
	v_mul_lo_u32 v8, v1, s1
	v_mul_lo_u32 v10, v9, s12
	;; [unrolled: 1-line block ×3, first 2 shown]
	v_add3_u32 v2, v5, v2, v7
	v_sub_u32_e32 v4, v4, v8
	v_mul_lo_u32 v8, v4, s14
	v_mul_lo_u32 v4, v4, s15
	v_add3_u32 v0, v6, v0, v3
	v_add3_u32 v2, v10, v2, v8
	v_add3_u32 v0, v9, v0, v4
	s_cbranch_scc0 .LBB40_274
	s_branch .LBB40_281
.LBB40_275:
	s_or_b64 exec, exec, s[56:57]
	s_mov_b64 s[2:3], 0
	s_and_saveexec_b64 s[8:9], s[54:55]
	s_cbranch_execnz .LBB40_924
.LBB40_276:
	s_or_b64 exec, exec, s[8:9]
	s_and_saveexec_b64 s[8:9], s[60:61]
	s_xor_b64 s[8:9], exec, s[8:9]
	s_cbranch_execz .LBB40_925
.LBB40_277:
	global_load_ubyte v3, v[0:1], off
	s_waitcnt vmcnt(1)
	v_mov_b32_e32 v4, 0x3ff00000
	v_mov_b32_e32 v6, 0
	s_or_b64 s[0:1], s[0:1], exec
	s_waitcnt vmcnt(0)
	v_cmp_ne_u16_e32 vcc, 0, v3
	v_cndmask_b32_e32 v7, 0, v4, vcc
	s_or_b64 exec, exec, s[8:9]
	s_and_saveexec_b64 s[8:9], s[10:11]
	s_cbranch_execz .LBB40_971
	s_branch .LBB40_926
.LBB40_278:
                                        ; implicit-def: $vgpr2
                                        ; implicit-def: $vgpr0
	s_andn2_b64 vcc, exec, s[0:1]
	s_cbranch_vccz .LBB40_285
	s_branch .LBB40_287
.LBB40_279:
	v_mov_b32_e32 v2, 0
	v_mov_b32_e32 v0, 0
	s_branch .LBB40_284
.LBB40_280:
	s_mov_b32 s64, 0
	v_mov_b32_e32 v2, 0
	v_mov_b32_e32 v0, 0
	;; [unrolled: 1-line block ×3, first 2 shown]
.LBB40_281:
	s_and_b32 s8, s65, 3
	s_cmp_eq_u32 s8, 0
	s_cbranch_scc1 .LBB40_284
; %bb.282:
	s_lshl_b32 s0, s64, 3
	s_add_u32 s0, s34, s0
	s_addc_u32 s1, s35, 0
	s_add_u32 s0, s0, 0xc4
	s_addc_u32 s1, s1, 0
	s_mul_i32 s2, s64, 12
	s_add_u32 s2, s34, s2
	s_addc_u32 s3, s35, 0
.LBB40_283:                             ; =>This Inner Loop Header: Depth=1
	s_load_dwordx2 s[10:11], s[2:3], 0x4
	s_load_dword s9, s[2:3], 0xc
	s_load_dwordx2 s[12:13], s[0:1], 0x0
	s_add_u32 s2, s2, 12
	s_addc_u32 s3, s3, 0
	s_waitcnt vmcnt(0) lgkmcnt(0)
	v_mul_hi_u32 v3, s11, v1
	s_add_u32 s0, s0, 8
	s_addc_u32 s1, s1, 0
	s_add_i32 s8, s8, -1
	v_add_u32_e32 v3, v1, v3
	v_lshrrev_b32_e32 v4, s9, v3
	v_mul_lo_u32 v3, v4, s10
	s_cmp_lg_u32 s8, 0
	v_sub_u32_e32 v1, v1, v3
	v_mad_u64_u32 v[2:3], s[10:11], v1, s12, v[2:3]
	v_mad_u64_u32 v[0:1], s[10:11], v1, s13, v[0:1]
	v_mov_b32_e32 v1, v4
	s_cbranch_scc1 .LBB40_283
.LBB40_284:
	s_cbranch_execnz .LBB40_287
.LBB40_285:
	s_waitcnt lgkmcnt(0)
	v_mul_hi_u32 v0, s37, v11
	s_andn2_b64 vcc, exec, s[46:47]
	v_add_u32_e32 v0, v11, v0
	v_lshrrev_b32_e32 v1, s38, v0
	v_mul_lo_u32 v0, v1, s36
	v_sub_u32_e32 v0, v11, v0
	v_mul_lo_u32 v2, v0, s28
	v_mul_lo_u32 v0, v0, s29
	s_cbranch_vccnz .LBB40_287
; %bb.286:
	s_waitcnt vmcnt(0)
	v_mul_hi_u32 v3, s44, v1
	v_add_u32_e32 v3, v1, v3
	v_lshrrev_b32_e32 v3, s45, v3
	v_mul_lo_u32 v3, v3, s39
	v_sub_u32_e32 v1, v1, v3
	v_mad_u64_u32 v[2:3], s[0:1], v1, s30, v[2:3]
	v_mad_u64_u32 v[0:1], s[0:1], v1, s31, v[0:1]
.LBB40_287:
	s_waitcnt lgkmcnt(0)
	v_mov_b32_e32 v1, s27
	s_and_b32 s12, 0xffff, s74
	v_add_co_u32_e32 v0, vcc, s26, v0
	s_cmp_lt_i32 s12, 11
	v_addc_co_u32_e32 v1, vcc, 0, v1, vcc
	s_cbranch_scc1 .LBB40_294
; %bb.288:
	s_cmp_gt_i32 s12, 25
	s_cbranch_scc0 .LBB40_305
; %bb.289:
	s_cmp_gt_i32 s12, 28
	s_cbranch_scc0 .LBB40_307
	;; [unrolled: 3-line block ×4, first 2 shown]
; %bb.292:
	s_cmp_eq_u32 s12, 46
	s_mov_b64 s[8:9], 0
	s_cbranch_scc0 .LBB40_317
; %bb.293:
	global_load_dword v3, v[0:1], off
	s_mov_b64 s[0:1], -1
	s_mov_b64 s[2:3], 0
	s_waitcnt vmcnt(0)
	v_lshlrev_b32_e32 v3, 16, v3
	v_cvt_f64_f32_e32 v[3:4], v3
	s_branch .LBB40_318
.LBB40_294:
	s_mov_b64 s[0:1], 0
                                        ; implicit-def: $vgpr3_vgpr4
	s_mov_b64 s[2:3], s[54:55]
	s_cbranch_execnz .LBB40_495
.LBB40_295:
	s_andn2_b64 vcc, exec, s[0:1]
	s_cbranch_vccnz .LBB40_543
.LBB40_296:
	s_waitcnt vmcnt(0)
	v_fma_f64 v[5:6], |v[3:4]|, -0.5, 0.5
	v_mul_f64 v[0:1], v[3:4], v[3:4]
	v_cmp_ge_f64_e64 vcc, |v[3:4]|, 0.5
	s_mov_b32 s0, 0x9fea6a70
	v_mov_b32_e32 v7, 0x78a05eaf
	v_mov_b32_e32 v8, 0xbf90a5a3
	s_mov_b32 s1, 0x3fa05985
	v_cndmask_b32_e32 v1, v1, v6, vcc
	v_cndmask_b32_e32 v0, v0, v5, vcc
	v_fma_f64 v[7:8], v[0:1], s[0:1], v[7:8]
	s_mov_b32 s0, 0x37024d6a
	s_mov_b32 s1, 0x3f940521
	v_fma_f64 v[7:8], v[0:1], v[7:8], s[0:1]
	s_mov_b32 s0, 0x98a70509
	s_mov_b32 s1, 0x3f7ab3a0
	;; [unrolled: 3-line block ×10, first 2 shown]
	v_fma_f64 v[7:8], v[0:1], v[7:8], s[0:1]
	v_mul_f64 v[7:8], v[0:1], v[7:8]
	v_fma_f64 v[0:1], |v[3:4]|, v[7:8], |v[3:4]|
	s_and_saveexec_b64 s[0:1], vcc
	s_cbranch_execz .LBB40_298
; %bb.297:
	v_rsq_f64_e32 v[0:1], v[5:6]
	v_cmp_eq_f64_e32 vcc, 0, v[5:6]
	s_mov_b32 s8, 0x54442d18
	s_mov_b32 s9, 0x3fe921fb
	v_mul_f64 v[9:10], v[5:6], v[0:1]
	v_mul_f64 v[0:1], v[0:1], 0.5
	v_fma_f64 v[12:13], -v[0:1], v[9:10], 0.5
	v_fma_f64 v[9:10], v[9:10], v[12:13], v[9:10]
	v_fma_f64 v[0:1], v[0:1], v[12:13], v[0:1]
	v_fma_f64 v[12:13], -v[9:10], v[9:10], v[5:6]
	v_fma_f64 v[0:1], v[12:13], v[0:1], v[9:10]
	v_cndmask_b32_e32 v1, v1, v6, vcc
	v_cndmask_b32_e32 v0, v0, v5, vcc
	v_add_f64 v[9:10], v[0:1], v[0:1]
	v_mul_f64 v[12:13], v[0:1], v[0:1]
	v_rcp_f64_e32 v[14:15], v[9:10]
	v_add_f64 v[16:17], v[5:6], -v[12:13]
	v_fma_f64 v[20:21], v[0:1], v[0:1], -v[12:13]
	v_add_f64 v[5:6], v[5:6], -v[16:17]
	v_fma_f64 v[18:19], -v[9:10], v[14:15], 1.0
	v_add_f64 v[5:6], v[5:6], -v[12:13]
	v_fma_f64 v[12:13], v[18:19], v[14:15], v[14:15]
	v_add_f64 v[5:6], v[5:6], -v[20:21]
	v_fma_f64 v[14:15], -v[9:10], v[12:13], 1.0
	v_add_f64 v[5:6], v[16:17], v[5:6]
	v_fma_f64 v[12:13], v[14:15], v[12:13], v[12:13]
	v_mul_f64 v[14:15], v[5:6], v[12:13]
	v_fma_f64 v[5:6], -v[9:10], v[14:15], v[5:6]
	v_fma_f64 v[5:6], v[5:6], v[12:13], v[14:15]
	v_cndmask_b32_e64 v6, v6, 0, vcc
	v_cndmask_b32_e64 v5, v5, 0, vcc
	v_add_f64 v[9:10], v[0:1], v[5:6]
	v_cmp_neq_f64_e64 vcc, |v[3:4]|, 1.0
	v_mov_b32_e32 v3, 0x54442d18
	v_add_f64 v[0:1], v[9:10], -v[0:1]
	v_mul_f64 v[12:13], v[7:8], v[9:10]
	v_add_f64 v[0:1], v[5:6], -v[0:1]
	v_fma_f64 v[5:6], v[9:10], v[7:8], -v[12:13]
	v_fma_f64 v[5:6], v[0:1], v[7:8], v[5:6]
	v_add_f64 v[7:8], v[12:13], v[5:6]
	v_add_f64 v[14:15], v[9:10], v[7:8]
	v_add_f64 v[12:13], v[7:8], -v[12:13]
	v_add_f64 v[9:10], v[14:15], -v[9:10]
	;; [unrolled: 1-line block ×4, first 2 shown]
	v_add_f64 v[0:1], v[0:1], v[5:6]
	v_add_f64 v[0:1], v[0:1], v[7:8]
	;; [unrolled: 1-line block ×3, first 2 shown]
	v_add_f64 v[7:8], -v[5:6], s[8:9]
	v_add_f64 v[12:13], v[5:6], -v[14:15]
	v_add_f64 v[9:10], -v[7:8], s[8:9]
	s_mov_b32 s8, 0x33145c07
	s_mov_b32 s9, 0x3c81a626
	v_add_f64 v[0:1], v[12:13], -v[0:1]
	v_add_f64 v[5:6], v[9:10], -v[5:6]
	v_add_f64 v[5:6], v[5:6], s[8:9]
	v_add_f64 v[0:1], v[0:1], v[5:6]
	v_mov_b32_e32 v5, 0x3ff921fb
	v_add_f64 v[0:1], v[7:8], v[0:1]
	v_add_f64 v[0:1], v[0:1], v[0:1]
	v_cndmask_b32_e32 v1, v5, v1, vcc
	v_cndmask_b32_e32 v0, v3, v0, vcc
.LBB40_298:
	s_or_b64 exec, exec, s[0:1]
	s_brev_b32 s0, -2
	v_bfi_b32 v1, s0, v1, v4
	v_mov_b32_e32 v3, s25
	s_and_b32 s14, s73, 0xff
	v_add_co_u32_e32 v4, vcc, s24, v2
	s_cmp_lt_i32 s14, 11
	v_addc_co_u32_e32 v5, vcc, 0, v3, vcc
	s_cbranch_scc1 .LBB40_306
; %bb.299:
	s_and_b32 s15, 0xffff, s14
	s_cmp_gt_i32 s15, 25
	s_cbranch_scc0 .LBB40_308
; %bb.300:
	s_cmp_gt_i32 s15, 28
	s_cbranch_scc0 .LBB40_310
; %bb.301:
	;; [unrolled: 3-line block ×4, first 2 shown]
	s_mov_b64 s[10:11], 0
	s_mov_b64 s[0:1], -1
	s_cmp_eq_u32 s15, 46
	s_mov_b64 s[8:9], 0
	s_cbranch_scc0 .LBB40_322
; %bb.304:
	v_cvt_f32_f64_e32 v2, v[0:1]
	s_movk_i32 s0, 0x7fff
	v_mov_b32_e32 v3, 0x7fc0
	s_mov_b64 s[8:9], -1
	v_bfe_u32 v6, v2, 16, 1
	v_cmp_o_f32_e32 vcc, v2, v2
	v_add3_u32 v2, v2, v6, s0
	v_cndmask_b32_sdwa v2, v3, v2, vcc dst_sel:DWORD dst_unused:UNUSED_PAD src0_sel:DWORD src1_sel:WORD_1
	global_store_dword v[4:5], v2, off
	s_mov_b64 s[0:1], 0
	s_branch .LBB40_322
.LBB40_305:
	s_mov_b64 s[8:9], -1
	s_mov_b64 s[0:1], 0
	s_mov_b64 s[2:3], s[54:55]
                                        ; implicit-def: $vgpr3_vgpr4
	s_branch .LBB40_461
.LBB40_306:
	s_mov_b64 s[10:11], -1
	s_mov_b64 s[8:9], 0
	s_mov_b64 s[0:1], s[52:53]
	s_branch .LBB40_391
.LBB40_307:
	s_mov_b64 s[8:9], -1
	s_mov_b64 s[0:1], 0
	s_mov_b64 s[2:3], s[54:55]
                                        ; implicit-def: $vgpr3_vgpr4
	s_branch .LBB40_440
.LBB40_308:
	s_mov_b64 s[10:11], -1
	s_mov_b64 s[8:9], 0
	s_mov_b64 s[0:1], s[52:53]
	s_branch .LBB40_349
.LBB40_309:
	s_mov_b64 s[8:9], -1
	s_mov_b64 s[0:1], 0
	s_mov_b64 s[2:3], s[54:55]
                                        ; implicit-def: $vgpr3_vgpr4
	s_branch .LBB40_435
.LBB40_310:
	s_mov_b64 s[10:11], -1
	s_mov_b64 s[8:9], 0
	s_mov_b64 s[0:1], s[52:53]
	s_branch .LBB40_332
.LBB40_311:
	s_andn2_saveexec_b64 s[12:13], s[12:13]
	s_cbranch_execz .LBB40_70
.LBB40_312:
	s_mov_b32 s16, 0x46000000
	v_add_f32_e64 v3, |v2|, s16
	v_and_b32_e32 v3, 0xff, v3
	v_cmp_ne_u32_e32 vcc, 0, v3
	s_andn2_b64 s[10:11], s[10:11], exec
	s_and_b64 s[16:17], vcc, exec
	s_or_b64 s[10:11], s[10:11], s[16:17]
	s_or_b64 exec, exec, s[12:13]
	v_mov_b32_e32 v6, 0
	s_and_saveexec_b64 s[12:13], s[10:11]
	s_cbranch_execnz .LBB40_71
	s_branch .LBB40_72
.LBB40_313:
	s_mov_b64 s[8:9], -1
	s_mov_b64 s[0:1], 0
	s_mov_b64 s[2:3], s[54:55]
                                        ; implicit-def: $vgpr3_vgpr4
	s_branch .LBB40_318
.LBB40_314:
	s_mov_b64 s[10:11], -1
	s_mov_b64 s[8:9], 0
	s_mov_b64 s[0:1], s[52:53]
	s_branch .LBB40_328
.LBB40_315:
	s_andn2_saveexec_b64 s[12:13], s[12:13]
	s_cbranch_execz .LBB40_83
.LBB40_316:
	s_mov_b32 s16, 0x42800000
	v_add_f32_e64 v3, |v2|, s16
	v_and_b32_e32 v3, 0xff, v3
	v_cmp_ne_u32_e32 vcc, 0, v3
	s_andn2_b64 s[10:11], s[10:11], exec
	s_and_b64 s[16:17], vcc, exec
	s_or_b64 s[10:11], s[10:11], s[16:17]
	s_or_b64 exec, exec, s[12:13]
	v_mov_b32_e32 v6, 0
	s_and_saveexec_b64 s[12:13], s[10:11]
	s_cbranch_execnz .LBB40_84
	s_branch .LBB40_85
.LBB40_317:
	s_mov_b64 s[2:3], -1
                                        ; implicit-def: $vgpr3_vgpr4
	s_mov_b64 s[0:1], 0
.LBB40_318:
	s_and_b64 vcc, exec, s[8:9]
	s_cbranch_vccz .LBB40_434
; %bb.319:
	s_cmp_eq_u32 s12, 44
	s_cbranch_scc0 .LBB40_433
; %bb.320:
	global_load_ubyte v5, v[0:1], off
	s_movk_i32 s2, 0xff
	v_bfrev_b32_e32 v6, 4
	v_mov_b32_e32 v7, 0x7ff80000
	v_bfrev_b32_e32 v8, 28
	s_mov_b64 s[0:1], -1
	s_waitcnt vmcnt(0)
	v_lshlrev_b32_e32 v3, 23, v5
	v_cvt_f64_f32_e32 v[3:4], v3
	v_cmp_ne_u32_e32 vcc, s2, v5
	s_mov_b64 s[2:3], 0
	v_cndmask_b32_e32 v3, v6, v3, vcc
	v_cndmask_b32_e32 v4, v7, v4, vcc
	v_cmp_ne_u32_e32 vcc, 0, v5
	v_cndmask_b32_e32 v4, v8, v4, vcc
	v_cndmask_b32_e32 v3, 0, v3, vcc
	s_branch .LBB40_434
.LBB40_321:
	s_mov_b64 s[10:11], -1
	s_mov_b64 s[8:9], 0
	s_mov_b64 s[0:1], s[52:53]
.LBB40_322:
	s_and_b64 vcc, exec, s[10:11]
	s_cbranch_vccz .LBB40_327
; %bb.323:
	s_cmp_eq_u32 s15, 44
	s_mov_b64 s[0:1], -1
	s_cbranch_scc0 .LBB40_327
; %bb.324:
	v_cvt_f32_f64_e32 v2, v[0:1]
	s_movk_i32 s0, 0xff
	v_mov_b32_e32 v6, 0xff
	v_bfe_u32 v3, v2, 23, 8
	v_cmp_ne_u32_e32 vcc, s0, v3
	s_and_saveexec_b64 s[8:9], vcc
; %bb.325:
	s_mov_b32 s0, 0x3fffff
	v_lshrrev_b32_e32 v6, 23, v2
	v_and_b32_e32 v7, 0x400000, v2
	v_and_or_b32 v2, v2, s0, v3
	v_cmp_ne_u32_e32 vcc, 0, v7
	v_cmp_ne_u32_e64 s[0:1], 0, v2
	s_and_b64 s[0:1], vcc, s[0:1]
	v_cndmask_b32_e64 v2, 0, 1, s[0:1]
	v_add_u32_e32 v6, v6, v2
; %bb.326:
	s_or_b64 exec, exec, s[8:9]
	s_mov_b64 s[8:9], -1
	s_mov_b64 s[0:1], 0
	global_store_byte v[4:5], v6, off
.LBB40_327:
	s_mov_b64 s[10:11], 0
.LBB40_328:
	s_and_b64 vcc, exec, s[10:11]
	s_cbranch_vccz .LBB40_331
; %bb.329:
	s_cmp_eq_u32 s15, 29
	s_mov_b64 s[0:1], -1
	s_cbranch_scc0 .LBB40_331
; %bb.330:
	v_trunc_f64_e32 v[2:3], v[0:1]
	s_movk_i32 s0, 0xffe0
	s_mov_b64 s[8:9], -1
	s_mov_b64 s[10:11], 0
	v_ldexp_f64 v[6:7], v[2:3], s0
	s_mov_b32 s0, 0
	s_mov_b32 s1, 0xc1f00000
	v_floor_f64_e32 v[6:7], v[6:7]
	v_fma_f64 v[2:3], v[6:7], s[0:1], v[2:3]
	v_cvt_u32_f64_e32 v7, v[6:7]
	s_mov_b64 s[0:1], 0
	v_cvt_u32_f64_e32 v6, v[2:3]
	global_store_dwordx2 v[4:5], v[6:7], off
	s_branch .LBB40_332
.LBB40_331:
	s_mov_b64 s[10:11], 0
.LBB40_332:
	s_and_b64 vcc, exec, s[10:11]
	s_cbranch_vccz .LBB40_348
; %bb.333:
	s_cmp_lt_i32 s15, 27
	s_mov_b64 s[8:9], -1
	s_cbranch_scc1 .LBB40_339
; %bb.334:
	v_cvt_u32_f64_e32 v2, v[0:1]
	s_cmp_gt_i32 s15, 27
	s_cbranch_scc0 .LBB40_336
; %bb.335:
	s_mov_b64 s[8:9], 0
	global_store_dword v[4:5], v2, off
.LBB40_336:
	s_andn2_b64 vcc, exec, s[8:9]
	s_cbranch_vccnz .LBB40_338
; %bb.337:
	global_store_short v[4:5], v2, off
.LBB40_338:
	s_mov_b64 s[8:9], 0
.LBB40_339:
	s_andn2_b64 vcc, exec, s[8:9]
	s_cbranch_vccnz .LBB40_347
; %bb.340:
	v_cvt_f32_f64_e32 v2, v[0:1]
	s_mov_b32 s8, 0x43800000
	v_mov_b32_e32 v6, 0x80
	v_and_b32_e32 v3, 0x7fffffff, v2
	v_cmp_gt_u32_e32 vcc, s8, v3
	s_and_saveexec_b64 s[8:9], vcc
	s_cbranch_execz .LBB40_346
; %bb.341:
	s_mov_b32 s10, 0x3bffffff
	v_cmp_lt_u32_e32 vcc, s10, v3
	s_mov_b64 s[10:11], 0
                                        ; implicit-def: $vgpr3
	s_and_saveexec_b64 s[12:13], vcc
	s_xor_b64 s[12:13], exec, s[12:13]
	s_cbranch_execz .LBB40_574
; %bb.342:
	v_bfe_u32 v3, v2, 20, 1
	s_mov_b32 s16, 0x487ffff
	v_add3_u32 v3, v2, v3, s16
	s_mov_b64 s[10:11], exec
	v_lshrrev_b32_e32 v3, 20, v3
	s_andn2_saveexec_b64 s[12:13], s[12:13]
	s_cbranch_execnz .LBB40_575
.LBB40_343:
	s_or_b64 exec, exec, s[12:13]
	v_mov_b32_e32 v6, 0
	s_and_saveexec_b64 s[12:13], s[10:11]
.LBB40_344:
	v_lshrrev_b32_e32 v2, 24, v2
	s_movk_i32 s10, 0x80
	v_and_or_b32 v6, v2, s10, v3
.LBB40_345:
	s_or_b64 exec, exec, s[12:13]
.LBB40_346:
	s_or_b64 exec, exec, s[8:9]
	global_store_byte v[4:5], v6, off
.LBB40_347:
	s_mov_b64 s[8:9], -1
.LBB40_348:
	s_mov_b64 s[10:11], 0
.LBB40_349:
	s_and_b64 vcc, exec, s[10:11]
	s_cbranch_vccz .LBB40_390
; %bb.350:
	s_cmp_gt_i32 s15, 22
	s_mov_b64 s[10:11], -1
	s_cbranch_scc0 .LBB40_382
; %bb.351:
	s_cmp_lt_i32 s15, 24
	s_mov_b64 s[8:9], -1
	s_cbranch_scc1 .LBB40_371
; %bb.352:
	s_cmp_gt_i32 s15, 24
	s_cbranch_scc0 .LBB40_360
; %bb.353:
	v_cvt_f32_f64_e32 v2, v[0:1]
	s_mov_b32 s8, 0x47800000
	v_mov_b32_e32 v6, 0x80
	v_and_b32_e32 v3, 0x7fffffff, v2
	v_cmp_gt_u32_e32 vcc, s8, v3
	s_and_saveexec_b64 s[8:9], vcc
	s_cbranch_execz .LBB40_359
; %bb.354:
	s_mov_b32 s10, 0x37ffffff
	v_cmp_lt_u32_e32 vcc, s10, v3
	s_mov_b64 s[10:11], 0
                                        ; implicit-def: $vgpr3
	s_and_saveexec_b64 s[12:13], vcc
	s_xor_b64 s[12:13], exec, s[12:13]
	s_cbranch_execz .LBB40_577
; %bb.355:
	v_bfe_u32 v3, v2, 21, 1
	s_mov_b32 s16, 0x88fffff
	v_add3_u32 v3, v2, v3, s16
	s_mov_b64 s[10:11], exec
	v_lshrrev_b32_e32 v3, 21, v3
	s_andn2_saveexec_b64 s[12:13], s[12:13]
	s_cbranch_execnz .LBB40_578
.LBB40_356:
	s_or_b64 exec, exec, s[12:13]
	v_mov_b32_e32 v6, 0
	s_and_saveexec_b64 s[12:13], s[10:11]
.LBB40_357:
	v_lshrrev_b32_e32 v2, 24, v2
	s_movk_i32 s10, 0x80
	v_and_or_b32 v6, v2, s10, v3
.LBB40_358:
	s_or_b64 exec, exec, s[12:13]
.LBB40_359:
	s_or_b64 exec, exec, s[8:9]
	s_mov_b64 s[8:9], 0
	global_store_byte v[4:5], v6, off
.LBB40_360:
	s_and_b64 vcc, exec, s[8:9]
	s_cbranch_vccz .LBB40_370
; %bb.361:
	v_cvt_f32_f64_e32 v2, v[0:1]
	s_mov_b32 s8, 0x43f00000
                                        ; implicit-def: $vgpr3
	v_and_b32_e32 v6, 0x7fffffff, v2
	v_cmp_gt_u32_e32 vcc, s8, v6
	s_and_saveexec_b64 s[8:9], vcc
	s_xor_b64 s[8:9], exec, s[8:9]
	s_cbranch_execz .LBB40_367
; %bb.362:
	s_mov_b32 s10, 0x3c7fffff
	v_cmp_lt_u32_e32 vcc, s10, v6
                                        ; implicit-def: $vgpr3
	s_and_saveexec_b64 s[10:11], vcc
	s_xor_b64 s[10:11], exec, s[10:11]
; %bb.363:
	v_bfe_u32 v3, v2, 20, 1
	s_mov_b32 s12, 0x407ffff
	v_add3_u32 v3, v2, v3, s12
	v_lshrrev_b32_e32 v6, 20, v3
	v_and_b32_e32 v3, 0xff00000, v3
	s_mov_b32 s12, 0x7f00000
	v_mov_b32_e32 v7, 0x7e
	v_cmp_ne_u32_e32 vcc, s12, v3
	v_cndmask_b32_e32 v3, v7, v6, vcc
; %bb.364:
	s_andn2_saveexec_b64 s[10:11], s[10:11]
; %bb.365:
	s_mov_b32 s12, 0x46800000
	v_add_f32_e64 v3, |v2|, s12
; %bb.366:
	s_or_b64 exec, exec, s[10:11]
                                        ; implicit-def: $vgpr6
.LBB40_367:
	s_andn2_saveexec_b64 s[8:9], s[8:9]
; %bb.368:
	s_mov_b32 s10, 0x7f800000
	v_mov_b32_e32 v3, 0x7e
	v_mov_b32_e32 v7, 0x7f
	v_cmp_lt_u32_e32 vcc, s10, v6
	v_cndmask_b32_e32 v3, v3, v7, vcc
; %bb.369:
	s_or_b64 exec, exec, s[8:9]
	v_lshrrev_b32_e32 v2, 24, v2
	s_movk_i32 s8, 0x80
	v_and_or_b32 v2, v2, s8, v3
	global_store_byte v[4:5], v2, off
.LBB40_370:
	s_mov_b64 s[8:9], 0
.LBB40_371:
	s_andn2_b64 vcc, exec, s[8:9]
	s_cbranch_vccnz .LBB40_381
; %bb.372:
	v_cvt_f32_f64_e32 v2, v[0:1]
	s_mov_b32 s8, 0x47800000
                                        ; implicit-def: $vgpr3
	v_and_b32_e32 v6, 0x7fffffff, v2
	v_cmp_gt_u32_e32 vcc, s8, v6
	s_and_saveexec_b64 s[8:9], vcc
	s_xor_b64 s[8:9], exec, s[8:9]
	s_cbranch_execz .LBB40_378
; %bb.373:
	s_mov_b32 s10, 0x387fffff
	v_cmp_lt_u32_e32 vcc, s10, v6
                                        ; implicit-def: $vgpr3
	s_and_saveexec_b64 s[10:11], vcc
	s_xor_b64 s[10:11], exec, s[10:11]
; %bb.374:
	v_bfe_u32 v3, v2, 21, 1
	s_mov_b32 s12, 0x80fffff
	v_add3_u32 v3, v2, v3, s12
	v_lshrrev_b32_e32 v3, 21, v3
; %bb.375:
	s_andn2_saveexec_b64 s[10:11], s[10:11]
; %bb.376:
	s_mov_b32 s12, 0x43000000
	v_add_f32_e64 v3, |v2|, s12
; %bb.377:
	s_or_b64 exec, exec, s[10:11]
                                        ; implicit-def: $vgpr6
.LBB40_378:
	s_andn2_saveexec_b64 s[8:9], s[8:9]
; %bb.379:
	s_mov_b32 s10, 0x7f800000
	v_mov_b32_e32 v3, 0x7c
	v_mov_b32_e32 v7, 0x7f
	v_cmp_lt_u32_e32 vcc, s10, v6
	v_cndmask_b32_e32 v3, v3, v7, vcc
; %bb.380:
	s_or_b64 exec, exec, s[8:9]
	v_lshrrev_b32_e32 v2, 24, v2
	s_movk_i32 s8, 0x80
	v_and_or_b32 v2, v2, s8, v3
	global_store_byte v[4:5], v2, off
.LBB40_381:
	s_mov_b64 s[10:11], 0
	s_mov_b64 s[8:9], -1
.LBB40_382:
	s_andn2_b64 vcc, exec, s[10:11]
	s_cbranch_vccnz .LBB40_390
; %bb.383:
	s_cmp_gt_i32 s15, 14
	s_mov_b64 s[10:11], -1
	s_cbranch_scc0 .LBB40_387
; %bb.384:
	s_cmp_eq_u32 s15, 15
	s_mov_b64 s[0:1], -1
	s_cbranch_scc0 .LBB40_386
; %bb.385:
	v_cvt_f32_f64_e32 v2, v[0:1]
	s_movk_i32 s0, 0x7fff
	v_mov_b32_e32 v3, 0x7fc0
	s_mov_b64 s[8:9], -1
	v_bfe_u32 v6, v2, 16, 1
	v_cmp_o_f32_e32 vcc, v2, v2
	v_add3_u32 v2, v2, v6, s0
	v_cndmask_b32_sdwa v2, v3, v2, vcc dst_sel:DWORD dst_unused:UNUSED_PAD src0_sel:DWORD src1_sel:WORD_1
	global_store_short v[4:5], v2, off
	s_mov_b64 s[0:1], 0
.LBB40_386:
	s_mov_b64 s[10:11], 0
.LBB40_387:
	s_and_b64 vcc, exec, s[10:11]
	s_cbranch_vccz .LBB40_390
; %bb.388:
	s_cmp_eq_u32 s15, 11
	s_mov_b64 s[0:1], -1
	s_cbranch_scc0 .LBB40_390
; %bb.389:
	v_cmp_neq_f64_e32 vcc, 0, v[0:1]
	s_mov_b64 s[0:1], 0
	s_mov_b64 s[8:9], -1
	v_cndmask_b32_e64 v2, 0, 1, vcc
	global_store_byte v[4:5], v2, off
.LBB40_390:
	s_mov_b64 s[10:11], 0
.LBB40_391:
	s_and_b64 vcc, exec, s[10:11]
	s_cbranch_vccz .LBB40_430
; %bb.392:
	s_and_b32 s10, 0xffff, s14
	s_cmp_lt_i32 s10, 5
	s_mov_b64 s[8:9], -1
	s_cbranch_scc1 .LBB40_413
; %bb.393:
	s_cmp_lt_i32 s10, 8
	s_cbranch_scc1 .LBB40_403
; %bb.394:
	s_cmp_lt_i32 s10, 9
	s_cbranch_scc1 .LBB40_400
; %bb.395:
	s_cmp_gt_i32 s10, 9
	s_cbranch_scc0 .LBB40_397
; %bb.396:
	v_mov_b32_e32 v2, 0
	v_mov_b32_e32 v3, v2
	s_mov_b64 s[8:9], 0
	global_store_dwordx4 v[4:5], v[0:3], off
.LBB40_397:
	s_andn2_b64 vcc, exec, s[8:9]
	s_cbranch_vccnz .LBB40_399
; %bb.398:
	v_cvt_f32_f64_e32 v2, v[0:1]
	v_mov_b32_e32 v3, 0
	global_store_dwordx2 v[4:5], v[2:3], off
.LBB40_399:
	s_mov_b64 s[8:9], 0
.LBB40_400:
	s_andn2_b64 vcc, exec, s[8:9]
	s_cbranch_vccnz .LBB40_402
; %bb.401:
	s_movk_i32 s8, 0x1ff
	v_and_or_b32 v2, v1, s8, v0
	v_cmp_ne_u32_e32 vcc, 0, v2
	v_cndmask_b32_e64 v2, 0, 1, vcc
	v_lshrrev_b32_e32 v3, 8, v1
	s_movk_i32 s8, 0xffe
	v_bfe_u32 v6, v1, 20, 11
	v_and_or_b32 v2, v3, s8, v2
	v_sub_u32_e32 v7, 0x3f1, v6
	v_or_b32_e32 v3, 0x1000, v2
	v_med3_i32 v7, v7, 0, 13
	v_lshrrev_b32_e32 v8, v7, v3
	v_lshlrev_b32_e32 v7, v7, v8
	v_cmp_ne_u32_e32 vcc, v7, v3
	v_cndmask_b32_e64 v3, 0, 1, vcc
	v_add_u32_e32 v6, 0xfffffc10, v6
	v_or_b32_e32 v3, v8, v3
	v_lshl_or_b32 v7, v6, 12, v2
	v_cmp_gt_i32_e32 vcc, 1, v6
	v_cndmask_b32_e32 v3, v7, v3, vcc
	v_and_b32_e32 v7, 7, v3
	v_cmp_lt_i32_e32 vcc, 5, v7
	v_cndmask_b32_e64 v8, 0, 1, vcc
	v_cmp_eq_u32_e32 vcc, 3, v7
	v_cndmask_b32_e64 v7, 0, 1, vcc
	v_or_b32_e32 v7, v7, v8
	v_lshrrev_b32_e32 v3, 2, v3
	v_add_u32_e32 v3, v3, v7
	v_mov_b32_e32 v7, 0x7c00
	v_cmp_gt_i32_e32 vcc, 31, v6
	v_cndmask_b32_e32 v3, v7, v3, vcc
	v_mov_b32_e32 v8, 0x7e00
	v_cmp_ne_u32_e32 vcc, 0, v2
	s_movk_i32 s8, 0x40f
	v_cndmask_b32_e32 v2, v7, v8, vcc
	v_cmp_eq_u32_e32 vcc, s8, v6
	v_cndmask_b32_e32 v2, v3, v2, vcc
	v_lshrrev_b32_e32 v3, 16, v1
	s_mov_b32 s8, 0x8000
	v_and_or_b32 v2, v3, s8, v2
	v_and_b32_e32 v2, 0xffff, v2
	global_store_dword v[4:5], v2, off
.LBB40_402:
	s_mov_b64 s[8:9], 0
.LBB40_403:
	s_andn2_b64 vcc, exec, s[8:9]
	s_cbranch_vccnz .LBB40_412
; %bb.404:
	s_cmp_lt_i32 s10, 6
	s_mov_b64 s[8:9], -1
	s_cbranch_scc1 .LBB40_410
; %bb.405:
	s_cmp_gt_i32 s10, 6
	s_cbranch_scc0 .LBB40_407
; %bb.406:
	s_mov_b64 s[8:9], 0
	global_store_dwordx2 v[4:5], v[0:1], off
.LBB40_407:
	s_andn2_b64 vcc, exec, s[8:9]
	s_cbranch_vccnz .LBB40_409
; %bb.408:
	v_cvt_f32_f64_e32 v2, v[0:1]
	global_store_dword v[4:5], v2, off
.LBB40_409:
	s_mov_b64 s[8:9], 0
.LBB40_410:
	s_andn2_b64 vcc, exec, s[8:9]
	s_cbranch_vccnz .LBB40_412
; %bb.411:
	s_movk_i32 s8, 0x1ff
	v_and_or_b32 v2, v1, s8, v0
	v_cmp_ne_u32_e32 vcc, 0, v2
	v_cndmask_b32_e64 v2, 0, 1, vcc
	v_lshrrev_b32_e32 v3, 8, v1
	s_movk_i32 s8, 0xffe
	v_bfe_u32 v6, v1, 20, 11
	v_and_or_b32 v2, v3, s8, v2
	v_sub_u32_e32 v7, 0x3f1, v6
	v_or_b32_e32 v3, 0x1000, v2
	v_med3_i32 v7, v7, 0, 13
	v_lshrrev_b32_e32 v8, v7, v3
	v_lshlrev_b32_e32 v7, v7, v8
	v_cmp_ne_u32_e32 vcc, v7, v3
	v_cndmask_b32_e64 v3, 0, 1, vcc
	v_add_u32_e32 v6, 0xfffffc10, v6
	v_or_b32_e32 v3, v8, v3
	v_lshl_or_b32 v7, v6, 12, v2
	v_cmp_gt_i32_e32 vcc, 1, v6
	v_cndmask_b32_e32 v3, v7, v3, vcc
	v_and_b32_e32 v7, 7, v3
	v_cmp_lt_i32_e32 vcc, 5, v7
	v_cndmask_b32_e64 v8, 0, 1, vcc
	v_cmp_eq_u32_e32 vcc, 3, v7
	v_cndmask_b32_e64 v7, 0, 1, vcc
	v_or_b32_e32 v7, v7, v8
	v_lshrrev_b32_e32 v3, 2, v3
	v_add_u32_e32 v3, v3, v7
	v_mov_b32_e32 v7, 0x7c00
	v_cmp_gt_i32_e32 vcc, 31, v6
	v_cndmask_b32_e32 v3, v7, v3, vcc
	v_mov_b32_e32 v8, 0x7e00
	v_cmp_ne_u32_e32 vcc, 0, v2
	s_movk_i32 s8, 0x40f
	v_cndmask_b32_e32 v2, v7, v8, vcc
	v_cmp_eq_u32_e32 vcc, s8, v6
	v_cndmask_b32_e32 v2, v3, v2, vcc
	v_lshrrev_b32_e32 v3, 16, v1
	s_mov_b32 s8, 0x8000
	v_and_or_b32 v2, v3, s8, v2
	global_store_short v[4:5], v2, off
.LBB40_412:
	s_mov_b64 s[8:9], 0
.LBB40_413:
	s_andn2_b64 vcc, exec, s[8:9]
	s_cbranch_vccnz .LBB40_429
; %bb.414:
	s_cmp_lt_i32 s10, 2
	s_mov_b64 s[8:9], -1
	s_cbranch_scc1 .LBB40_424
; %bb.415:
	s_cmp_lt_i32 s10, 3
	s_cbranch_scc1 .LBB40_421
; %bb.416:
	s_cmp_gt_i32 s10, 3
	s_cbranch_scc0 .LBB40_418
; %bb.417:
	v_trunc_f64_e32 v[2:3], v[0:1]
	s_movk_i32 s8, 0xffe0
	v_ldexp_f64 v[6:7], v[2:3], s8
	s_mov_b32 s8, 0
	s_mov_b32 s9, 0xc1f00000
	v_floor_f64_e32 v[6:7], v[6:7]
	v_fma_f64 v[2:3], v[6:7], s[8:9], v[2:3]
	v_cvt_i32_f64_e32 v7, v[6:7]
	s_mov_b64 s[8:9], 0
	v_cvt_u32_f64_e32 v6, v[2:3]
	global_store_dwordx2 v[4:5], v[6:7], off
.LBB40_418:
	s_andn2_b64 vcc, exec, s[8:9]
	s_cbranch_vccnz .LBB40_420
; %bb.419:
	v_cvt_i32_f64_e32 v2, v[0:1]
	global_store_dword v[4:5], v2, off
.LBB40_420:
	s_mov_b64 s[8:9], 0
.LBB40_421:
	s_andn2_b64 vcc, exec, s[8:9]
	s_cbranch_vccnz .LBB40_423
; %bb.422:
	v_cvt_i32_f64_e32 v2, v[0:1]
	global_store_short v[4:5], v2, off
.LBB40_423:
	s_mov_b64 s[8:9], 0
.LBB40_424:
	s_andn2_b64 vcc, exec, s[8:9]
	s_cbranch_vccnz .LBB40_429
; %bb.425:
	s_cmp_gt_i32 s10, 0
	s_mov_b64 s[8:9], -1
	s_cbranch_scc0 .LBB40_427
; %bb.426:
	v_cvt_i32_f64_e32 v2, v[0:1]
	s_mov_b64 s[8:9], 0
	global_store_byte v[4:5], v2, off
.LBB40_427:
	s_andn2_b64 vcc, exec, s[8:9]
	s_cbranch_vccnz .LBB40_429
; %bb.428:
	v_trunc_f64_e32 v[0:1], v[0:1]
	s_movk_i32 s8, 0xffe0
	v_ldexp_f64 v[2:3], v[0:1], s8
	s_mov_b32 s8, 0
	s_mov_b32 s9, 0xc1f00000
	v_floor_f64_e32 v[2:3], v[2:3]
	v_fma_f64 v[0:1], v[2:3], s[8:9], v[0:1]
	v_cvt_u32_f64_e32 v0, v[0:1]
	global_store_byte v[4:5], v0, off
.LBB40_429:
	s_mov_b64 s[8:9], -1
.LBB40_430:
	s_andn2_b64 vcc, exec, s[8:9]
	s_cbranch_vccnz .LBB40_432
; %bb.431:
	v_add_u32_e32 v11, 0x80, v11
	s_mov_b64 s[8:9], -1
	s_branch .LBB40_545
.LBB40_432:
	s_mov_b64 s[8:9], 0
	s_branch .LBB40_544
.LBB40_433:
	s_mov_b64 s[2:3], -1
                                        ; implicit-def: $vgpr3_vgpr4
.LBB40_434:
	s_mov_b64 s[8:9], 0
.LBB40_435:
	s_and_b64 vcc, exec, s[8:9]
	s_cbranch_vccz .LBB40_439
; %bb.436:
	s_cmp_eq_u32 s12, 29
	s_cbranch_scc0 .LBB40_438
; %bb.437:
	global_load_dwordx2 v[3:4], v[0:1], off
	s_mov_b64 s[0:1], -1
	s_mov_b64 s[2:3], 0
	s_mov_b64 s[8:9], 0
	s_waitcnt vmcnt(0)
	v_cvt_f64_u32_e32 v[4:5], v4
	v_cvt_f64_u32_e32 v[6:7], v3
	v_ldexp_f64 v[4:5], v[4:5], 32
	v_add_f64 v[3:4], v[4:5], v[6:7]
	s_branch .LBB40_440
.LBB40_438:
	s_mov_b64 s[2:3], -1
                                        ; implicit-def: $vgpr3_vgpr4
.LBB40_439:
	s_mov_b64 s[8:9], 0
.LBB40_440:
	s_and_b64 vcc, exec, s[8:9]
	s_cbranch_vccz .LBB40_460
; %bb.441:
	s_cmp_lt_i32 s12, 27
	s_cbranch_scc1 .LBB40_444
; %bb.442:
	s_cmp_gt_i32 s12, 27
	s_cbranch_scc0 .LBB40_445
; %bb.443:
	global_load_dword v3, v[0:1], off
	s_mov_b64 s[0:1], 0
	s_waitcnt vmcnt(0)
	v_cvt_f64_u32_e32 v[3:4], v3
	s_branch .LBB40_446
.LBB40_444:
	s_mov_b64 s[0:1], -1
                                        ; implicit-def: $vgpr3_vgpr4
	s_branch .LBB40_449
.LBB40_445:
	s_mov_b64 s[0:1], -1
                                        ; implicit-def: $vgpr3_vgpr4
.LBB40_446:
	s_andn2_b64 vcc, exec, s[0:1]
	s_cbranch_vccnz .LBB40_448
; %bb.447:
	global_load_ushort v3, v[0:1], off
	s_waitcnt vmcnt(0)
	v_cvt_f64_u32_e32 v[3:4], v3
.LBB40_448:
	s_mov_b64 s[0:1], 0
.LBB40_449:
	s_andn2_b64 vcc, exec, s[0:1]
	s_cbranch_vccnz .LBB40_459
; %bb.450:
	global_load_ubyte v5, v[0:1], off
	s_movk_i32 s0, 0x7f
	s_waitcnt vmcnt(0)
	v_cmp_lt_i16_e32 vcc, s0, v5
	s_mov_b64 s[0:1], 0
	s_and_saveexec_b64 s[8:9], vcc
	s_xor_b64 s[8:9], exec, s[8:9]
	s_cbranch_execz .LBB40_454
; %bb.451:
	s_movk_i32 s0, 0x80
	v_cmp_eq_u16_e32 vcc, s0, v5
	s_mov_b64 s[0:1], -1
	s_and_saveexec_b64 s[10:11], vcc
; %bb.452:
	s_xor_b64 s[0:1], exec, -1
; %bb.453:
	s_or_b64 exec, exec, s[10:11]
	s_and_b64 s[0:1], s[0:1], exec
.LBB40_454:
	s_or_saveexec_b64 s[8:9], s[8:9]
	v_bfrev_b32_e32 v3, 4
	v_mov_b32_e32 v4, 0x7ff80000
	s_xor_b64 exec, exec, s[8:9]
; %bb.455:
	v_cmp_ne_u16_e32 vcc, 0, v5
	v_mov_b32_e32 v3, 0
	s_andn2_b64 s[0:1], s[0:1], exec
	s_and_b64 s[10:11], vcc, exec
	v_mov_b32_e32 v4, 0
	s_or_b64 s[0:1], s[0:1], s[10:11]
; %bb.456:
	s_or_b64 exec, exec, s[8:9]
	s_and_saveexec_b64 s[8:9], s[0:1]
	s_cbranch_execz .LBB40_458
; %bb.457:
	v_and_b32_e32 v4, 0xffff, v5
	v_lshlrev_b32_e32 v3, 24, v5
	v_and_b32_e32 v5, 7, v4
	v_ffbh_u32_e32 v7, v5
	v_min_u32_e32 v7, 32, v7
	v_subrev_u32_e32 v8, 28, v7
	v_bfe_u32 v6, v4, 3, 4
	v_lshlrev_b32_e32 v4, v8, v4
	v_sub_u32_e32 v7, 29, v7
	v_and_b32_e32 v4, 7, v4
	v_cmp_eq_u32_e32 vcc, 0, v6
	v_cndmask_b32_e32 v6, v6, v7, vcc
	v_cndmask_b32_e32 v4, v5, v4, vcc
	v_mov_b32_e32 v5, 0x3b800000
	v_lshlrev_b32_e32 v4, 20, v4
	v_and_b32_e32 v3, 0x80000000, v3
	v_lshl_add_u32 v5, v6, 23, v5
	v_or3_b32 v3, v3, v5, v4
	v_cvt_f64_f32_e32 v[3:4], v3
.LBB40_458:
	s_or_b64 exec, exec, s[8:9]
.LBB40_459:
	s_mov_b64 s[0:1], -1
.LBB40_460:
	s_mov_b64 s[8:9], 0
.LBB40_461:
	s_and_b64 vcc, exec, s[8:9]
	s_cbranch_vccz .LBB40_494
; %bb.462:
	s_cmp_gt_i32 s12, 22
	s_cbranch_scc0 .LBB40_474
; %bb.463:
	s_cmp_lt_i32 s12, 24
	s_cbranch_scc1 .LBB40_475
; %bb.464:
	s_cmp_gt_i32 s12, 24
	s_cbranch_scc0 .LBB40_476
; %bb.465:
	global_load_ubyte v5, v[0:1], off
	s_movk_i32 s0, 0x7f
	s_waitcnt vmcnt(0)
	v_cmp_lt_i16_e32 vcc, s0, v5
	s_mov_b64 s[0:1], 0
	s_and_saveexec_b64 s[8:9], vcc
	s_xor_b64 s[8:9], exec, s[8:9]
	s_cbranch_execz .LBB40_469
; %bb.466:
	s_movk_i32 s0, 0x80
	v_cmp_eq_u16_e32 vcc, s0, v5
	s_mov_b64 s[0:1], -1
	s_and_saveexec_b64 s[10:11], vcc
; %bb.467:
	s_xor_b64 s[0:1], exec, -1
; %bb.468:
	s_or_b64 exec, exec, s[10:11]
	s_and_b64 s[0:1], s[0:1], exec
.LBB40_469:
	s_or_saveexec_b64 s[8:9], s[8:9]
	v_bfrev_b32_e32 v3, 4
	v_mov_b32_e32 v4, 0x7ff80000
	s_xor_b64 exec, exec, s[8:9]
; %bb.470:
	v_cmp_ne_u16_e32 vcc, 0, v5
	v_mov_b32_e32 v3, 0
	s_andn2_b64 s[0:1], s[0:1], exec
	s_and_b64 s[10:11], vcc, exec
	v_mov_b32_e32 v4, 0
	s_or_b64 s[0:1], s[0:1], s[10:11]
; %bb.471:
	s_or_b64 exec, exec, s[8:9]
	s_and_saveexec_b64 s[8:9], s[0:1]
	s_cbranch_execz .LBB40_473
; %bb.472:
	v_and_b32_e32 v4, 0xffff, v5
	v_lshlrev_b32_e32 v3, 24, v5
	v_and_b32_e32 v5, 3, v4
	v_ffbh_u32_e32 v7, v5
	v_min_u32_e32 v7, 32, v7
	v_subrev_u32_e32 v8, 29, v7
	v_bfe_u32 v6, v4, 2, 5
	v_lshlrev_b32_e32 v4, v8, v4
	v_sub_u32_e32 v7, 30, v7
	v_and_b32_e32 v4, 3, v4
	v_cmp_eq_u32_e32 vcc, 0, v6
	v_cndmask_b32_e32 v6, v6, v7, vcc
	v_cndmask_b32_e32 v4, v5, v4, vcc
	v_mov_b32_e32 v5, 0x37800000
	v_lshlrev_b32_e32 v4, 21, v4
	v_and_b32_e32 v3, 0x80000000, v3
	v_lshl_add_u32 v5, v6, 23, v5
	v_or3_b32 v3, v3, v5, v4
	v_cvt_f64_f32_e32 v[3:4], v3
.LBB40_473:
	s_or_b64 exec, exec, s[8:9]
	s_mov_b64 s[0:1], 0
	s_branch .LBB40_477
.LBB40_474:
	s_mov_b64 s[8:9], -1
                                        ; implicit-def: $vgpr3_vgpr4
	s_branch .LBB40_483
.LBB40_475:
	s_mov_b64 s[0:1], -1
                                        ; implicit-def: $vgpr3_vgpr4
	s_branch .LBB40_480
.LBB40_476:
	s_mov_b64 s[0:1], -1
                                        ; implicit-def: $vgpr3_vgpr4
.LBB40_477:
	s_and_b64 vcc, exec, s[0:1]
	s_cbranch_vccz .LBB40_479
; %bb.478:
	global_load_ubyte v3, v[0:1], off
	s_mov_b32 s0, 0x7f800000
	s_waitcnt vmcnt(0)
	v_lshlrev_b32_e32 v3, 24, v3
	v_and_b32_e32 v4, 0x7f000000, v3
	v_ffbh_u32_e32 v5, v4
	v_min_u32_e32 v5, 32, v5
	v_sub_u32_e64 v5, v5, 4 clamp
	v_lshlrev_b32_e32 v7, v5, v4
	v_lshlrev_b32_e32 v5, 23, v5
	v_lshrrev_b32_e32 v7, 4, v7
	v_add_u32_e32 v6, 0x1000000, v4
	v_sub_u32_e32 v5, v7, v5
	v_ashrrev_i32_e32 v6, 8, v6
	v_add_u32_e32 v5, 0x3c000000, v5
	v_and_or_b32 v5, v6, s0, v5
	v_cmp_ne_u32_e32 vcc, 0, v4
	v_cndmask_b32_e32 v4, 0, v5, vcc
	s_brev_b32 s0, 1
	v_and_or_b32 v3, v3, s0, v4
	v_cvt_f64_f32_e32 v[3:4], v3
.LBB40_479:
	s_mov_b64 s[0:1], 0
.LBB40_480:
	s_andn2_b64 vcc, exec, s[0:1]
	s_cbranch_vccnz .LBB40_482
; %bb.481:
	global_load_ubyte v3, v[0:1], off
	s_movk_i32 s0, 0x7f00
	s_brev_b32 s1, 16
	s_waitcnt vmcnt(0)
	v_lshlrev_b16_e32 v4, 8, v3
	v_lshlrev_b32_e32 v3, 25, v3
	v_lshrrev_b32_e32 v5, 4, v3
	v_and_or_b32 v6, v4, s0, 0.5
	v_or_b32_e32 v5, 0x70000000, v5
	v_add_f32_e32 v6, -0.5, v6
	v_mul_f32_e32 v5, 0x7800000, v5
	v_cmp_gt_u32_e32 vcc, s1, v3
	v_bfe_i32 v4, v4, 0, 16
	v_cndmask_b32_e32 v3, v5, v6, vcc
	s_brev_b32 s0, 1
	v_and_or_b32 v3, v4, s0, v3
	v_cvt_f64_f32_e32 v[3:4], v3
.LBB40_482:
	s_mov_b64 s[8:9], 0
	s_mov_b64 s[0:1], -1
.LBB40_483:
	s_andn2_b64 vcc, exec, s[8:9]
	s_cbranch_vccnz .LBB40_494
; %bb.484:
	s_cmp_gt_i32 s12, 14
	s_cbranch_scc0 .LBB40_487
; %bb.485:
	s_cmp_eq_u32 s12, 15
	s_cbranch_scc0 .LBB40_488
; %bb.486:
	global_load_ushort v3, v[0:1], off
	s_mov_b64 s[0:1], -1
	s_mov_b64 s[2:3], 0
	s_waitcnt vmcnt(0)
	v_lshlrev_b32_e32 v3, 16, v3
	v_cvt_f64_f32_e32 v[3:4], v3
	s_branch .LBB40_489
.LBB40_487:
	s_mov_b64 s[8:9], -1
                                        ; implicit-def: $vgpr3_vgpr4
	s_branch .LBB40_490
.LBB40_488:
	s_mov_b64 s[2:3], -1
                                        ; implicit-def: $vgpr3_vgpr4
.LBB40_489:
	s_mov_b64 s[8:9], 0
.LBB40_490:
	s_and_b64 vcc, exec, s[8:9]
	s_cbranch_vccz .LBB40_494
; %bb.491:
	s_cmp_eq_u32 s12, 11
	s_cbranch_scc0 .LBB40_493
; %bb.492:
	global_load_ubyte v4, v[0:1], off
	v_mov_b32_e32 v5, 0x3ff00000
	s_waitcnt vmcnt(1)
	v_mov_b32_e32 v3, 0
	s_mov_b64 s[0:1], -1
	s_mov_b64 s[2:3], 0
	s_waitcnt vmcnt(0)
	v_cmp_ne_u16_e32 vcc, 0, v4
	v_cndmask_b32_e32 v4, 0, v5, vcc
	s_branch .LBB40_494
.LBB40_493:
	s_mov_b64 s[2:3], -1
                                        ; implicit-def: $vgpr3_vgpr4
.LBB40_494:
	s_branch .LBB40_295
.LBB40_495:
	s_cmp_lt_i32 s12, 5
	s_cbranch_scc1 .LBB40_500
; %bb.496:
	s_cmp_lt_i32 s12, 8
	s_cbranch_scc1 .LBB40_501
; %bb.497:
	s_cmp_lt_i32 s12, 9
	s_cbranch_scc1 .LBB40_502
; %bb.498:
	s_cmp_gt_i32 s12, 9
	s_cbranch_scc0 .LBB40_503
; %bb.499:
	global_load_dwordx2 v[3:4], v[0:1], off
	s_mov_b64 s[0:1], 0
	s_branch .LBB40_504
.LBB40_500:
	s_mov_b64 s[0:1], -1
                                        ; implicit-def: $vgpr3_vgpr4
	s_branch .LBB40_522
.LBB40_501:
	s_mov_b64 s[0:1], -1
                                        ; implicit-def: $vgpr3_vgpr4
	s_branch .LBB40_510
.LBB40_502:
	s_mov_b64 s[0:1], -1
                                        ; implicit-def: $vgpr3_vgpr4
	s_branch .LBB40_507
.LBB40_503:
	s_mov_b64 s[0:1], -1
                                        ; implicit-def: $vgpr3_vgpr4
.LBB40_504:
	s_andn2_b64 vcc, exec, s[0:1]
	s_cbranch_vccnz .LBB40_506
; %bb.505:
	global_load_dword v3, v[0:1], off
	s_waitcnt vmcnt(0)
	v_cvt_f64_f32_e32 v[3:4], v3
.LBB40_506:
	s_mov_b64 s[0:1], 0
.LBB40_507:
	s_andn2_b64 vcc, exec, s[0:1]
	s_cbranch_vccnz .LBB40_509
; %bb.508:
	global_load_dword v3, v[0:1], off
	s_waitcnt vmcnt(0)
	v_cvt_f32_f16_e32 v3, v3
	v_cvt_f64_f32_e32 v[3:4], v3
.LBB40_509:
	s_mov_b64 s[0:1], 0
.LBB40_510:
	s_andn2_b64 vcc, exec, s[0:1]
	s_cbranch_vccnz .LBB40_521
; %bb.511:
	s_cmp_lt_i32 s12, 6
	s_cbranch_scc1 .LBB40_514
; %bb.512:
	s_cmp_gt_i32 s12, 6
	s_cbranch_scc0 .LBB40_515
; %bb.513:
	global_load_dwordx2 v[3:4], v[0:1], off
	s_mov_b64 s[0:1], 0
	s_branch .LBB40_516
.LBB40_514:
	s_mov_b64 s[0:1], -1
                                        ; implicit-def: $vgpr3_vgpr4
	s_branch .LBB40_519
.LBB40_515:
	s_mov_b64 s[0:1], -1
                                        ; implicit-def: $vgpr3_vgpr4
.LBB40_516:
	s_andn2_b64 vcc, exec, s[0:1]
	s_cbranch_vccnz .LBB40_518
; %bb.517:
	global_load_dword v3, v[0:1], off
	s_waitcnt vmcnt(0)
	v_cvt_f64_f32_e32 v[3:4], v3
.LBB40_518:
	s_mov_b64 s[0:1], 0
.LBB40_519:
	s_andn2_b64 vcc, exec, s[0:1]
	s_cbranch_vccnz .LBB40_521
; %bb.520:
	global_load_ushort v3, v[0:1], off
	s_waitcnt vmcnt(0)
	v_cvt_f32_f16_e32 v3, v3
	v_cvt_f64_f32_e32 v[3:4], v3
.LBB40_521:
	s_mov_b64 s[0:1], 0
.LBB40_522:
	s_andn2_b64 vcc, exec, s[0:1]
	s_cbranch_vccnz .LBB40_542
; %bb.523:
	s_cmp_lt_i32 s12, 2
	s_cbranch_scc1 .LBB40_527
; %bb.524:
	s_cmp_lt_i32 s12, 3
	s_cbranch_scc1 .LBB40_528
; %bb.525:
	s_cmp_gt_i32 s12, 3
	s_cbranch_scc0 .LBB40_529
; %bb.526:
	global_load_dwordx2 v[3:4], v[0:1], off
	s_mov_b64 s[0:1], 0
	s_waitcnt vmcnt(0)
	v_cvt_f64_i32_e32 v[4:5], v4
	v_cvt_f64_u32_e32 v[6:7], v3
	v_ldexp_f64 v[4:5], v[4:5], 32
	v_add_f64 v[3:4], v[4:5], v[6:7]
	s_branch .LBB40_530
.LBB40_527:
	s_mov_b64 s[0:1], -1
                                        ; implicit-def: $vgpr3_vgpr4
	s_branch .LBB40_536
.LBB40_528:
	s_mov_b64 s[0:1], -1
                                        ; implicit-def: $vgpr3_vgpr4
	s_branch .LBB40_533
.LBB40_529:
	s_mov_b64 s[0:1], -1
                                        ; implicit-def: $vgpr3_vgpr4
.LBB40_530:
	s_andn2_b64 vcc, exec, s[0:1]
	s_cbranch_vccnz .LBB40_532
; %bb.531:
	global_load_dword v3, v[0:1], off
	s_waitcnt vmcnt(0)
	v_cvt_f64_i32_e32 v[3:4], v3
.LBB40_532:
	s_mov_b64 s[0:1], 0
.LBB40_533:
	s_andn2_b64 vcc, exec, s[0:1]
	s_cbranch_vccnz .LBB40_535
; %bb.534:
	global_load_sshort v3, v[0:1], off
	s_waitcnt vmcnt(0)
	v_cvt_f64_i32_e32 v[3:4], v3
.LBB40_535:
	s_mov_b64 s[0:1], 0
.LBB40_536:
	s_andn2_b64 vcc, exec, s[0:1]
	s_cbranch_vccnz .LBB40_542
; %bb.537:
	s_cmp_gt_i32 s12, 0
	s_cbranch_scc0 .LBB40_539
; %bb.538:
	global_load_sbyte v3, v[0:1], off
	s_mov_b64 s[0:1], 0
	s_waitcnt vmcnt(0)
	v_cvt_f64_i32_e32 v[3:4], v3
	s_branch .LBB40_540
.LBB40_539:
	s_mov_b64 s[0:1], -1
                                        ; implicit-def: $vgpr3_vgpr4
.LBB40_540:
	s_andn2_b64 vcc, exec, s[0:1]
	s_cbranch_vccnz .LBB40_542
; %bb.541:
	global_load_ubyte v0, v[0:1], off
	s_waitcnt vmcnt(0)
	v_cvt_f64_u32_e32 v[3:4], v0
.LBB40_542:
	s_branch .LBB40_296
.LBB40_543:
	s_mov_b64 s[8:9], 0
	s_mov_b64 s[0:1], s[52:53]
.LBB40_544:
                                        ; implicit-def: $vgpr11
.LBB40_545:
	s_andn2_b64 s[10:11], s[52:53], exec
	s_and_b64 s[0:1], s[0:1], exec
	s_or_b64 s[60:61], s[10:11], s[0:1]
	s_andn2_b64 s[0:1], s[54:55], exec
	s_and_b64 s[2:3], s[2:3], exec
	s_or_b64 s[58:59], s[0:1], s[2:3]
	s_orn2_b64 s[0:1], s[8:9], exec
.LBB40_546:
	s_or_b64 exec, exec, s[62:63]
	s_mov_b64 s[2:3], 0
	s_mov_b64 s[8:9], 0
	s_mov_b64 s[10:11], 0
                                        ; implicit-def: $vgpr0_vgpr1
                                        ; implicit-def: $vgpr2
                                        ; implicit-def: $vgpr6_vgpr7
	s_and_saveexec_b64 s[62:63], s[0:1]
	s_cbranch_execz .LBB40_923
; %bb.547:
	v_cmp_gt_i32_e32 vcc, s70, v11
	s_mov_b64 s[2:3], -1
	s_mov_b64 s[66:67], s[58:59]
	s_mov_b64 s[68:69], s[60:61]
	s_and_saveexec_b64 s[64:65], vcc
	s_cbranch_execz .LBB40_823
; %bb.548:
	s_andn2_b64 vcc, exec, s[40:41]
	s_cbranch_vccnz .LBB40_553
; %bb.549:
	s_andn2_b64 vcc, exec, s[50:51]
	s_cbranch_vccnz .LBB40_554
; %bb.550:
	s_add_i32 s76, s75, 1
	s_cmp_eq_u32 s72, 2
	s_cbranch_scc1 .LBB40_555
; %bb.551:
	s_and_b32 s71, s76, 28
	v_mov_b32_e32 v0, 0
	s_mov_b32 s77, 0
	s_mov_b64 s[66:67], s[34:35]
	s_mov_b64 s[68:69], s[48:49]
	v_mov_b32_e32 v2, 0
	v_mov_b32_e32 v1, v11
.LBB40_552:                             ; =>This Inner Loop Header: Depth=1
	s_load_dwordx8 s[16:23], s[66:67], 0x4
	s_load_dwordx4 s[0:3], s[66:67], 0x24
	s_load_dwordx8 s[8:15], s[68:69], 0x0
	s_add_u32 s66, s66, 48
	s_addc_u32 s67, s67, 0
	s_waitcnt vmcnt(0) lgkmcnt(0)
	v_mul_hi_u32 v3, s17, v1
	s_add_i32 s77, s77, 4
	s_add_u32 s68, s68, 32
	s_addc_u32 s69, s69, 0
	v_add_u32_e32 v3, v1, v3
	v_lshrrev_b32_e32 v3, s18, v3
	v_mul_lo_u32 v4, v3, s16
	v_mul_hi_u32 v5, s20, v3
	s_cmp_eq_u32 s71, s77
	v_sub_u32_e32 v1, v1, v4
	v_add_u32_e32 v4, v3, v5
	v_mul_lo_u32 v5, v1, s8
	v_mul_lo_u32 v6, v1, s9
	v_lshrrev_b32_e32 v1, s21, v4
	v_mul_lo_u32 v4, v1, s19
	v_mul_hi_u32 v7, s23, v1
	v_sub_u32_e32 v3, v3, v4
	v_add_u32_e32 v4, v1, v7
	v_lshrrev_b32_e32 v4, s0, v4
	v_mul_hi_u32 v8, s2, v4
	v_mul_lo_u32 v9, v4, s22
	v_mul_lo_u32 v7, v3, s10
	;; [unrolled: 1-line block ×3, first 2 shown]
	v_sub_u32_e32 v9, v1, v9
	v_add_u32_e32 v1, v4, v8
	v_lshrrev_b32_e32 v1, s3, v1
	v_mul_lo_u32 v8, v1, s1
	v_mul_lo_u32 v10, v9, s12
	;; [unrolled: 1-line block ×3, first 2 shown]
	v_add3_u32 v2, v5, v2, v7
	v_sub_u32_e32 v4, v4, v8
	v_mul_lo_u32 v8, v4, s14
	v_mul_lo_u32 v4, v4, s15
	v_add3_u32 v0, v6, v0, v3
	v_add3_u32 v2, v10, v2, v8
	;; [unrolled: 1-line block ×3, first 2 shown]
	s_cbranch_scc0 .LBB40_552
	s_branch .LBB40_556
.LBB40_553:
	s_mov_b64 s[0:1], -1
                                        ; implicit-def: $vgpr2
                                        ; implicit-def: $vgpr0
	s_branch .LBB40_560
.LBB40_554:
	v_mov_b32_e32 v2, 0
	v_mov_b32_e32 v0, 0
	s_branch .LBB40_559
.LBB40_555:
	s_mov_b32 s71, 0
	v_mov_b32_e32 v2, 0
	v_mov_b32_e32 v0, 0
	;; [unrolled: 1-line block ×3, first 2 shown]
.LBB40_556:
	s_and_b32 s8, s76, 3
	s_cmp_eq_u32 s8, 0
	s_cbranch_scc1 .LBB40_559
; %bb.557:
	s_lshl_b32 s0, s71, 3
	s_add_u32 s0, s34, s0
	s_addc_u32 s1, s35, 0
	s_add_u32 s0, s0, 0xc4
	s_addc_u32 s1, s1, 0
	s_mul_i32 s2, s71, 12
	s_add_u32 s2, s34, s2
	s_addc_u32 s3, s35, 0
.LBB40_558:                             ; =>This Inner Loop Header: Depth=1
	s_load_dwordx2 s[10:11], s[2:3], 0x4
	s_load_dword s9, s[2:3], 0xc
	s_load_dwordx2 s[12:13], s[0:1], 0x0
	s_add_u32 s2, s2, 12
	s_addc_u32 s3, s3, 0
	s_waitcnt vmcnt(0) lgkmcnt(0)
	v_mul_hi_u32 v3, s11, v1
	s_add_u32 s0, s0, 8
	s_addc_u32 s1, s1, 0
	s_add_i32 s8, s8, -1
	v_add_u32_e32 v3, v1, v3
	v_lshrrev_b32_e32 v4, s9, v3
	v_mul_lo_u32 v3, v4, s10
	s_cmp_lg_u32 s8, 0
	v_sub_u32_e32 v1, v1, v3
	v_mad_u64_u32 v[2:3], s[10:11], v1, s12, v[2:3]
	v_mad_u64_u32 v[0:1], s[10:11], v1, s13, v[0:1]
	v_mov_b32_e32 v1, v4
	s_cbranch_scc1 .LBB40_558
.LBB40_559:
	s_mov_b64 s[0:1], 0
.LBB40_560:
	s_andn2_b64 vcc, exec, s[0:1]
	s_cbranch_vccnz .LBB40_563
; %bb.561:
	s_waitcnt lgkmcnt(0)
	v_mul_hi_u32 v0, s37, v11
	s_andn2_b64 vcc, exec, s[46:47]
	v_add_u32_e32 v0, v11, v0
	v_lshrrev_b32_e32 v1, s38, v0
	v_mul_lo_u32 v0, v1, s36
	v_sub_u32_e32 v0, v11, v0
	v_mul_lo_u32 v2, v0, s28
	v_mul_lo_u32 v0, v0, s29
	s_cbranch_vccnz .LBB40_563
; %bb.562:
	s_waitcnt vmcnt(0)
	v_mul_hi_u32 v3, s44, v1
	v_add_u32_e32 v3, v1, v3
	v_lshrrev_b32_e32 v3, s45, v3
	v_mul_lo_u32 v3, v3, s39
	v_sub_u32_e32 v1, v1, v3
	v_mad_u64_u32 v[2:3], s[0:1], v1, s30, v[2:3]
	v_mad_u64_u32 v[0:1], s[0:1], v1, s31, v[0:1]
.LBB40_563:
	s_waitcnt lgkmcnt(0)
	v_mov_b32_e32 v1, s27
	s_and_b32 s12, 0xffff, s74
	v_add_co_u32_e32 v0, vcc, s26, v0
	s_cmp_lt_i32 s12, 11
	v_addc_co_u32_e32 v1, vcc, 0, v1, vcc
	s_cbranch_scc1 .LBB40_570
; %bb.564:
	s_cmp_gt_i32 s12, 25
	s_cbranch_scc0 .LBB40_571
; %bb.565:
	s_cmp_gt_i32 s12, 28
	s_cbranch_scc0 .LBB40_572
	;; [unrolled: 3-line block ×4, first 2 shown]
; %bb.568:
	s_cmp_eq_u32 s12, 46
	s_mov_b64 s[8:9], 0
	s_cbranch_scc0 .LBB40_579
; %bb.569:
	global_load_dword v3, v[0:1], off
	s_mov_b64 s[0:1], -1
	s_mov_b64 s[2:3], 0
	s_waitcnt vmcnt(0)
	v_lshlrev_b32_e32 v3, 16, v3
	v_cvt_f64_f32_e32 v[3:4], v3
	s_branch .LBB40_580
.LBB40_570:
	s_mov_b64 s[8:9], -1
	s_mov_b64 s[0:1], 0
                                        ; implicit-def: $vgpr3_vgpr4
	s_mov_b64 s[2:3], s[58:59]
	s_branch .LBB40_645
.LBB40_571:
	s_mov_b64 s[8:9], -1
	s_mov_b64 s[0:1], 0
	s_mov_b64 s[2:3], s[58:59]
                                        ; implicit-def: $vgpr3_vgpr4
	s_branch .LBB40_611
.LBB40_572:
	s_mov_b64 s[8:9], -1
	s_mov_b64 s[0:1], 0
	s_mov_b64 s[2:3], s[58:59]
                                        ; implicit-def: $vgpr3_vgpr4
	s_branch .LBB40_590
.LBB40_573:
	s_mov_b64 s[8:9], -1
	s_mov_b64 s[0:1], 0
	s_mov_b64 s[2:3], s[58:59]
                                        ; implicit-def: $vgpr3_vgpr4
	s_branch .LBB40_585
.LBB40_574:
	s_andn2_saveexec_b64 s[12:13], s[12:13]
	s_cbranch_execz .LBB40_343
.LBB40_575:
	s_mov_b32 s16, 0x46000000
	v_add_f32_e64 v3, |v2|, s16
	v_and_b32_e32 v3, 0xff, v3
	v_cmp_ne_u32_e32 vcc, 0, v3
	s_andn2_b64 s[10:11], s[10:11], exec
	s_and_b64 s[16:17], vcc, exec
	s_or_b64 s[10:11], s[10:11], s[16:17]
	s_or_b64 exec, exec, s[12:13]
	v_mov_b32_e32 v6, 0
	s_and_saveexec_b64 s[12:13], s[10:11]
	s_cbranch_execnz .LBB40_344
	s_branch .LBB40_345
.LBB40_576:
	s_mov_b64 s[8:9], -1
	s_mov_b64 s[0:1], 0
	s_mov_b64 s[2:3], s[58:59]
                                        ; implicit-def: $vgpr3_vgpr4
	s_branch .LBB40_580
.LBB40_577:
	s_andn2_saveexec_b64 s[12:13], s[12:13]
	s_cbranch_execz .LBB40_356
.LBB40_578:
	s_mov_b32 s16, 0x42800000
	v_add_f32_e64 v3, |v2|, s16
	v_and_b32_e32 v3, 0xff, v3
	v_cmp_ne_u32_e32 vcc, 0, v3
	s_andn2_b64 s[10:11], s[10:11], exec
	s_and_b64 s[16:17], vcc, exec
	s_or_b64 s[10:11], s[10:11], s[16:17]
	s_or_b64 exec, exec, s[12:13]
	v_mov_b32_e32 v6, 0
	s_and_saveexec_b64 s[12:13], s[10:11]
	s_cbranch_execnz .LBB40_357
	s_branch .LBB40_358
.LBB40_579:
	s_mov_b64 s[2:3], -1
                                        ; implicit-def: $vgpr3_vgpr4
	s_mov_b64 s[0:1], 0
.LBB40_580:
	s_and_b64 vcc, exec, s[8:9]
	s_cbranch_vccz .LBB40_584
; %bb.581:
	s_cmp_eq_u32 s12, 44
	s_cbranch_scc0 .LBB40_583
; %bb.582:
	global_load_ubyte v5, v[0:1], off
	s_movk_i32 s2, 0xff
	v_bfrev_b32_e32 v6, 4
	v_mov_b32_e32 v7, 0x7ff80000
	v_bfrev_b32_e32 v8, 28
	s_mov_b64 s[0:1], -1
	s_waitcnt vmcnt(0)
	v_lshlrev_b32_e32 v3, 23, v5
	v_cvt_f64_f32_e32 v[3:4], v3
	v_cmp_ne_u32_e32 vcc, s2, v5
	s_mov_b64 s[2:3], 0
	v_cndmask_b32_e32 v3, v6, v3, vcc
	v_cndmask_b32_e32 v4, v7, v4, vcc
	v_cmp_ne_u32_e32 vcc, 0, v5
	v_cndmask_b32_e32 v4, v8, v4, vcc
	v_cndmask_b32_e32 v3, 0, v3, vcc
	s_branch .LBB40_584
.LBB40_583:
	s_mov_b64 s[2:3], -1
                                        ; implicit-def: $vgpr3_vgpr4
.LBB40_584:
	s_mov_b64 s[8:9], 0
.LBB40_585:
	s_and_b64 vcc, exec, s[8:9]
	s_cbranch_vccz .LBB40_589
; %bb.586:
	s_cmp_eq_u32 s12, 29
	s_cbranch_scc0 .LBB40_588
; %bb.587:
	global_load_dwordx2 v[3:4], v[0:1], off
	s_mov_b64 s[0:1], -1
	s_mov_b64 s[2:3], 0
	s_mov_b64 s[8:9], 0
	s_waitcnt vmcnt(0)
	v_cvt_f64_u32_e32 v[4:5], v4
	v_cvt_f64_u32_e32 v[6:7], v3
	v_ldexp_f64 v[4:5], v[4:5], 32
	v_add_f64 v[3:4], v[4:5], v[6:7]
	s_branch .LBB40_590
.LBB40_588:
	s_mov_b64 s[2:3], -1
                                        ; implicit-def: $vgpr3_vgpr4
.LBB40_589:
	s_mov_b64 s[8:9], 0
.LBB40_590:
	s_and_b64 vcc, exec, s[8:9]
	s_cbranch_vccz .LBB40_610
; %bb.591:
	s_cmp_lt_i32 s12, 27
	s_cbranch_scc1 .LBB40_594
; %bb.592:
	s_cmp_gt_i32 s12, 27
	s_cbranch_scc0 .LBB40_595
; %bb.593:
	global_load_dword v3, v[0:1], off
	s_mov_b64 s[0:1], 0
	s_waitcnt vmcnt(0)
	v_cvt_f64_u32_e32 v[3:4], v3
	s_branch .LBB40_596
.LBB40_594:
	s_mov_b64 s[0:1], -1
                                        ; implicit-def: $vgpr3_vgpr4
	s_branch .LBB40_599
.LBB40_595:
	s_mov_b64 s[0:1], -1
                                        ; implicit-def: $vgpr3_vgpr4
.LBB40_596:
	s_andn2_b64 vcc, exec, s[0:1]
	s_cbranch_vccnz .LBB40_598
; %bb.597:
	global_load_ushort v3, v[0:1], off
	s_waitcnt vmcnt(0)
	v_cvt_f64_u32_e32 v[3:4], v3
.LBB40_598:
	s_mov_b64 s[0:1], 0
.LBB40_599:
	s_andn2_b64 vcc, exec, s[0:1]
	s_cbranch_vccnz .LBB40_609
; %bb.600:
	global_load_ubyte v5, v[0:1], off
	s_movk_i32 s0, 0x7f
	s_waitcnt vmcnt(0)
	v_cmp_lt_i16_e32 vcc, s0, v5
	s_mov_b64 s[0:1], 0
	s_and_saveexec_b64 s[8:9], vcc
	s_xor_b64 s[8:9], exec, s[8:9]
	s_cbranch_execz .LBB40_604
; %bb.601:
	s_movk_i32 s0, 0x80
	v_cmp_eq_u16_e32 vcc, s0, v5
	s_mov_b64 s[0:1], -1
	s_and_saveexec_b64 s[10:11], vcc
; %bb.602:
	s_xor_b64 s[0:1], exec, -1
; %bb.603:
	s_or_b64 exec, exec, s[10:11]
	s_and_b64 s[0:1], s[0:1], exec
.LBB40_604:
	s_or_saveexec_b64 s[8:9], s[8:9]
	v_bfrev_b32_e32 v3, 4
	v_mov_b32_e32 v4, 0x7ff80000
	s_xor_b64 exec, exec, s[8:9]
; %bb.605:
	v_cmp_ne_u16_e32 vcc, 0, v5
	v_mov_b32_e32 v3, 0
	s_andn2_b64 s[0:1], s[0:1], exec
	s_and_b64 s[10:11], vcc, exec
	v_mov_b32_e32 v4, 0
	s_or_b64 s[0:1], s[0:1], s[10:11]
; %bb.606:
	s_or_b64 exec, exec, s[8:9]
	s_and_saveexec_b64 s[8:9], s[0:1]
	s_cbranch_execz .LBB40_608
; %bb.607:
	v_and_b32_e32 v4, 0xffff, v5
	v_lshlrev_b32_e32 v3, 24, v5
	v_and_b32_e32 v5, 7, v4
	v_ffbh_u32_e32 v7, v5
	v_min_u32_e32 v7, 32, v7
	v_subrev_u32_e32 v8, 28, v7
	v_bfe_u32 v6, v4, 3, 4
	v_lshlrev_b32_e32 v4, v8, v4
	v_sub_u32_e32 v7, 29, v7
	v_and_b32_e32 v4, 7, v4
	v_cmp_eq_u32_e32 vcc, 0, v6
	v_cndmask_b32_e32 v6, v6, v7, vcc
	v_cndmask_b32_e32 v4, v5, v4, vcc
	v_mov_b32_e32 v5, 0x3b800000
	v_lshlrev_b32_e32 v4, 20, v4
	v_and_b32_e32 v3, 0x80000000, v3
	v_lshl_add_u32 v5, v6, 23, v5
	v_or3_b32 v3, v3, v5, v4
	v_cvt_f64_f32_e32 v[3:4], v3
.LBB40_608:
	s_or_b64 exec, exec, s[8:9]
.LBB40_609:
	s_mov_b64 s[0:1], -1
.LBB40_610:
	s_mov_b64 s[8:9], 0
.LBB40_611:
	s_and_b64 vcc, exec, s[8:9]
	s_cbranch_vccz .LBB40_644
; %bb.612:
	s_cmp_gt_i32 s12, 22
	s_cbranch_scc0 .LBB40_624
; %bb.613:
	s_cmp_lt_i32 s12, 24
	s_cbranch_scc1 .LBB40_625
; %bb.614:
	s_cmp_gt_i32 s12, 24
	s_cbranch_scc0 .LBB40_626
; %bb.615:
	global_load_ubyte v5, v[0:1], off
	s_movk_i32 s0, 0x7f
	s_waitcnt vmcnt(0)
	v_cmp_lt_i16_e32 vcc, s0, v5
	s_mov_b64 s[0:1], 0
	s_and_saveexec_b64 s[8:9], vcc
	s_xor_b64 s[8:9], exec, s[8:9]
	s_cbranch_execz .LBB40_619
; %bb.616:
	s_movk_i32 s0, 0x80
	v_cmp_eq_u16_e32 vcc, s0, v5
	s_mov_b64 s[0:1], -1
	s_and_saveexec_b64 s[10:11], vcc
; %bb.617:
	s_xor_b64 s[0:1], exec, -1
; %bb.618:
	s_or_b64 exec, exec, s[10:11]
	s_and_b64 s[0:1], s[0:1], exec
.LBB40_619:
	s_or_saveexec_b64 s[8:9], s[8:9]
	v_bfrev_b32_e32 v3, 4
	v_mov_b32_e32 v4, 0x7ff80000
	s_xor_b64 exec, exec, s[8:9]
; %bb.620:
	v_cmp_ne_u16_e32 vcc, 0, v5
	v_mov_b32_e32 v3, 0
	s_andn2_b64 s[0:1], s[0:1], exec
	s_and_b64 s[10:11], vcc, exec
	v_mov_b32_e32 v4, 0
	s_or_b64 s[0:1], s[0:1], s[10:11]
; %bb.621:
	s_or_b64 exec, exec, s[8:9]
	s_and_saveexec_b64 s[8:9], s[0:1]
	s_cbranch_execz .LBB40_623
; %bb.622:
	v_and_b32_e32 v4, 0xffff, v5
	v_lshlrev_b32_e32 v3, 24, v5
	v_and_b32_e32 v5, 3, v4
	v_ffbh_u32_e32 v7, v5
	v_min_u32_e32 v7, 32, v7
	v_subrev_u32_e32 v8, 29, v7
	v_bfe_u32 v6, v4, 2, 5
	v_lshlrev_b32_e32 v4, v8, v4
	v_sub_u32_e32 v7, 30, v7
	v_and_b32_e32 v4, 3, v4
	v_cmp_eq_u32_e32 vcc, 0, v6
	v_cndmask_b32_e32 v6, v6, v7, vcc
	v_cndmask_b32_e32 v4, v5, v4, vcc
	v_mov_b32_e32 v5, 0x37800000
	v_lshlrev_b32_e32 v4, 21, v4
	v_and_b32_e32 v3, 0x80000000, v3
	v_lshl_add_u32 v5, v6, 23, v5
	v_or3_b32 v3, v3, v5, v4
	v_cvt_f64_f32_e32 v[3:4], v3
.LBB40_623:
	s_or_b64 exec, exec, s[8:9]
	s_mov_b64 s[0:1], 0
	s_branch .LBB40_627
.LBB40_624:
	s_mov_b64 s[8:9], -1
                                        ; implicit-def: $vgpr3_vgpr4
	s_branch .LBB40_633
.LBB40_625:
	s_mov_b64 s[0:1], -1
                                        ; implicit-def: $vgpr3_vgpr4
	s_branch .LBB40_630
.LBB40_626:
	s_mov_b64 s[0:1], -1
                                        ; implicit-def: $vgpr3_vgpr4
.LBB40_627:
	s_and_b64 vcc, exec, s[0:1]
	s_cbranch_vccz .LBB40_629
; %bb.628:
	global_load_ubyte v3, v[0:1], off
	s_mov_b32 s0, 0x7f800000
	s_waitcnt vmcnt(0)
	v_lshlrev_b32_e32 v3, 24, v3
	v_and_b32_e32 v4, 0x7f000000, v3
	v_ffbh_u32_e32 v5, v4
	v_min_u32_e32 v5, 32, v5
	v_sub_u32_e64 v5, v5, 4 clamp
	v_lshlrev_b32_e32 v7, v5, v4
	v_lshlrev_b32_e32 v5, 23, v5
	v_lshrrev_b32_e32 v7, 4, v7
	v_add_u32_e32 v6, 0x1000000, v4
	v_sub_u32_e32 v5, v7, v5
	v_ashrrev_i32_e32 v6, 8, v6
	v_add_u32_e32 v5, 0x3c000000, v5
	v_and_or_b32 v5, v6, s0, v5
	v_cmp_ne_u32_e32 vcc, 0, v4
	v_cndmask_b32_e32 v4, 0, v5, vcc
	s_brev_b32 s0, 1
	v_and_or_b32 v3, v3, s0, v4
	v_cvt_f64_f32_e32 v[3:4], v3
.LBB40_629:
	s_mov_b64 s[0:1], 0
.LBB40_630:
	s_andn2_b64 vcc, exec, s[0:1]
	s_cbranch_vccnz .LBB40_632
; %bb.631:
	global_load_ubyte v3, v[0:1], off
	s_movk_i32 s0, 0x7f00
	s_brev_b32 s1, 16
	s_waitcnt vmcnt(0)
	v_lshlrev_b16_e32 v4, 8, v3
	v_lshlrev_b32_e32 v3, 25, v3
	v_lshrrev_b32_e32 v5, 4, v3
	v_and_or_b32 v6, v4, s0, 0.5
	v_or_b32_e32 v5, 0x70000000, v5
	v_add_f32_e32 v6, -0.5, v6
	v_mul_f32_e32 v5, 0x7800000, v5
	v_cmp_gt_u32_e32 vcc, s1, v3
	v_bfe_i32 v4, v4, 0, 16
	v_cndmask_b32_e32 v3, v5, v6, vcc
	s_brev_b32 s0, 1
	v_and_or_b32 v3, v4, s0, v3
	v_cvt_f64_f32_e32 v[3:4], v3
.LBB40_632:
	s_mov_b64 s[8:9], 0
	s_mov_b64 s[0:1], -1
.LBB40_633:
	s_andn2_b64 vcc, exec, s[8:9]
	s_cbranch_vccnz .LBB40_644
; %bb.634:
	s_cmp_gt_i32 s12, 14
	s_cbranch_scc0 .LBB40_637
; %bb.635:
	s_cmp_eq_u32 s12, 15
	s_cbranch_scc0 .LBB40_638
; %bb.636:
	global_load_ushort v3, v[0:1], off
	s_mov_b64 s[0:1], -1
	s_mov_b64 s[2:3], 0
	s_waitcnt vmcnt(0)
	v_lshlrev_b32_e32 v3, 16, v3
	v_cvt_f64_f32_e32 v[3:4], v3
	s_branch .LBB40_639
.LBB40_637:
	s_mov_b64 s[8:9], -1
                                        ; implicit-def: $vgpr3_vgpr4
	s_branch .LBB40_640
.LBB40_638:
	s_mov_b64 s[2:3], -1
                                        ; implicit-def: $vgpr3_vgpr4
.LBB40_639:
	s_mov_b64 s[8:9], 0
.LBB40_640:
	s_and_b64 vcc, exec, s[8:9]
	s_cbranch_vccz .LBB40_644
; %bb.641:
	s_cmp_eq_u32 s12, 11
	s_cbranch_scc0 .LBB40_643
; %bb.642:
	global_load_ubyte v4, v[0:1], off
	v_mov_b32_e32 v5, 0x3ff00000
	s_waitcnt vmcnt(1)
	v_mov_b32_e32 v3, 0
	s_mov_b64 s[0:1], -1
	s_mov_b64 s[2:3], 0
	s_waitcnt vmcnt(0)
	v_cmp_ne_u16_e32 vcc, 0, v4
	v_cndmask_b32_e32 v4, 0, v5, vcc
	s_branch .LBB40_644
.LBB40_643:
	s_mov_b64 s[2:3], -1
                                        ; implicit-def: $vgpr3_vgpr4
.LBB40_644:
	s_mov_b64 s[8:9], 0
.LBB40_645:
	s_and_b64 vcc, exec, s[8:9]
	s_cbranch_vccz .LBB40_694
; %bb.646:
	s_cmp_lt_i32 s12, 5
	s_cbranch_scc1 .LBB40_651
; %bb.647:
	s_cmp_lt_i32 s12, 8
	s_cbranch_scc1 .LBB40_652
	;; [unrolled: 3-line block ×3, first 2 shown]
; %bb.649:
	s_cmp_gt_i32 s12, 9
	s_cbranch_scc0 .LBB40_654
; %bb.650:
	global_load_dwordx2 v[3:4], v[0:1], off
	s_mov_b64 s[0:1], 0
	s_branch .LBB40_655
.LBB40_651:
	s_mov_b64 s[0:1], -1
                                        ; implicit-def: $vgpr3_vgpr4
	s_branch .LBB40_673
.LBB40_652:
	s_mov_b64 s[0:1], -1
                                        ; implicit-def: $vgpr3_vgpr4
	s_branch .LBB40_661
.LBB40_653:
	s_mov_b64 s[0:1], -1
                                        ; implicit-def: $vgpr3_vgpr4
	s_branch .LBB40_658
.LBB40_654:
	s_mov_b64 s[0:1], -1
                                        ; implicit-def: $vgpr3_vgpr4
.LBB40_655:
	s_andn2_b64 vcc, exec, s[0:1]
	s_cbranch_vccnz .LBB40_657
; %bb.656:
	global_load_dword v3, v[0:1], off
	s_waitcnt vmcnt(0)
	v_cvt_f64_f32_e32 v[3:4], v3
.LBB40_657:
	s_mov_b64 s[0:1], 0
.LBB40_658:
	s_andn2_b64 vcc, exec, s[0:1]
	s_cbranch_vccnz .LBB40_660
; %bb.659:
	global_load_dword v3, v[0:1], off
	s_waitcnt vmcnt(0)
	v_cvt_f32_f16_e32 v3, v3
	v_cvt_f64_f32_e32 v[3:4], v3
.LBB40_660:
	s_mov_b64 s[0:1], 0
.LBB40_661:
	s_andn2_b64 vcc, exec, s[0:1]
	s_cbranch_vccnz .LBB40_672
; %bb.662:
	s_cmp_lt_i32 s12, 6
	s_cbranch_scc1 .LBB40_665
; %bb.663:
	s_cmp_gt_i32 s12, 6
	s_cbranch_scc0 .LBB40_666
; %bb.664:
	global_load_dwordx2 v[3:4], v[0:1], off
	s_mov_b64 s[0:1], 0
	s_branch .LBB40_667
.LBB40_665:
	s_mov_b64 s[0:1], -1
                                        ; implicit-def: $vgpr3_vgpr4
	s_branch .LBB40_670
.LBB40_666:
	s_mov_b64 s[0:1], -1
                                        ; implicit-def: $vgpr3_vgpr4
.LBB40_667:
	s_andn2_b64 vcc, exec, s[0:1]
	s_cbranch_vccnz .LBB40_669
; %bb.668:
	global_load_dword v3, v[0:1], off
	s_waitcnt vmcnt(0)
	v_cvt_f64_f32_e32 v[3:4], v3
.LBB40_669:
	s_mov_b64 s[0:1], 0
.LBB40_670:
	s_andn2_b64 vcc, exec, s[0:1]
	s_cbranch_vccnz .LBB40_672
; %bb.671:
	global_load_ushort v3, v[0:1], off
	s_waitcnt vmcnt(0)
	v_cvt_f32_f16_e32 v3, v3
	v_cvt_f64_f32_e32 v[3:4], v3
.LBB40_672:
	s_mov_b64 s[0:1], 0
.LBB40_673:
	s_andn2_b64 vcc, exec, s[0:1]
	s_cbranch_vccnz .LBB40_693
; %bb.674:
	s_cmp_lt_i32 s12, 2
	s_cbranch_scc1 .LBB40_678
; %bb.675:
	s_cmp_lt_i32 s12, 3
	s_cbranch_scc1 .LBB40_679
; %bb.676:
	s_cmp_gt_i32 s12, 3
	s_cbranch_scc0 .LBB40_680
; %bb.677:
	global_load_dwordx2 v[3:4], v[0:1], off
	s_mov_b64 s[0:1], 0
	s_waitcnt vmcnt(0)
	v_cvt_f64_i32_e32 v[4:5], v4
	v_cvt_f64_u32_e32 v[6:7], v3
	v_ldexp_f64 v[4:5], v[4:5], 32
	v_add_f64 v[3:4], v[4:5], v[6:7]
	s_branch .LBB40_681
.LBB40_678:
	s_mov_b64 s[0:1], -1
                                        ; implicit-def: $vgpr3_vgpr4
	s_branch .LBB40_687
.LBB40_679:
	s_mov_b64 s[0:1], -1
                                        ; implicit-def: $vgpr3_vgpr4
	s_branch .LBB40_684
.LBB40_680:
	s_mov_b64 s[0:1], -1
                                        ; implicit-def: $vgpr3_vgpr4
.LBB40_681:
	s_andn2_b64 vcc, exec, s[0:1]
	s_cbranch_vccnz .LBB40_683
; %bb.682:
	global_load_dword v3, v[0:1], off
	s_waitcnt vmcnt(0)
	v_cvt_f64_i32_e32 v[3:4], v3
.LBB40_683:
	s_mov_b64 s[0:1], 0
.LBB40_684:
	s_andn2_b64 vcc, exec, s[0:1]
	s_cbranch_vccnz .LBB40_686
; %bb.685:
	global_load_sshort v3, v[0:1], off
	s_waitcnt vmcnt(0)
	v_cvt_f64_i32_e32 v[3:4], v3
.LBB40_686:
	s_mov_b64 s[0:1], 0
.LBB40_687:
	s_andn2_b64 vcc, exec, s[0:1]
	s_cbranch_vccnz .LBB40_693
; %bb.688:
	s_cmp_gt_i32 s12, 0
	s_cbranch_scc0 .LBB40_690
; %bb.689:
	global_load_sbyte v3, v[0:1], off
	s_mov_b64 s[0:1], 0
	s_waitcnt vmcnt(0)
	v_cvt_f64_i32_e32 v[3:4], v3
	s_branch .LBB40_691
.LBB40_690:
	s_mov_b64 s[0:1], -1
                                        ; implicit-def: $vgpr3_vgpr4
.LBB40_691:
	s_andn2_b64 vcc, exec, s[0:1]
	s_cbranch_vccnz .LBB40_693
; %bb.692:
	global_load_ubyte v0, v[0:1], off
	s_waitcnt vmcnt(0)
	v_cvt_f64_u32_e32 v[3:4], v0
.LBB40_693:
	s_mov_b64 s[0:1], -1
.LBB40_694:
	s_andn2_b64 vcc, exec, s[0:1]
	s_cbranch_vccnz .LBB40_704
; %bb.695:
	s_waitcnt vmcnt(0)
	v_fma_f64 v[5:6], |v[3:4]|, -0.5, 0.5
	v_mul_f64 v[0:1], v[3:4], v[3:4]
	v_cmp_ge_f64_e64 vcc, |v[3:4]|, 0.5
	s_mov_b32 s0, 0x9fea6a70
	v_mov_b32_e32 v7, 0x78a05eaf
	v_mov_b32_e32 v8, 0xbf90a5a3
	s_mov_b32 s1, 0x3fa05985
	v_cndmask_b32_e32 v1, v1, v6, vcc
	v_cndmask_b32_e32 v0, v0, v5, vcc
	v_fma_f64 v[7:8], v[0:1], s[0:1], v[7:8]
	s_mov_b32 s0, 0x37024d6a
	s_mov_b32 s1, 0x3f940521
	v_fma_f64 v[7:8], v[0:1], v[7:8], s[0:1]
	s_mov_b32 s0, 0x98a70509
	s_mov_b32 s1, 0x3f7ab3a0
	;; [unrolled: 3-line block ×10, first 2 shown]
	v_fma_f64 v[7:8], v[0:1], v[7:8], s[0:1]
	v_mul_f64 v[7:8], v[0:1], v[7:8]
	v_fma_f64 v[0:1], |v[3:4]|, v[7:8], |v[3:4]|
	s_and_saveexec_b64 s[0:1], vcc
	s_cbranch_execz .LBB40_697
; %bb.696:
	v_rsq_f64_e32 v[0:1], v[5:6]
	v_cmp_eq_f64_e32 vcc, 0, v[5:6]
	s_mov_b32 s8, 0x54442d18
	s_mov_b32 s9, 0x3fe921fb
	v_mul_f64 v[9:10], v[5:6], v[0:1]
	v_mul_f64 v[0:1], v[0:1], 0.5
	v_fma_f64 v[12:13], -v[0:1], v[9:10], 0.5
	v_fma_f64 v[9:10], v[9:10], v[12:13], v[9:10]
	v_fma_f64 v[0:1], v[0:1], v[12:13], v[0:1]
	v_fma_f64 v[12:13], -v[9:10], v[9:10], v[5:6]
	v_fma_f64 v[0:1], v[12:13], v[0:1], v[9:10]
	v_cndmask_b32_e32 v1, v1, v6, vcc
	v_cndmask_b32_e32 v0, v0, v5, vcc
	v_add_f64 v[9:10], v[0:1], v[0:1]
	v_mul_f64 v[12:13], v[0:1], v[0:1]
	v_rcp_f64_e32 v[14:15], v[9:10]
	v_add_f64 v[16:17], v[5:6], -v[12:13]
	v_fma_f64 v[20:21], v[0:1], v[0:1], -v[12:13]
	v_add_f64 v[5:6], v[5:6], -v[16:17]
	v_fma_f64 v[18:19], -v[9:10], v[14:15], 1.0
	v_add_f64 v[5:6], v[5:6], -v[12:13]
	v_fma_f64 v[12:13], v[18:19], v[14:15], v[14:15]
	v_add_f64 v[5:6], v[5:6], -v[20:21]
	v_fma_f64 v[14:15], -v[9:10], v[12:13], 1.0
	v_add_f64 v[5:6], v[16:17], v[5:6]
	v_fma_f64 v[12:13], v[14:15], v[12:13], v[12:13]
	v_mul_f64 v[14:15], v[5:6], v[12:13]
	v_fma_f64 v[5:6], -v[9:10], v[14:15], v[5:6]
	v_fma_f64 v[5:6], v[5:6], v[12:13], v[14:15]
	v_cndmask_b32_e64 v6, v6, 0, vcc
	v_cndmask_b32_e64 v5, v5, 0, vcc
	v_add_f64 v[9:10], v[0:1], v[5:6]
	v_cmp_neq_f64_e64 vcc, |v[3:4]|, 1.0
	v_mov_b32_e32 v3, 0x54442d18
	v_add_f64 v[0:1], v[9:10], -v[0:1]
	v_mul_f64 v[12:13], v[7:8], v[9:10]
	v_add_f64 v[0:1], v[5:6], -v[0:1]
	v_fma_f64 v[5:6], v[9:10], v[7:8], -v[12:13]
	v_fma_f64 v[5:6], v[0:1], v[7:8], v[5:6]
	v_add_f64 v[7:8], v[12:13], v[5:6]
	v_add_f64 v[14:15], v[9:10], v[7:8]
	v_add_f64 v[12:13], v[7:8], -v[12:13]
	v_add_f64 v[9:10], v[14:15], -v[9:10]
	;; [unrolled: 1-line block ×4, first 2 shown]
	v_add_f64 v[0:1], v[0:1], v[5:6]
	v_add_f64 v[0:1], v[0:1], v[7:8]
	;; [unrolled: 1-line block ×3, first 2 shown]
	v_add_f64 v[7:8], -v[5:6], s[8:9]
	v_add_f64 v[12:13], v[5:6], -v[14:15]
	v_add_f64 v[9:10], -v[7:8], s[8:9]
	s_mov_b32 s8, 0x33145c07
	s_mov_b32 s9, 0x3c81a626
	v_add_f64 v[0:1], v[12:13], -v[0:1]
	v_add_f64 v[5:6], v[9:10], -v[5:6]
	v_add_f64 v[5:6], v[5:6], s[8:9]
	v_add_f64 v[0:1], v[0:1], v[5:6]
	v_mov_b32_e32 v5, 0x3ff921fb
	v_add_f64 v[0:1], v[7:8], v[0:1]
	v_add_f64 v[0:1], v[0:1], v[0:1]
	v_cndmask_b32_e32 v1, v5, v1, vcc
	v_cndmask_b32_e32 v0, v3, v0, vcc
.LBB40_697:
	s_or_b64 exec, exec, s[0:1]
	s_brev_b32 s0, -2
	v_bfi_b32 v1, s0, v1, v4
	v_mov_b32_e32 v3, s25
	s_and_b32 s14, s73, 0xff
	v_add_co_u32_e32 v4, vcc, s24, v2
	s_cmp_lt_i32 s14, 11
	v_addc_co_u32_e32 v5, vcc, 0, v3, vcc
	s_cbranch_scc1 .LBB40_705
; %bb.698:
	s_and_b32 s15, 0xffff, s14
	s_cmp_gt_i32 s15, 25
	s_cbranch_scc0 .LBB40_706
; %bb.699:
	s_cmp_gt_i32 s15, 28
	s_cbranch_scc0 .LBB40_707
; %bb.700:
	;; [unrolled: 3-line block ×4, first 2 shown]
	s_mov_b64 s[10:11], 0
	s_mov_b64 s[0:1], -1
	s_cmp_eq_u32 s15, 46
	s_mov_b64 s[8:9], 0
	s_cbranch_scc0 .LBB40_710
; %bb.703:
	v_cvt_f32_f64_e32 v2, v[0:1]
	s_movk_i32 s0, 0x7fff
	v_mov_b32_e32 v3, 0x7fc0
	s_mov_b64 s[8:9], -1
	v_bfe_u32 v6, v2, 16, 1
	v_cmp_o_f32_e32 vcc, v2, v2
	v_add3_u32 v2, v2, v6, s0
	v_cndmask_b32_sdwa v2, v3, v2, vcc dst_sel:DWORD dst_unused:UNUSED_PAD src0_sel:DWORD src1_sel:WORD_1
	global_store_dword v[4:5], v2, off
	s_mov_b64 s[0:1], 0
	s_branch .LBB40_710
.LBB40_704:
	s_mov_b64 s[8:9], 0
	s_mov_b64 s[0:1], s[60:61]
	s_branch .LBB40_821
.LBB40_705:
	s_mov_b64 s[10:11], -1
	s_mov_b64 s[8:9], 0
	s_mov_b64 s[0:1], s[60:61]
	s_branch .LBB40_779
.LBB40_706:
	s_mov_b64 s[10:11], -1
	s_mov_b64 s[8:9], 0
	s_mov_b64 s[0:1], s[60:61]
	s_branch .LBB40_737
.LBB40_707:
	s_mov_b64 s[10:11], -1
	s_mov_b64 s[8:9], 0
	s_mov_b64 s[0:1], s[60:61]
	s_branch .LBB40_720
.LBB40_708:
	s_mov_b64 s[10:11], -1
	s_mov_b64 s[8:9], 0
	s_mov_b64 s[0:1], s[60:61]
	s_branch .LBB40_716
.LBB40_709:
	s_mov_b64 s[10:11], -1
	s_mov_b64 s[8:9], 0
	s_mov_b64 s[0:1], s[60:61]
.LBB40_710:
	s_and_b64 vcc, exec, s[10:11]
	s_cbranch_vccz .LBB40_715
; %bb.711:
	s_cmp_eq_u32 s15, 44
	s_mov_b64 s[0:1], -1
	s_cbranch_scc0 .LBB40_715
; %bb.712:
	v_cvt_f32_f64_e32 v2, v[0:1]
	s_movk_i32 s0, 0xff
	v_mov_b32_e32 v6, 0xff
	v_bfe_u32 v3, v2, 23, 8
	v_cmp_ne_u32_e32 vcc, s0, v3
	s_and_saveexec_b64 s[8:9], vcc
; %bb.713:
	s_mov_b32 s0, 0x3fffff
	v_lshrrev_b32_e32 v6, 23, v2
	v_and_b32_e32 v7, 0x400000, v2
	v_and_or_b32 v2, v2, s0, v3
	v_cmp_ne_u32_e32 vcc, 0, v7
	v_cmp_ne_u32_e64 s[0:1], 0, v2
	s_and_b64 s[0:1], vcc, s[0:1]
	v_cndmask_b32_e64 v2, 0, 1, s[0:1]
	v_add_u32_e32 v6, v6, v2
; %bb.714:
	s_or_b64 exec, exec, s[8:9]
	s_mov_b64 s[8:9], -1
	s_mov_b64 s[0:1], 0
	global_store_byte v[4:5], v6, off
.LBB40_715:
	s_mov_b64 s[10:11], 0
.LBB40_716:
	s_and_b64 vcc, exec, s[10:11]
	s_cbranch_vccz .LBB40_719
; %bb.717:
	s_cmp_eq_u32 s15, 29
	s_mov_b64 s[0:1], -1
	s_cbranch_scc0 .LBB40_719
; %bb.718:
	v_trunc_f64_e32 v[2:3], v[0:1]
	s_movk_i32 s0, 0xffe0
	s_mov_b64 s[8:9], -1
	s_mov_b64 s[10:11], 0
	v_ldexp_f64 v[6:7], v[2:3], s0
	s_mov_b32 s0, 0
	s_mov_b32 s1, 0xc1f00000
	v_floor_f64_e32 v[6:7], v[6:7]
	v_fma_f64 v[2:3], v[6:7], s[0:1], v[2:3]
	v_cvt_u32_f64_e32 v7, v[6:7]
	s_mov_b64 s[0:1], 0
	v_cvt_u32_f64_e32 v6, v[2:3]
	global_store_dwordx2 v[4:5], v[6:7], off
	s_branch .LBB40_720
.LBB40_719:
	s_mov_b64 s[10:11], 0
.LBB40_720:
	s_and_b64 vcc, exec, s[10:11]
	s_cbranch_vccz .LBB40_736
; %bb.721:
	s_cmp_lt_i32 s15, 27
	s_mov_b64 s[8:9], -1
	s_cbranch_scc1 .LBB40_727
; %bb.722:
	v_cvt_u32_f64_e32 v2, v[0:1]
	s_cmp_gt_i32 s15, 27
	s_cbranch_scc0 .LBB40_724
; %bb.723:
	s_mov_b64 s[8:9], 0
	global_store_dword v[4:5], v2, off
.LBB40_724:
	s_andn2_b64 vcc, exec, s[8:9]
	s_cbranch_vccnz .LBB40_726
; %bb.725:
	global_store_short v[4:5], v2, off
.LBB40_726:
	s_mov_b64 s[8:9], 0
.LBB40_727:
	s_andn2_b64 vcc, exec, s[8:9]
	s_cbranch_vccnz .LBB40_735
; %bb.728:
	v_cvt_f32_f64_e32 v2, v[0:1]
	s_mov_b32 s8, 0x43800000
	v_mov_b32_e32 v6, 0x80
	v_and_b32_e32 v3, 0x7fffffff, v2
	v_cmp_gt_u32_e32 vcc, s8, v3
	s_and_saveexec_b64 s[8:9], vcc
	s_cbranch_execz .LBB40_734
; %bb.729:
	s_mov_b32 s10, 0x3bffffff
	v_cmp_lt_u32_e32 vcc, s10, v3
	s_mov_b64 s[10:11], 0
                                        ; implicit-def: $vgpr3
	s_and_saveexec_b64 s[12:13], vcc
	s_xor_b64 s[12:13], exec, s[12:13]
	s_cbranch_execz .LBB40_851
; %bb.730:
	v_bfe_u32 v3, v2, 20, 1
	s_mov_b32 s16, 0x487ffff
	v_add3_u32 v3, v2, v3, s16
	s_mov_b64 s[10:11], exec
	v_lshrrev_b32_e32 v3, 20, v3
	s_andn2_saveexec_b64 s[12:13], s[12:13]
	s_cbranch_execnz .LBB40_852
.LBB40_731:
	s_or_b64 exec, exec, s[12:13]
	v_mov_b32_e32 v6, 0
	s_and_saveexec_b64 s[12:13], s[10:11]
.LBB40_732:
	v_lshrrev_b32_e32 v2, 24, v2
	s_movk_i32 s10, 0x80
	v_and_or_b32 v6, v2, s10, v3
.LBB40_733:
	s_or_b64 exec, exec, s[12:13]
.LBB40_734:
	s_or_b64 exec, exec, s[8:9]
	global_store_byte v[4:5], v6, off
.LBB40_735:
	s_mov_b64 s[8:9], -1
.LBB40_736:
	s_mov_b64 s[10:11], 0
.LBB40_737:
	s_and_b64 vcc, exec, s[10:11]
	s_cbranch_vccz .LBB40_778
; %bb.738:
	s_cmp_gt_i32 s15, 22
	s_mov_b64 s[10:11], -1
	s_cbranch_scc0 .LBB40_770
; %bb.739:
	s_cmp_lt_i32 s15, 24
	s_mov_b64 s[8:9], -1
	s_cbranch_scc1 .LBB40_759
; %bb.740:
	s_cmp_gt_i32 s15, 24
	s_cbranch_scc0 .LBB40_748
; %bb.741:
	v_cvt_f32_f64_e32 v2, v[0:1]
	s_mov_b32 s8, 0x47800000
	v_mov_b32_e32 v6, 0x80
	v_and_b32_e32 v3, 0x7fffffff, v2
	v_cmp_gt_u32_e32 vcc, s8, v3
	s_and_saveexec_b64 s[8:9], vcc
	s_cbranch_execz .LBB40_747
; %bb.742:
	s_mov_b32 s10, 0x37ffffff
	v_cmp_lt_u32_e32 vcc, s10, v3
	s_mov_b64 s[10:11], 0
                                        ; implicit-def: $vgpr3
	s_and_saveexec_b64 s[12:13], vcc
	s_xor_b64 s[12:13], exec, s[12:13]
	s_cbranch_execz .LBB40_854
; %bb.743:
	v_bfe_u32 v3, v2, 21, 1
	s_mov_b32 s16, 0x88fffff
	v_add3_u32 v3, v2, v3, s16
	s_mov_b64 s[10:11], exec
	v_lshrrev_b32_e32 v3, 21, v3
	s_andn2_saveexec_b64 s[12:13], s[12:13]
	s_cbranch_execnz .LBB40_855
.LBB40_744:
	s_or_b64 exec, exec, s[12:13]
	v_mov_b32_e32 v6, 0
	s_and_saveexec_b64 s[12:13], s[10:11]
.LBB40_745:
	v_lshrrev_b32_e32 v2, 24, v2
	s_movk_i32 s10, 0x80
	v_and_or_b32 v6, v2, s10, v3
.LBB40_746:
	s_or_b64 exec, exec, s[12:13]
.LBB40_747:
	s_or_b64 exec, exec, s[8:9]
	s_mov_b64 s[8:9], 0
	global_store_byte v[4:5], v6, off
.LBB40_748:
	s_and_b64 vcc, exec, s[8:9]
	s_cbranch_vccz .LBB40_758
; %bb.749:
	v_cvt_f32_f64_e32 v2, v[0:1]
	s_mov_b32 s8, 0x43f00000
                                        ; implicit-def: $vgpr3
	v_and_b32_e32 v6, 0x7fffffff, v2
	v_cmp_gt_u32_e32 vcc, s8, v6
	s_and_saveexec_b64 s[8:9], vcc
	s_xor_b64 s[8:9], exec, s[8:9]
	s_cbranch_execz .LBB40_755
; %bb.750:
	s_mov_b32 s10, 0x3c7fffff
	v_cmp_lt_u32_e32 vcc, s10, v6
                                        ; implicit-def: $vgpr3
	s_and_saveexec_b64 s[10:11], vcc
	s_xor_b64 s[10:11], exec, s[10:11]
; %bb.751:
	v_bfe_u32 v3, v2, 20, 1
	s_mov_b32 s12, 0x407ffff
	v_add3_u32 v3, v2, v3, s12
	v_lshrrev_b32_e32 v6, 20, v3
	v_and_b32_e32 v3, 0xff00000, v3
	s_mov_b32 s12, 0x7f00000
	v_mov_b32_e32 v7, 0x7e
	v_cmp_ne_u32_e32 vcc, s12, v3
	v_cndmask_b32_e32 v3, v7, v6, vcc
; %bb.752:
	s_andn2_saveexec_b64 s[10:11], s[10:11]
; %bb.753:
	s_mov_b32 s12, 0x46800000
	v_add_f32_e64 v3, |v2|, s12
; %bb.754:
	s_or_b64 exec, exec, s[10:11]
                                        ; implicit-def: $vgpr6
.LBB40_755:
	s_andn2_saveexec_b64 s[8:9], s[8:9]
; %bb.756:
	s_mov_b32 s10, 0x7f800000
	v_mov_b32_e32 v3, 0x7e
	v_mov_b32_e32 v7, 0x7f
	v_cmp_lt_u32_e32 vcc, s10, v6
	v_cndmask_b32_e32 v3, v3, v7, vcc
; %bb.757:
	s_or_b64 exec, exec, s[8:9]
	v_lshrrev_b32_e32 v2, 24, v2
	s_movk_i32 s8, 0x80
	v_and_or_b32 v2, v2, s8, v3
	global_store_byte v[4:5], v2, off
.LBB40_758:
	s_mov_b64 s[8:9], 0
.LBB40_759:
	s_andn2_b64 vcc, exec, s[8:9]
	s_cbranch_vccnz .LBB40_769
; %bb.760:
	v_cvt_f32_f64_e32 v2, v[0:1]
	s_mov_b32 s8, 0x47800000
                                        ; implicit-def: $vgpr3
	v_and_b32_e32 v6, 0x7fffffff, v2
	v_cmp_gt_u32_e32 vcc, s8, v6
	s_and_saveexec_b64 s[8:9], vcc
	s_xor_b64 s[8:9], exec, s[8:9]
	s_cbranch_execz .LBB40_766
; %bb.761:
	s_mov_b32 s10, 0x387fffff
	v_cmp_lt_u32_e32 vcc, s10, v6
                                        ; implicit-def: $vgpr3
	s_and_saveexec_b64 s[10:11], vcc
	s_xor_b64 s[10:11], exec, s[10:11]
; %bb.762:
	v_bfe_u32 v3, v2, 21, 1
	s_mov_b32 s12, 0x80fffff
	v_add3_u32 v3, v2, v3, s12
	v_lshrrev_b32_e32 v3, 21, v3
; %bb.763:
	s_andn2_saveexec_b64 s[10:11], s[10:11]
; %bb.764:
	s_mov_b32 s12, 0x43000000
	v_add_f32_e64 v3, |v2|, s12
; %bb.765:
	s_or_b64 exec, exec, s[10:11]
                                        ; implicit-def: $vgpr6
.LBB40_766:
	s_andn2_saveexec_b64 s[8:9], s[8:9]
; %bb.767:
	s_mov_b32 s10, 0x7f800000
	v_mov_b32_e32 v3, 0x7c
	v_mov_b32_e32 v7, 0x7f
	v_cmp_lt_u32_e32 vcc, s10, v6
	v_cndmask_b32_e32 v3, v3, v7, vcc
; %bb.768:
	s_or_b64 exec, exec, s[8:9]
	v_lshrrev_b32_e32 v2, 24, v2
	s_movk_i32 s8, 0x80
	v_and_or_b32 v2, v2, s8, v3
	global_store_byte v[4:5], v2, off
.LBB40_769:
	s_mov_b64 s[10:11], 0
	s_mov_b64 s[8:9], -1
.LBB40_770:
	s_andn2_b64 vcc, exec, s[10:11]
	s_cbranch_vccnz .LBB40_778
; %bb.771:
	s_cmp_gt_i32 s15, 14
	s_mov_b64 s[10:11], -1
	s_cbranch_scc0 .LBB40_775
; %bb.772:
	s_cmp_eq_u32 s15, 15
	s_mov_b64 s[0:1], -1
	s_cbranch_scc0 .LBB40_774
; %bb.773:
	v_cvt_f32_f64_e32 v2, v[0:1]
	s_movk_i32 s0, 0x7fff
	v_mov_b32_e32 v3, 0x7fc0
	s_mov_b64 s[8:9], -1
	v_bfe_u32 v6, v2, 16, 1
	v_cmp_o_f32_e32 vcc, v2, v2
	v_add3_u32 v2, v2, v6, s0
	v_cndmask_b32_sdwa v2, v3, v2, vcc dst_sel:DWORD dst_unused:UNUSED_PAD src0_sel:DWORD src1_sel:WORD_1
	global_store_short v[4:5], v2, off
	s_mov_b64 s[0:1], 0
.LBB40_774:
	s_mov_b64 s[10:11], 0
.LBB40_775:
	s_and_b64 vcc, exec, s[10:11]
	s_cbranch_vccz .LBB40_778
; %bb.776:
	s_cmp_eq_u32 s15, 11
	s_mov_b64 s[0:1], -1
	s_cbranch_scc0 .LBB40_778
; %bb.777:
	v_cmp_neq_f64_e32 vcc, 0, v[0:1]
	s_mov_b64 s[0:1], 0
	s_mov_b64 s[8:9], -1
	v_cndmask_b32_e64 v2, 0, 1, vcc
	global_store_byte v[4:5], v2, off
.LBB40_778:
	s_mov_b64 s[10:11], 0
.LBB40_779:
	s_and_b64 vcc, exec, s[10:11]
	s_cbranch_vccz .LBB40_818
; %bb.780:
	s_and_b32 s10, 0xffff, s14
	s_cmp_lt_i32 s10, 5
	s_mov_b64 s[8:9], -1
	s_cbranch_scc1 .LBB40_801
; %bb.781:
	s_cmp_lt_i32 s10, 8
	s_cbranch_scc1 .LBB40_791
; %bb.782:
	s_cmp_lt_i32 s10, 9
	s_cbranch_scc1 .LBB40_788
; %bb.783:
	s_cmp_gt_i32 s10, 9
	s_cbranch_scc0 .LBB40_785
; %bb.784:
	v_mov_b32_e32 v2, 0
	v_mov_b32_e32 v3, v2
	s_mov_b64 s[8:9], 0
	global_store_dwordx4 v[4:5], v[0:3], off
.LBB40_785:
	s_andn2_b64 vcc, exec, s[8:9]
	s_cbranch_vccnz .LBB40_787
; %bb.786:
	v_cvt_f32_f64_e32 v2, v[0:1]
	v_mov_b32_e32 v3, 0
	global_store_dwordx2 v[4:5], v[2:3], off
.LBB40_787:
	s_mov_b64 s[8:9], 0
.LBB40_788:
	s_andn2_b64 vcc, exec, s[8:9]
	s_cbranch_vccnz .LBB40_790
; %bb.789:
	s_movk_i32 s8, 0x1ff
	v_and_or_b32 v2, v1, s8, v0
	v_cmp_ne_u32_e32 vcc, 0, v2
	v_cndmask_b32_e64 v2, 0, 1, vcc
	v_lshrrev_b32_e32 v3, 8, v1
	s_movk_i32 s8, 0xffe
	v_bfe_u32 v6, v1, 20, 11
	v_and_or_b32 v2, v3, s8, v2
	v_sub_u32_e32 v7, 0x3f1, v6
	v_or_b32_e32 v3, 0x1000, v2
	v_med3_i32 v7, v7, 0, 13
	v_lshrrev_b32_e32 v8, v7, v3
	v_lshlrev_b32_e32 v7, v7, v8
	v_cmp_ne_u32_e32 vcc, v7, v3
	v_cndmask_b32_e64 v3, 0, 1, vcc
	v_add_u32_e32 v6, 0xfffffc10, v6
	v_or_b32_e32 v3, v8, v3
	v_lshl_or_b32 v7, v6, 12, v2
	v_cmp_gt_i32_e32 vcc, 1, v6
	v_cndmask_b32_e32 v3, v7, v3, vcc
	v_and_b32_e32 v7, 7, v3
	v_cmp_lt_i32_e32 vcc, 5, v7
	v_cndmask_b32_e64 v8, 0, 1, vcc
	v_cmp_eq_u32_e32 vcc, 3, v7
	v_cndmask_b32_e64 v7, 0, 1, vcc
	v_or_b32_e32 v7, v7, v8
	v_lshrrev_b32_e32 v3, 2, v3
	v_add_u32_e32 v3, v3, v7
	v_mov_b32_e32 v7, 0x7c00
	v_cmp_gt_i32_e32 vcc, 31, v6
	v_cndmask_b32_e32 v3, v7, v3, vcc
	v_mov_b32_e32 v8, 0x7e00
	v_cmp_ne_u32_e32 vcc, 0, v2
	s_movk_i32 s8, 0x40f
	v_cndmask_b32_e32 v2, v7, v8, vcc
	v_cmp_eq_u32_e32 vcc, s8, v6
	v_cndmask_b32_e32 v2, v3, v2, vcc
	v_lshrrev_b32_e32 v3, 16, v1
	s_mov_b32 s8, 0x8000
	v_and_or_b32 v2, v3, s8, v2
	v_and_b32_e32 v2, 0xffff, v2
	global_store_dword v[4:5], v2, off
.LBB40_790:
	s_mov_b64 s[8:9], 0
.LBB40_791:
	s_andn2_b64 vcc, exec, s[8:9]
	s_cbranch_vccnz .LBB40_800
; %bb.792:
	s_cmp_lt_i32 s10, 6
	s_mov_b64 s[8:9], -1
	s_cbranch_scc1 .LBB40_798
; %bb.793:
	s_cmp_gt_i32 s10, 6
	s_cbranch_scc0 .LBB40_795
; %bb.794:
	s_mov_b64 s[8:9], 0
	global_store_dwordx2 v[4:5], v[0:1], off
.LBB40_795:
	s_andn2_b64 vcc, exec, s[8:9]
	s_cbranch_vccnz .LBB40_797
; %bb.796:
	v_cvt_f32_f64_e32 v2, v[0:1]
	global_store_dword v[4:5], v2, off
.LBB40_797:
	s_mov_b64 s[8:9], 0
.LBB40_798:
	s_andn2_b64 vcc, exec, s[8:9]
	s_cbranch_vccnz .LBB40_800
; %bb.799:
	s_movk_i32 s8, 0x1ff
	v_and_or_b32 v2, v1, s8, v0
	v_cmp_ne_u32_e32 vcc, 0, v2
	v_cndmask_b32_e64 v2, 0, 1, vcc
	v_lshrrev_b32_e32 v3, 8, v1
	s_movk_i32 s8, 0xffe
	v_bfe_u32 v6, v1, 20, 11
	v_and_or_b32 v2, v3, s8, v2
	v_sub_u32_e32 v7, 0x3f1, v6
	v_or_b32_e32 v3, 0x1000, v2
	v_med3_i32 v7, v7, 0, 13
	v_lshrrev_b32_e32 v8, v7, v3
	v_lshlrev_b32_e32 v7, v7, v8
	v_cmp_ne_u32_e32 vcc, v7, v3
	v_cndmask_b32_e64 v3, 0, 1, vcc
	v_add_u32_e32 v6, 0xfffffc10, v6
	v_or_b32_e32 v3, v8, v3
	v_lshl_or_b32 v7, v6, 12, v2
	v_cmp_gt_i32_e32 vcc, 1, v6
	v_cndmask_b32_e32 v3, v7, v3, vcc
	v_and_b32_e32 v7, 7, v3
	v_cmp_lt_i32_e32 vcc, 5, v7
	v_cndmask_b32_e64 v8, 0, 1, vcc
	v_cmp_eq_u32_e32 vcc, 3, v7
	v_cndmask_b32_e64 v7, 0, 1, vcc
	v_or_b32_e32 v7, v7, v8
	v_lshrrev_b32_e32 v3, 2, v3
	v_add_u32_e32 v3, v3, v7
	v_mov_b32_e32 v7, 0x7c00
	v_cmp_gt_i32_e32 vcc, 31, v6
	v_cndmask_b32_e32 v3, v7, v3, vcc
	v_mov_b32_e32 v8, 0x7e00
	v_cmp_ne_u32_e32 vcc, 0, v2
	s_movk_i32 s8, 0x40f
	v_cndmask_b32_e32 v2, v7, v8, vcc
	v_cmp_eq_u32_e32 vcc, s8, v6
	v_cndmask_b32_e32 v2, v3, v2, vcc
	v_lshrrev_b32_e32 v3, 16, v1
	s_mov_b32 s8, 0x8000
	v_and_or_b32 v2, v3, s8, v2
	global_store_short v[4:5], v2, off
.LBB40_800:
	s_mov_b64 s[8:9], 0
.LBB40_801:
	s_andn2_b64 vcc, exec, s[8:9]
	s_cbranch_vccnz .LBB40_817
; %bb.802:
	s_cmp_lt_i32 s10, 2
	s_mov_b64 s[8:9], -1
	s_cbranch_scc1 .LBB40_812
; %bb.803:
	s_cmp_lt_i32 s10, 3
	s_cbranch_scc1 .LBB40_809
; %bb.804:
	s_cmp_gt_i32 s10, 3
	s_cbranch_scc0 .LBB40_806
; %bb.805:
	v_trunc_f64_e32 v[2:3], v[0:1]
	s_movk_i32 s8, 0xffe0
	v_ldexp_f64 v[6:7], v[2:3], s8
	s_mov_b32 s8, 0
	s_mov_b32 s9, 0xc1f00000
	v_floor_f64_e32 v[6:7], v[6:7]
	v_fma_f64 v[2:3], v[6:7], s[8:9], v[2:3]
	v_cvt_i32_f64_e32 v7, v[6:7]
	s_mov_b64 s[8:9], 0
	v_cvt_u32_f64_e32 v6, v[2:3]
	global_store_dwordx2 v[4:5], v[6:7], off
.LBB40_806:
	s_andn2_b64 vcc, exec, s[8:9]
	s_cbranch_vccnz .LBB40_808
; %bb.807:
	v_cvt_i32_f64_e32 v2, v[0:1]
	global_store_dword v[4:5], v2, off
.LBB40_808:
	s_mov_b64 s[8:9], 0
.LBB40_809:
	s_andn2_b64 vcc, exec, s[8:9]
	s_cbranch_vccnz .LBB40_811
; %bb.810:
	v_cvt_i32_f64_e32 v2, v[0:1]
	global_store_short v[4:5], v2, off
.LBB40_811:
	s_mov_b64 s[8:9], 0
.LBB40_812:
	s_andn2_b64 vcc, exec, s[8:9]
	s_cbranch_vccnz .LBB40_817
; %bb.813:
	s_cmp_gt_i32 s10, 0
	s_mov_b64 s[8:9], -1
	s_cbranch_scc0 .LBB40_815
; %bb.814:
	v_cvt_i32_f64_e32 v2, v[0:1]
	s_mov_b64 s[8:9], 0
	global_store_byte v[4:5], v2, off
.LBB40_815:
	s_andn2_b64 vcc, exec, s[8:9]
	s_cbranch_vccnz .LBB40_817
; %bb.816:
	v_trunc_f64_e32 v[0:1], v[0:1]
	s_movk_i32 s8, 0xffe0
	v_ldexp_f64 v[2:3], v[0:1], s8
	s_mov_b32 s8, 0
	s_mov_b32 s9, 0xc1f00000
	v_floor_f64_e32 v[2:3], v[2:3]
	v_fma_f64 v[0:1], v[2:3], s[8:9], v[0:1]
	v_cvt_u32_f64_e32 v0, v[0:1]
	global_store_byte v[4:5], v0, off
.LBB40_817:
	s_mov_b64 s[8:9], -1
.LBB40_818:
	s_andn2_b64 vcc, exec, s[8:9]
	s_cbranch_vccnz .LBB40_820
; %bb.819:
	v_add_u32_e32 v11, 0x80, v11
	s_mov_b64 s[8:9], -1
	s_branch .LBB40_822
.LBB40_820:
	s_mov_b64 s[8:9], 0
.LBB40_821:
                                        ; implicit-def: $vgpr11
.LBB40_822:
	s_andn2_b64 s[10:11], s[60:61], exec
	s_and_b64 s[0:1], s[0:1], exec
	s_or_b64 s[68:69], s[10:11], s[0:1]
	s_andn2_b64 s[0:1], s[58:59], exec
	s_and_b64 s[2:3], s[2:3], exec
	s_or_b64 s[66:67], s[0:1], s[2:3]
	s_orn2_b64 s[2:3], s[8:9], exec
.LBB40_823:
	s_or_b64 exec, exec, s[64:65]
	s_mov_b64 s[0:1], 0
	s_mov_b64 s[8:9], 0
	;; [unrolled: 1-line block ×3, first 2 shown]
                                        ; implicit-def: $vgpr0_vgpr1
                                        ; implicit-def: $vgpr2
                                        ; implicit-def: $vgpr6_vgpr7
	s_and_saveexec_b64 s[64:65], s[2:3]
	s_cbranch_execz .LBB40_922
; %bb.824:
	v_cmp_gt_i32_e32 vcc, s70, v11
	s_mov_b64 s[2:3], 0
	s_mov_b64 s[12:13], s[66:67]
                                        ; implicit-def: $vgpr0_vgpr1
                                        ; implicit-def: $vgpr2
                                        ; implicit-def: $vgpr6_vgpr7
	s_and_saveexec_b64 s[70:71], vcc
	s_cbranch_execz .LBB40_921
; %bb.825:
	s_andn2_b64 vcc, exec, s[40:41]
	s_cbranch_vccnz .LBB40_830
; %bb.826:
	s_andn2_b64 vcc, exec, s[50:51]
	s_cbranch_vccnz .LBB40_831
; %bb.827:
	s_add_i32 s76, s75, 1
	s_cmp_eq_u32 s72, 2
	s_cbranch_scc1 .LBB40_832
; %bb.828:
	s_and_b32 s75, s76, 28
	v_mov_b32_e32 v0, 0
	s_mov_b32 s77, 0
	s_mov_b64 s[50:51], s[34:35]
	v_mov_b32_e32 v2, 0
	v_mov_b32_e32 v1, v11
.LBB40_829:                             ; =>This Inner Loop Header: Depth=1
	s_load_dwordx8 s[16:23], s[50:51], 0x4
	s_load_dwordx4 s[0:3], s[50:51], 0x24
	s_load_dwordx8 s[8:15], s[48:49], 0x0
	s_add_u32 s50, s50, 48
	s_addc_u32 s51, s51, 0
	s_waitcnt vmcnt(0) lgkmcnt(0)
	v_mul_hi_u32 v3, s17, v1
	s_add_i32 s77, s77, 4
	s_add_u32 s48, s48, 32
	s_addc_u32 s49, s49, 0
	v_add_u32_e32 v3, v1, v3
	v_lshrrev_b32_e32 v3, s18, v3
	v_mul_lo_u32 v4, v3, s16
	v_mul_hi_u32 v5, s20, v3
	s_cmp_eq_u32 s75, s77
	v_sub_u32_e32 v1, v1, v4
	v_add_u32_e32 v4, v3, v5
	v_mul_lo_u32 v5, v1, s8
	v_mul_lo_u32 v6, v1, s9
	v_lshrrev_b32_e32 v1, s21, v4
	v_mul_lo_u32 v4, v1, s19
	v_mul_hi_u32 v7, s23, v1
	v_sub_u32_e32 v3, v3, v4
	v_add_u32_e32 v4, v1, v7
	v_lshrrev_b32_e32 v4, s0, v4
	v_mul_hi_u32 v8, s2, v4
	v_mul_lo_u32 v9, v4, s22
	v_mul_lo_u32 v7, v3, s10
	;; [unrolled: 1-line block ×3, first 2 shown]
	v_sub_u32_e32 v9, v1, v9
	v_add_u32_e32 v1, v4, v8
	v_lshrrev_b32_e32 v1, s3, v1
	v_mul_lo_u32 v8, v1, s1
	v_mul_lo_u32 v10, v9, s12
	;; [unrolled: 1-line block ×3, first 2 shown]
	v_add3_u32 v2, v5, v2, v7
	v_sub_u32_e32 v4, v4, v8
	v_mul_lo_u32 v8, v4, s14
	v_mul_lo_u32 v4, v4, s15
	v_add3_u32 v0, v6, v0, v3
	v_add3_u32 v2, v10, v2, v8
	v_add3_u32 v0, v9, v0, v4
	s_cbranch_scc0 .LBB40_829
	s_branch .LBB40_833
.LBB40_830:
	s_mov_b64 s[0:1], -1
                                        ; implicit-def: $vgpr2
                                        ; implicit-def: $vgpr0
	s_branch .LBB40_837
.LBB40_831:
	v_mov_b32_e32 v2, 0
	v_mov_b32_e32 v0, 0
	s_branch .LBB40_836
.LBB40_832:
	s_mov_b32 s75, 0
	v_mov_b32_e32 v2, 0
	v_mov_b32_e32 v0, 0
	;; [unrolled: 1-line block ×3, first 2 shown]
.LBB40_833:
	s_and_b32 s8, s76, 3
	s_cmp_eq_u32 s8, 0
	s_cbranch_scc1 .LBB40_836
; %bb.834:
	s_lshl_b32 s0, s75, 3
	s_add_u32 s0, s34, s0
	s_addc_u32 s1, s35, 0
	s_add_u32 s0, s0, 0xc4
	s_addc_u32 s1, s1, 0
	s_mul_i32 s2, s75, 12
	s_add_u32 s2, s34, s2
	s_addc_u32 s3, s35, 0
.LBB40_835:                             ; =>This Inner Loop Header: Depth=1
	s_load_dwordx2 s[10:11], s[2:3], 0x4
	s_load_dword s9, s[2:3], 0xc
	s_load_dwordx2 s[12:13], s[0:1], 0x0
	s_add_u32 s2, s2, 12
	s_addc_u32 s3, s3, 0
	s_waitcnt vmcnt(0) lgkmcnt(0)
	v_mul_hi_u32 v3, s11, v1
	s_add_u32 s0, s0, 8
	s_addc_u32 s1, s1, 0
	s_add_i32 s8, s8, -1
	v_add_u32_e32 v3, v1, v3
	v_lshrrev_b32_e32 v4, s9, v3
	v_mul_lo_u32 v3, v4, s10
	s_cmp_lg_u32 s8, 0
	v_sub_u32_e32 v1, v1, v3
	v_mad_u64_u32 v[2:3], s[10:11], v1, s12, v[2:3]
	v_mad_u64_u32 v[0:1], s[10:11], v1, s13, v[0:1]
	v_mov_b32_e32 v1, v4
	s_cbranch_scc1 .LBB40_835
.LBB40_836:
	s_mov_b64 s[0:1], 0
.LBB40_837:
	s_andn2_b64 vcc, exec, s[0:1]
	s_cbranch_vccnz .LBB40_840
; %bb.838:
	s_waitcnt lgkmcnt(0)
	v_mul_hi_u32 v0, s37, v11
	s_andn2_b64 vcc, exec, s[46:47]
	v_add_u32_e32 v0, v11, v0
	v_lshrrev_b32_e32 v1, s38, v0
	v_mul_lo_u32 v0, v1, s36
	v_sub_u32_e32 v0, v11, v0
	v_mul_lo_u32 v2, v0, s28
	v_mul_lo_u32 v0, v0, s29
	s_cbranch_vccnz .LBB40_840
; %bb.839:
	s_waitcnt vmcnt(0)
	v_mul_hi_u32 v3, s44, v1
	v_add_u32_e32 v3, v1, v3
	v_lshrrev_b32_e32 v3, s45, v3
	v_mul_lo_u32 v3, v3, s39
	v_sub_u32_e32 v1, v1, v3
	v_mad_u64_u32 v[2:3], s[0:1], v1, s30, v[2:3]
	v_mad_u64_u32 v[0:1], s[0:1], v1, s31, v[0:1]
.LBB40_840:
	s_waitcnt lgkmcnt(0)
	v_mov_b32_e32 v1, s27
	s_and_b32 s14, 0xffff, s74
	v_add_co_u32_e32 v0, vcc, s26, v0
	s_cmp_lt_i32 s14, 11
	v_addc_co_u32_e32 v1, vcc, 0, v1, vcc
	s_cbranch_scc1 .LBB40_847
; %bb.841:
	s_cmp_gt_i32 s14, 25
	s_mov_b64 s[2:3], 0
	s_cbranch_scc0 .LBB40_848
; %bb.842:
	s_cmp_gt_i32 s14, 28
	s_cbranch_scc0 .LBB40_849
; %bb.843:
	s_cmp_gt_i32 s14, 43
	;; [unrolled: 3-line block ×3, first 2 shown]
	s_cbranch_scc0 .LBB40_853
; %bb.845:
	s_cmp_eq_u32 s14, 46
	s_mov_b64 s[10:11], 0
	s_cbranch_scc0 .LBB40_856
; %bb.846:
	global_load_dword v3, v[0:1], off
	s_mov_b64 s[0:1], 0
	s_mov_b64 s[8:9], -1
	s_waitcnt vmcnt(0)
	v_lshlrev_b32_e32 v3, 16, v3
	v_cvt_f64_f32_e32 v[6:7], v3
	s_branch .LBB40_857
.LBB40_847:
	s_mov_b64 s[12:13], -1
	s_mov_b64 s[8:9], 0
	s_mov_b64 s[2:3], 0
	;; [unrolled: 1-line block ×3, first 2 shown]
                                        ; implicit-def: $vgpr6_vgpr7
	s_branch .LBB40_920
.LBB40_848:
	s_mov_b64 s[10:11], -1
	s_mov_b64 s[8:9], 0
	s_mov_b64 s[0:1], s[66:67]
                                        ; implicit-def: $vgpr6_vgpr7
	s_branch .LBB40_888
.LBB40_849:
	s_mov_b64 s[10:11], -1
	s_mov_b64 s[8:9], 0
	s_mov_b64 s[0:1], s[66:67]
                                        ; implicit-def: $vgpr6_vgpr7
	s_branch .LBB40_867
.LBB40_850:
	s_mov_b64 s[10:11], -1
	s_mov_b64 s[8:9], 0
	s_mov_b64 s[0:1], s[66:67]
                                        ; implicit-def: $vgpr6_vgpr7
	s_branch .LBB40_862
.LBB40_851:
	s_andn2_saveexec_b64 s[12:13], s[12:13]
	s_cbranch_execz .LBB40_731
.LBB40_852:
	s_mov_b32 s16, 0x46000000
	v_add_f32_e64 v3, |v2|, s16
	v_and_b32_e32 v3, 0xff, v3
	v_cmp_ne_u32_e32 vcc, 0, v3
	s_andn2_b64 s[10:11], s[10:11], exec
	s_and_b64 s[16:17], vcc, exec
	s_or_b64 s[10:11], s[10:11], s[16:17]
	s_or_b64 exec, exec, s[12:13]
	v_mov_b32_e32 v6, 0
	s_and_saveexec_b64 s[12:13], s[10:11]
	s_cbranch_execnz .LBB40_732
	s_branch .LBB40_733
.LBB40_853:
	s_mov_b64 s[10:11], -1
	s_mov_b64 s[8:9], 0
	s_mov_b64 s[0:1], s[66:67]
                                        ; implicit-def: $vgpr6_vgpr7
	s_branch .LBB40_857
.LBB40_854:
	s_andn2_saveexec_b64 s[12:13], s[12:13]
	s_cbranch_execz .LBB40_744
.LBB40_855:
	s_mov_b32 s16, 0x42800000
	v_add_f32_e64 v3, |v2|, s16
	v_and_b32_e32 v3, 0xff, v3
	v_cmp_ne_u32_e32 vcc, 0, v3
	s_andn2_b64 s[10:11], s[10:11], exec
	s_and_b64 s[16:17], vcc, exec
	s_or_b64 s[10:11], s[10:11], s[16:17]
	s_or_b64 exec, exec, s[12:13]
	v_mov_b32_e32 v6, 0
	s_and_saveexec_b64 s[12:13], s[10:11]
	s_cbranch_execnz .LBB40_745
	s_branch .LBB40_746
.LBB40_856:
	s_mov_b64 s[0:1], -1
                                        ; implicit-def: $vgpr6_vgpr7
	s_mov_b64 s[8:9], 0
.LBB40_857:
	s_and_b64 vcc, exec, s[10:11]
	s_cbranch_vccz .LBB40_861
; %bb.858:
	s_cmp_eq_u32 s14, 44
	s_cbranch_scc0 .LBB40_860
; %bb.859:
	global_load_ubyte v5, v[0:1], off
	s_movk_i32 s8, 0xff
	v_bfrev_b32_e32 v6, 4
	v_mov_b32_e32 v7, 0x7ff80000
	v_bfrev_b32_e32 v8, 28
	s_mov_b64 s[0:1], 0
	s_waitcnt vmcnt(0)
	v_lshlrev_b32_e32 v3, 23, v5
	v_cvt_f64_f32_e32 v[3:4], v3
	v_cmp_ne_u32_e32 vcc, s8, v5
	s_mov_b64 s[8:9], -1
	v_cndmask_b32_e32 v3, v6, v3, vcc
	v_cndmask_b32_e32 v4, v7, v4, vcc
	v_cmp_ne_u32_e32 vcc, 0, v5
	v_cndmask_b32_e32 v7, v8, v4, vcc
	v_cndmask_b32_e32 v6, 0, v3, vcc
	s_branch .LBB40_861
.LBB40_860:
	s_mov_b64 s[0:1], -1
                                        ; implicit-def: $vgpr6_vgpr7
.LBB40_861:
	s_mov_b64 s[10:11], 0
.LBB40_862:
	s_and_b64 vcc, exec, s[10:11]
	s_cbranch_vccz .LBB40_866
; %bb.863:
	s_cmp_eq_u32 s14, 29
	s_cbranch_scc0 .LBB40_865
; %bb.864:
	global_load_dwordx2 v[3:4], v[0:1], off
	s_mov_b64 s[0:1], 0
	s_mov_b64 s[8:9], -1
	s_mov_b64 s[10:11], 0
	s_waitcnt vmcnt(0)
	v_cvt_f64_u32_e32 v[4:5], v4
	v_cvt_f64_u32_e32 v[6:7], v3
	v_ldexp_f64 v[4:5], v[4:5], 32
	v_add_f64 v[6:7], v[4:5], v[6:7]
	s_branch .LBB40_867
.LBB40_865:
	s_mov_b64 s[0:1], -1
                                        ; implicit-def: $vgpr6_vgpr7
.LBB40_866:
	s_mov_b64 s[10:11], 0
.LBB40_867:
	s_and_b64 vcc, exec, s[10:11]
	s_cbranch_vccz .LBB40_887
; %bb.868:
	s_cmp_lt_i32 s14, 27
	s_cbranch_scc1 .LBB40_871
; %bb.869:
	s_cmp_gt_i32 s14, 27
	s_cbranch_scc0 .LBB40_872
; %bb.870:
	global_load_dword v3, v[0:1], off
	s_mov_b64 s[8:9], 0
	s_waitcnt vmcnt(0)
	v_cvt_f64_u32_e32 v[6:7], v3
	s_branch .LBB40_873
.LBB40_871:
	s_mov_b64 s[8:9], -1
                                        ; implicit-def: $vgpr6_vgpr7
	s_branch .LBB40_876
.LBB40_872:
	s_mov_b64 s[8:9], -1
                                        ; implicit-def: $vgpr6_vgpr7
.LBB40_873:
	s_andn2_b64 vcc, exec, s[8:9]
	s_cbranch_vccnz .LBB40_875
; %bb.874:
	global_load_ushort v3, v[0:1], off
	s_waitcnt vmcnt(0)
	v_cvt_f64_u32_e32 v[6:7], v3
.LBB40_875:
	s_mov_b64 s[8:9], 0
.LBB40_876:
	s_andn2_b64 vcc, exec, s[8:9]
	s_cbranch_vccnz .LBB40_886
; %bb.877:
	global_load_ubyte v3, v[0:1], off
	s_movk_i32 s8, 0x7f
	s_waitcnt vmcnt(0)
	v_cmp_lt_i16_e32 vcc, s8, v3
	s_mov_b64 s[8:9], 0
	s_and_saveexec_b64 s[10:11], vcc
	s_xor_b64 s[10:11], exec, s[10:11]
	s_cbranch_execz .LBB40_881
; %bb.878:
	s_movk_i32 s8, 0x80
	v_cmp_eq_u16_e32 vcc, s8, v3
	s_mov_b64 s[8:9], -1
	s_and_saveexec_b64 s[12:13], vcc
; %bb.879:
	s_xor_b64 s[8:9], exec, -1
; %bb.880:
	s_or_b64 exec, exec, s[12:13]
	s_and_b64 s[8:9], s[8:9], exec
.LBB40_881:
	s_or_saveexec_b64 s[10:11], s[10:11]
	v_bfrev_b32_e32 v6, 4
	v_mov_b32_e32 v7, 0x7ff80000
	s_xor_b64 exec, exec, s[10:11]
; %bb.882:
	v_cmp_ne_u16_e32 vcc, 0, v3
	v_mov_b32_e32 v6, 0
	s_andn2_b64 s[8:9], s[8:9], exec
	s_and_b64 s[12:13], vcc, exec
	v_mov_b32_e32 v7, 0
	s_or_b64 s[8:9], s[8:9], s[12:13]
; %bb.883:
	s_or_b64 exec, exec, s[10:11]
	s_and_saveexec_b64 s[10:11], s[8:9]
	s_cbranch_execz .LBB40_885
; %bb.884:
	v_lshlrev_b32_e32 v4, 24, v3
	v_and_b32_e32 v3, 0xffff, v3
	v_and_b32_e32 v5, 7, v3
	v_ffbh_u32_e32 v7, v5
	v_min_u32_e32 v7, 32, v7
	v_subrev_u32_e32 v8, 28, v7
	v_bfe_u32 v6, v3, 3, 4
	v_lshlrev_b32_e32 v3, v8, v3
	v_sub_u32_e32 v7, 29, v7
	v_and_b32_e32 v3, 7, v3
	v_cmp_eq_u32_e32 vcc, 0, v6
	v_cndmask_b32_e32 v6, v6, v7, vcc
	v_cndmask_b32_e32 v3, v5, v3, vcc
	v_mov_b32_e32 v5, 0x3b800000
	v_lshlrev_b32_e32 v3, 20, v3
	v_and_b32_e32 v4, 0x80000000, v4
	v_lshl_add_u32 v5, v6, 23, v5
	v_or3_b32 v3, v4, v5, v3
	v_cvt_f64_f32_e32 v[6:7], v3
.LBB40_885:
	s_or_b64 exec, exec, s[10:11]
.LBB40_886:
	s_mov_b64 s[8:9], -1
.LBB40_887:
	s_mov_b64 s[10:11], 0
.LBB40_888:
	s_and_b64 vcc, exec, s[10:11]
	s_cbranch_vccz .LBB40_919
; %bb.889:
	s_cmp_gt_i32 s14, 22
	s_cbranch_scc0 .LBB40_901
; %bb.890:
	s_cmp_lt_i32 s14, 24
	s_cbranch_scc1 .LBB40_902
; %bb.891:
	s_cmp_gt_i32 s14, 24
	s_cbranch_scc0 .LBB40_903
; %bb.892:
	global_load_ubyte v3, v[0:1], off
	s_movk_i32 s2, 0x7f
	s_waitcnt vmcnt(0)
	v_cmp_lt_i16_e32 vcc, s2, v3
	s_mov_b64 s[2:3], 0
	s_and_saveexec_b64 s[8:9], vcc
	s_xor_b64 s[8:9], exec, s[8:9]
	s_cbranch_execz .LBB40_896
; %bb.893:
	s_movk_i32 s2, 0x80
	v_cmp_eq_u16_e32 vcc, s2, v3
	s_mov_b64 s[2:3], -1
	s_and_saveexec_b64 s[10:11], vcc
; %bb.894:
	s_xor_b64 s[2:3], exec, -1
; %bb.895:
	s_or_b64 exec, exec, s[10:11]
	s_and_b64 s[2:3], s[2:3], exec
.LBB40_896:
	s_or_saveexec_b64 s[8:9], s[8:9]
	v_bfrev_b32_e32 v6, 4
	v_mov_b32_e32 v7, 0x7ff80000
	s_xor_b64 exec, exec, s[8:9]
; %bb.897:
	v_cmp_ne_u16_e32 vcc, 0, v3
	v_mov_b32_e32 v6, 0
	s_andn2_b64 s[2:3], s[2:3], exec
	s_and_b64 s[10:11], vcc, exec
	v_mov_b32_e32 v7, 0
	s_or_b64 s[2:3], s[2:3], s[10:11]
; %bb.898:
	s_or_b64 exec, exec, s[8:9]
	s_and_saveexec_b64 s[8:9], s[2:3]
	s_cbranch_execz .LBB40_900
; %bb.899:
	v_lshlrev_b32_e32 v4, 24, v3
	v_and_b32_e32 v3, 0xffff, v3
	v_and_b32_e32 v5, 3, v3
	v_ffbh_u32_e32 v7, v5
	v_min_u32_e32 v7, 32, v7
	v_subrev_u32_e32 v8, 29, v7
	v_bfe_u32 v6, v3, 2, 5
	v_lshlrev_b32_e32 v3, v8, v3
	v_sub_u32_e32 v7, 30, v7
	v_and_b32_e32 v3, 3, v3
	v_cmp_eq_u32_e32 vcc, 0, v6
	v_cndmask_b32_e32 v6, v6, v7, vcc
	v_cndmask_b32_e32 v3, v5, v3, vcc
	v_mov_b32_e32 v5, 0x37800000
	v_lshlrev_b32_e32 v3, 21, v3
	v_and_b32_e32 v4, 0x80000000, v4
	v_lshl_add_u32 v5, v6, 23, v5
	v_or3_b32 v3, v4, v5, v3
	v_cvt_f64_f32_e32 v[6:7], v3
.LBB40_900:
	s_or_b64 exec, exec, s[8:9]
	s_mov_b64 s[2:3], 0
	s_branch .LBB40_904
.LBB40_901:
	s_mov_b64 s[2:3], -1
                                        ; implicit-def: $vgpr6_vgpr7
	s_branch .LBB40_910
.LBB40_902:
	s_mov_b64 s[2:3], -1
                                        ; implicit-def: $vgpr6_vgpr7
	s_branch .LBB40_907
.LBB40_903:
	s_mov_b64 s[2:3], -1
                                        ; implicit-def: $vgpr6_vgpr7
.LBB40_904:
	s_and_b64 vcc, exec, s[2:3]
	s_cbranch_vccz .LBB40_906
; %bb.905:
	global_load_ubyte v3, v[0:1], off
	s_mov_b32 s2, 0x7f800000
	s_waitcnt vmcnt(0)
	v_lshlrev_b32_e32 v3, 24, v3
	v_and_b32_e32 v4, 0x7f000000, v3
	v_ffbh_u32_e32 v5, v4
	v_min_u32_e32 v5, 32, v5
	v_sub_u32_e64 v5, v5, 4 clamp
	v_lshlrev_b32_e32 v7, v5, v4
	v_lshlrev_b32_e32 v5, 23, v5
	v_lshrrev_b32_e32 v7, 4, v7
	v_add_u32_e32 v6, 0x1000000, v4
	v_sub_u32_e32 v5, v7, v5
	v_ashrrev_i32_e32 v6, 8, v6
	v_add_u32_e32 v5, 0x3c000000, v5
	v_and_or_b32 v5, v6, s2, v5
	v_cmp_ne_u32_e32 vcc, 0, v4
	v_cndmask_b32_e32 v4, 0, v5, vcc
	s_brev_b32 s2, 1
	v_and_or_b32 v3, v3, s2, v4
	v_cvt_f64_f32_e32 v[6:7], v3
.LBB40_906:
	s_mov_b64 s[2:3], 0
.LBB40_907:
	s_andn2_b64 vcc, exec, s[2:3]
	s_cbranch_vccnz .LBB40_909
; %bb.908:
	global_load_ubyte v3, v[0:1], off
	s_movk_i32 s2, 0x7f00
	s_brev_b32 s3, 16
	s_waitcnt vmcnt(0)
	v_lshlrev_b16_e32 v4, 8, v3
	v_lshlrev_b32_e32 v3, 25, v3
	v_lshrrev_b32_e32 v5, 4, v3
	v_and_or_b32 v6, v4, s2, 0.5
	v_or_b32_e32 v5, 0x70000000, v5
	v_add_f32_e32 v6, -0.5, v6
	v_mul_f32_e32 v5, 0x7800000, v5
	v_cmp_gt_u32_e32 vcc, s3, v3
	v_bfe_i32 v4, v4, 0, 16
	v_cndmask_b32_e32 v3, v5, v6, vcc
	s_brev_b32 s2, 1
	v_and_or_b32 v3, v4, s2, v3
	v_cvt_f64_f32_e32 v[6:7], v3
.LBB40_909:
	s_mov_b64 s[2:3], 0
	s_mov_b64 s[8:9], -1
.LBB40_910:
	s_andn2_b64 vcc, exec, s[2:3]
	s_mov_b64 s[2:3], 0
	s_cbranch_vccnz .LBB40_919
; %bb.911:
	s_cmp_gt_i32 s14, 14
	s_cbranch_scc0 .LBB40_914
; %bb.912:
	s_cmp_eq_u32 s14, 15
	s_cbranch_scc0 .LBB40_915
; %bb.913:
	global_load_ushort v3, v[0:1], off
	s_mov_b64 s[0:1], 0
	s_mov_b64 s[8:9], -1
	s_waitcnt vmcnt(0)
	v_lshlrev_b32_e32 v3, 16, v3
	v_cvt_f64_f32_e32 v[6:7], v3
	s_branch .LBB40_916
.LBB40_914:
	s_mov_b64 s[10:11], -1
                                        ; implicit-def: $vgpr6_vgpr7
	s_branch .LBB40_917
.LBB40_915:
	s_mov_b64 s[0:1], -1
                                        ; implicit-def: $vgpr6_vgpr7
.LBB40_916:
	s_mov_b64 s[10:11], 0
.LBB40_917:
	s_and_b64 vcc, exec, s[10:11]
	s_cbranch_vccz .LBB40_919
; %bb.918:
	s_cmp_lg_u32 s14, 11
	s_cselect_b64 s[10:11], -1, 0
	s_andn2_b64 s[0:1], s[0:1], exec
	s_and_b64 s[10:11], s[10:11], exec
	s_mov_b64 s[2:3], -1
	s_or_b64 s[0:1], s[0:1], s[10:11]
.LBB40_919:
	s_mov_b64 s[12:13], 0
.LBB40_920:
	s_and_b64 s[10:11], s[8:9], exec
	s_and_b64 s[8:9], s[12:13], exec
	s_andn2_b64 s[12:13], s[66:67], exec
	s_and_b64 s[0:1], s[0:1], exec
	s_and_b64 s[2:3], s[2:3], exec
	s_or_b64 s[12:13], s[12:13], s[0:1]
.LBB40_921:
	s_or_b64 exec, exec, s[70:71]
	s_and_b64 s[0:1], s[2:3], exec
	s_andn2_b64 s[2:3], s[66:67], exec
	s_and_b64 s[12:13], s[12:13], exec
	s_and_b64 s[10:11], s[10:11], exec
	;; [unrolled: 1-line block ×3, first 2 shown]
	s_or_b64 s[66:67], s[2:3], s[12:13]
.LBB40_922:
	s_or_b64 exec, exec, s[64:65]
	s_andn2_b64 s[2:3], s[60:61], exec
	s_and_b64 s[12:13], s[68:69], exec
	s_or_b64 s[60:61], s[2:3], s[12:13]
	s_and_b64 s[2:3], s[0:1], exec
	s_andn2_b64 s[0:1], s[58:59], exec
	s_and_b64 s[12:13], s[66:67], exec
	s_and_b64 s[10:11], s[10:11], exec
	;; [unrolled: 1-line block ×3, first 2 shown]
	s_or_b64 s[58:59], s[0:1], s[12:13]
.LBB40_923:
	s_or_b64 exec, exec, s[62:63]
	s_andn2_b64 s[0:1], s[52:53], exec
	s_and_b64 s[12:13], s[60:61], exec
	s_or_b64 s[52:53], s[0:1], s[12:13]
	s_and_b64 s[0:1], s[10:11], exec
	s_and_b64 s[10:11], s[8:9], exec
	;; [unrolled: 1-line block ×3, first 2 shown]
	s_andn2_b64 s[2:3], s[54:55], exec
	s_and_b64 s[8:9], s[58:59], exec
	s_or_b64 s[54:55], s[2:3], s[8:9]
	s_or_b64 exec, exec, s[56:57]
	s_mov_b64 s[2:3], 0
	s_and_saveexec_b64 s[8:9], s[54:55]
	s_cbranch_execz .LBB40_276
.LBB40_924:
	s_mov_b64 s[2:3], exec
	s_andn2_b64 s[60:61], s[60:61], exec
	s_trap 2
	s_or_b64 exec, exec, s[8:9]
	s_and_saveexec_b64 s[8:9], s[60:61]
	s_xor_b64 s[8:9], exec, s[8:9]
	s_cbranch_execnz .LBB40_277
.LBB40_925:
	s_or_b64 exec, exec, s[8:9]
	s_and_saveexec_b64 s[8:9], s[10:11]
	s_cbranch_execz .LBB40_971
.LBB40_926:
	s_sext_i32_i16 s10, s74
	s_cmp_lt_i32 s10, 5
	s_cbranch_scc1 .LBB40_931
; %bb.927:
	s_cmp_lt_i32 s10, 8
	s_cbranch_scc1 .LBB40_932
; %bb.928:
	;; [unrolled: 3-line block ×3, first 2 shown]
	s_cmp_gt_i32 s10, 9
	s_cbranch_scc0 .LBB40_934
; %bb.930:
	global_load_dwordx2 v[6:7], v[0:1], off
	s_mov_b64 s[10:11], 0
	s_branch .LBB40_935
.LBB40_931:
                                        ; implicit-def: $vgpr6_vgpr7
	s_branch .LBB40_952
.LBB40_932:
                                        ; implicit-def: $vgpr6_vgpr7
	s_branch .LBB40_941
.LBB40_933:
	s_mov_b64 s[10:11], -1
                                        ; implicit-def: $vgpr6_vgpr7
	s_branch .LBB40_938
.LBB40_934:
	s_mov_b64 s[10:11], -1
                                        ; implicit-def: $vgpr6_vgpr7
.LBB40_935:
	s_andn2_b64 vcc, exec, s[10:11]
	s_cbranch_vccnz .LBB40_937
; %bb.936:
	global_load_dword v3, v[0:1], off
	s_waitcnt vmcnt(0)
	v_cvt_f64_f32_e32 v[6:7], v3
.LBB40_937:
	s_mov_b64 s[10:11], 0
.LBB40_938:
	s_andn2_b64 vcc, exec, s[10:11]
	s_cbranch_vccnz .LBB40_940
; %bb.939:
	global_load_dword v3, v[0:1], off
	s_waitcnt vmcnt(0)
	v_cvt_f32_f16_e32 v3, v3
	v_cvt_f64_f32_e32 v[6:7], v3
.LBB40_940:
	s_cbranch_execnz .LBB40_951
.LBB40_941:
	s_sext_i32_i16 s10, s74
	s_cmp_lt_i32 s10, 6
	s_cbranch_scc1 .LBB40_944
; %bb.942:
	s_cmp_gt_i32 s10, 6
	s_cbranch_scc0 .LBB40_945
; %bb.943:
	global_load_dwordx2 v[6:7], v[0:1], off
	s_mov_b64 s[10:11], 0
	s_branch .LBB40_946
.LBB40_944:
	s_mov_b64 s[10:11], -1
                                        ; implicit-def: $vgpr6_vgpr7
	s_branch .LBB40_949
.LBB40_945:
	s_mov_b64 s[10:11], -1
                                        ; implicit-def: $vgpr6_vgpr7
.LBB40_946:
	s_andn2_b64 vcc, exec, s[10:11]
	s_cbranch_vccnz .LBB40_948
; %bb.947:
	global_load_dword v3, v[0:1], off
	s_waitcnt vmcnt(0)
	v_cvt_f64_f32_e32 v[6:7], v3
.LBB40_948:
	s_mov_b64 s[10:11], 0
.LBB40_949:
	s_andn2_b64 vcc, exec, s[10:11]
	s_cbranch_vccnz .LBB40_951
; %bb.950:
	global_load_ushort v3, v[0:1], off
	s_waitcnt vmcnt(0)
	v_cvt_f32_f16_e32 v3, v3
	v_cvt_f64_f32_e32 v[6:7], v3
.LBB40_951:
	s_cbranch_execnz .LBB40_970
.LBB40_952:
	s_sext_i32_i16 s10, s74
	s_cmp_lt_i32 s10, 2
	s_cbranch_scc1 .LBB40_956
; %bb.953:
	s_cmp_lt_i32 s10, 3
	s_cbranch_scc1 .LBB40_957
; %bb.954:
	s_cmp_gt_i32 s10, 3
	s_cbranch_scc0 .LBB40_958
; %bb.955:
	global_load_dwordx2 v[3:4], v[0:1], off
	s_mov_b64 s[10:11], 0
	s_waitcnt vmcnt(0)
	v_cvt_f64_i32_e32 v[4:5], v4
	v_cvt_f64_u32_e32 v[6:7], v3
	v_ldexp_f64 v[4:5], v[4:5], 32
	v_add_f64 v[6:7], v[4:5], v[6:7]
	s_branch .LBB40_959
.LBB40_956:
                                        ; implicit-def: $vgpr6_vgpr7
	s_branch .LBB40_965
.LBB40_957:
	s_mov_b64 s[10:11], -1
                                        ; implicit-def: $vgpr6_vgpr7
	s_branch .LBB40_962
.LBB40_958:
	s_mov_b64 s[10:11], -1
                                        ; implicit-def: $vgpr6_vgpr7
.LBB40_959:
	s_andn2_b64 vcc, exec, s[10:11]
	s_cbranch_vccnz .LBB40_961
; %bb.960:
	global_load_dword v3, v[0:1], off
	s_waitcnt vmcnt(0)
	v_cvt_f64_i32_e32 v[6:7], v3
.LBB40_961:
	s_mov_b64 s[10:11], 0
.LBB40_962:
	s_andn2_b64 vcc, exec, s[10:11]
	s_cbranch_vccnz .LBB40_964
; %bb.963:
	global_load_sshort v3, v[0:1], off
	s_waitcnt vmcnt(0)
	v_cvt_f64_i32_e32 v[6:7], v3
.LBB40_964:
	s_cbranch_execnz .LBB40_970
.LBB40_965:
	s_sext_i32_i16 s10, s74
	s_cmp_gt_i32 s10, 0
	s_cbranch_scc0 .LBB40_967
; %bb.966:
	global_load_sbyte v3, v[0:1], off
	s_mov_b64 s[10:11], 0
	s_waitcnt vmcnt(0)
	v_cvt_f64_i32_e32 v[6:7], v3
	s_branch .LBB40_968
.LBB40_967:
	s_mov_b64 s[10:11], -1
                                        ; implicit-def: $vgpr6_vgpr7
.LBB40_968:
	s_andn2_b64 vcc, exec, s[10:11]
	s_cbranch_vccnz .LBB40_970
; %bb.969:
	global_load_ubyte v0, v[0:1], off
	s_waitcnt vmcnt(0)
	v_cvt_f64_u32_e32 v[6:7], v0
.LBB40_970:
	s_or_b64 s[0:1], s[0:1], exec
.LBB40_971:
	s_or_b64 exec, exec, s[8:9]
	s_mov_b64 s[12:13], 0
	s_mov_b64 s[10:11], 0
                                        ; implicit-def: $sgpr18
                                        ; implicit-def: $vgpr4_vgpr5
                                        ; implicit-def: $vgpr0_vgpr1
	s_and_saveexec_b64 s[8:9], s[0:1]
	s_cbranch_execz .LBB40_981
; %bb.972:
	s_waitcnt vmcnt(0)
	v_fma_f64 v[3:4], |v[6:7]|, -0.5, 0.5
	v_mul_f64 v[0:1], v[6:7], v[6:7]
	v_cmp_ge_f64_e64 vcc, |v[6:7]|, 0.5
	s_mov_b32 s0, 0x9fea6a70
	v_mov_b32_e32 v8, 0x78a05eaf
	v_mov_b32_e32 v9, 0xbf90a5a3
	s_mov_b32 s1, 0x3fa05985
	v_cndmask_b32_e32 v1, v1, v4, vcc
	v_cndmask_b32_e32 v0, v0, v3, vcc
	v_fma_f64 v[8:9], v[0:1], s[0:1], v[8:9]
	s_mov_b32 s0, 0x37024d6a
	s_mov_b32 s1, 0x3f940521
	v_fma_f64 v[8:9], v[0:1], v[8:9], s[0:1]
	s_mov_b32 s0, 0x98a70509
	s_mov_b32 s1, 0x3f7ab3a0
	;; [unrolled: 3-line block ×10, first 2 shown]
	v_fma_f64 v[8:9], v[0:1], v[8:9], s[0:1]
	v_mul_f64 v[8:9], v[0:1], v[8:9]
	v_fma_f64 v[0:1], |v[6:7]|, v[8:9], |v[6:7]|
	s_and_saveexec_b64 s[0:1], vcc
	s_cbranch_execz .LBB40_974
; %bb.973:
	v_rsq_f64_e32 v[0:1], v[3:4]
	v_cmp_eq_f64_e32 vcc, 0, v[3:4]
	s_mov_b32 s10, 0x54442d18
	s_mov_b32 s11, 0x3fe921fb
	v_mul_f64 v[10:11], v[3:4], v[0:1]
	v_mul_f64 v[0:1], v[0:1], 0.5
	v_fma_f64 v[12:13], -v[0:1], v[10:11], 0.5
	v_fma_f64 v[10:11], v[10:11], v[12:13], v[10:11]
	v_fma_f64 v[0:1], v[0:1], v[12:13], v[0:1]
	v_fma_f64 v[12:13], -v[10:11], v[10:11], v[3:4]
	v_fma_f64 v[0:1], v[12:13], v[0:1], v[10:11]
	v_cndmask_b32_e32 v1, v1, v4, vcc
	v_cndmask_b32_e32 v0, v0, v3, vcc
	v_add_f64 v[10:11], v[0:1], v[0:1]
	v_mul_f64 v[12:13], v[0:1], v[0:1]
	v_rcp_f64_e32 v[14:15], v[10:11]
	v_add_f64 v[16:17], v[3:4], -v[12:13]
	v_fma_f64 v[20:21], v[0:1], v[0:1], -v[12:13]
	v_add_f64 v[3:4], v[3:4], -v[16:17]
	v_fma_f64 v[18:19], -v[10:11], v[14:15], 1.0
	v_add_f64 v[3:4], v[3:4], -v[12:13]
	v_fma_f64 v[12:13], v[18:19], v[14:15], v[14:15]
	v_add_f64 v[3:4], v[3:4], -v[20:21]
	v_fma_f64 v[14:15], -v[10:11], v[12:13], 1.0
	v_add_f64 v[3:4], v[16:17], v[3:4]
	v_fma_f64 v[12:13], v[14:15], v[12:13], v[12:13]
	v_mul_f64 v[14:15], v[3:4], v[12:13]
	v_fma_f64 v[3:4], -v[10:11], v[14:15], v[3:4]
	v_fma_f64 v[3:4], v[3:4], v[12:13], v[14:15]
	v_cndmask_b32_e64 v4, v4, 0, vcc
	v_cndmask_b32_e64 v3, v3, 0, vcc
	v_add_f64 v[10:11], v[0:1], v[3:4]
	v_cmp_neq_f64_e64 vcc, |v[6:7]|, 1.0
	v_add_f64 v[0:1], v[10:11], -v[0:1]
	v_mul_f64 v[12:13], v[8:9], v[10:11]
	v_add_f64 v[0:1], v[3:4], -v[0:1]
	v_fma_f64 v[3:4], v[10:11], v[8:9], -v[12:13]
	v_fma_f64 v[3:4], v[0:1], v[8:9], v[3:4]
	v_add_f64 v[8:9], v[12:13], v[3:4]
	v_add_f64 v[14:15], v[10:11], v[8:9]
	v_add_f64 v[12:13], v[8:9], -v[12:13]
	v_add_f64 v[10:11], v[14:15], -v[10:11]
	;; [unrolled: 1-line block ×4, first 2 shown]
	v_add_f64 v[0:1], v[0:1], v[3:4]
	v_add_f64 v[0:1], v[0:1], v[8:9]
	;; [unrolled: 1-line block ×3, first 2 shown]
	v_add_f64 v[8:9], -v[3:4], s[10:11]
	v_add_f64 v[12:13], v[3:4], -v[14:15]
	v_add_f64 v[10:11], -v[8:9], s[10:11]
	s_mov_b32 s10, 0x33145c07
	s_mov_b32 s11, 0x3c81a626
	v_add_f64 v[0:1], v[12:13], -v[0:1]
	v_add_f64 v[3:4], v[10:11], -v[3:4]
	v_add_f64 v[3:4], v[3:4], s[10:11]
	v_add_f64 v[0:1], v[0:1], v[3:4]
	v_mov_b32_e32 v3, 0x3ff921fb
	v_mov_b32_e32 v4, 0x54442d18
	v_add_f64 v[0:1], v[8:9], v[0:1]
	v_add_f64 v[0:1], v[0:1], v[0:1]
	v_cndmask_b32_e32 v1, v3, v1, vcc
	v_cndmask_b32_e32 v0, v4, v0, vcc
.LBB40_974:
	s_or_b64 exec, exec, s[0:1]
	s_brev_b32 s0, -2
	s_waitcnt lgkmcnt(0)
	v_mov_b32_e32 v3, s25
	s_and_b32 s18, s73, 0xff
	v_add_co_u32_e32 v4, vcc, s24, v2
	v_bfi_b32 v1, s0, v1, v7
	s_cmp_lt_i32 s18, 11
	v_addc_co_u32_e32 v5, vcc, 0, v3, vcc
	s_cbranch_scc1 .LBB40_984
; %bb.975:
	s_and_b32 s19, 0xffff, s18
	s_mov_b64 s[12:13], -1
	s_cmp_gt_i32 s19, 25
	s_mov_b64 s[0:1], s[52:53]
	s_cbranch_scc0 .LBB40_1012
; %bb.976:
	s_mov_b64 s[10:11], -1
	s_cmp_gt_i32 s19, 28
	s_mov_b64 s[0:1], s[52:53]
	s_cbranch_scc0 .LBB40_996
; %bb.977:
	s_cmp_gt_i32 s19, 43
	s_mov_b64 s[0:1], s[52:53]
	s_cbranch_scc0 .LBB40_992
; %bb.978:
	;; [unrolled: 4-line block ×3, first 2 shown]
	s_cmp_eq_u32 s19, 46
	s_mov_b64 s[0:1], -1
	s_cbranch_scc0 .LBB40_985
; %bb.980:
	v_cvt_f32_f64_e32 v2, v[0:1]
	s_movk_i32 s0, 0x7fff
	v_mov_b32_e32 v3, 0x7fc0
	s_mov_b64 s[10:11], 0
	v_bfe_u32 v6, v2, 16, 1
	v_cmp_o_f32_e32 vcc, v2, v2
	v_add3_u32 v2, v2, v6, s0
	v_cndmask_b32_sdwa v2, v3, v2, vcc dst_sel:DWORD dst_unused:UNUSED_PAD src0_sel:DWORD src1_sel:WORD_1
	global_store_dword v[4:5], v2, off
	s_mov_b64 s[0:1], 0
	s_branch .LBB40_986
.LBB40_981:
	s_or_b64 exec, exec, s[8:9]
	s_and_saveexec_b64 s[0:1], s[52:53]
	s_cbranch_execnz .LBB40_1054
.LBB40_982:
	s_or_b64 exec, exec, s[0:1]
	s_and_saveexec_b64 s[0:1], s[12:13]
	s_xor_b64 s[0:1], exec, s[0:1]
	s_cbranch_execz .LBB40_1055
.LBB40_983:
	v_cmp_neq_f64_e32 vcc, 0, v[0:1]
	v_cndmask_b32_e64 v2, 0, 1, vcc
	s_waitcnt vmcnt(0)
	global_store_byte v[4:5], v2, off
	s_or_b64 exec, exec, s[0:1]
	s_and_saveexec_b64 s[0:1], s[10:11]
	s_xor_b64 s[0:1], exec, s[0:1]
	s_cbranch_execz .LBB40_1093
	s_branch .LBB40_1056
.LBB40_984:
	s_mov_b64 s[10:11], -1
	s_mov_b64 s[0:1], s[52:53]
	s_branch .LBB40_1053
.LBB40_985:
	s_mov_b64 s[10:11], 0
.LBB40_986:
	s_and_b64 vcc, exec, s[10:11]
	s_cbranch_vccz .LBB40_991
; %bb.987:
	s_cmp_eq_u32 s19, 44
	s_mov_b64 s[0:1], -1
	s_cbranch_scc0 .LBB40_991
; %bb.988:
	v_cvt_f32_f64_e32 v2, v[0:1]
	s_movk_i32 s0, 0xff
	v_mov_b32_e32 v6, 0xff
	v_bfe_u32 v3, v2, 23, 8
	v_cmp_ne_u32_e32 vcc, s0, v3
	s_and_saveexec_b64 s[10:11], vcc
; %bb.989:
	s_mov_b32 s0, 0x3fffff
	v_lshrrev_b32_e32 v6, 23, v2
	v_and_b32_e32 v7, 0x400000, v2
	v_and_or_b32 v2, v2, s0, v3
	v_cmp_ne_u32_e32 vcc, 0, v7
	v_cmp_ne_u32_e64 s[0:1], 0, v2
	s_and_b64 s[0:1], vcc, s[0:1]
	v_cndmask_b32_e64 v2, 0, 1, s[0:1]
	v_add_u32_e32 v6, v6, v2
; %bb.990:
	s_or_b64 exec, exec, s[10:11]
	s_mov_b64 s[0:1], 0
	global_store_byte v[4:5], v6, off
.LBB40_991:
	s_mov_b64 s[10:11], 0
.LBB40_992:
	s_and_b64 vcc, exec, s[10:11]
	s_cbranch_vccz .LBB40_995
; %bb.993:
	s_cmp_eq_u32 s19, 29
	s_mov_b64 s[0:1], -1
	s_cbranch_scc0 .LBB40_995
; %bb.994:
	v_trunc_f64_e32 v[2:3], v[0:1]
	s_movk_i32 s0, 0xffe0
	s_mov_b64 s[10:11], 0
	v_ldexp_f64 v[6:7], v[2:3], s0
	s_mov_b32 s0, 0
	s_mov_b32 s1, 0xc1f00000
	v_floor_f64_e32 v[6:7], v[6:7]
	v_fma_f64 v[2:3], v[6:7], s[0:1], v[2:3]
	v_cvt_u32_f64_e32 v7, v[6:7]
	s_mov_b64 s[0:1], 0
	v_cvt_u32_f64_e32 v6, v[2:3]
	global_store_dwordx2 v[4:5], v[6:7], off
	s_branch .LBB40_996
.LBB40_995:
	s_mov_b64 s[10:11], 0
.LBB40_996:
	s_and_b64 vcc, exec, s[10:11]
	s_cbranch_vccz .LBB40_1011
; %bb.997:
	s_cmp_lt_i32 s19, 27
	s_mov_b64 s[10:11], -1
	s_cbranch_scc1 .LBB40_1003
; %bb.998:
	s_cmp_gt_i32 s19, 27
	s_cbranch_scc0 .LBB40_1000
; %bb.999:
	v_cvt_u32_f64_e32 v2, v[0:1]
	s_mov_b64 s[10:11], 0
	global_store_dword v[4:5], v2, off
.LBB40_1000:
	s_andn2_b64 vcc, exec, s[10:11]
	s_cbranch_vccnz .LBB40_1002
; %bb.1001:
	v_cvt_u32_f64_e32 v2, v[0:1]
	global_store_short v[4:5], v2, off
.LBB40_1002:
	s_mov_b64 s[10:11], 0
.LBB40_1003:
	s_andn2_b64 vcc, exec, s[10:11]
	s_cbranch_vccnz .LBB40_1011
; %bb.1004:
	v_cvt_f32_f64_e32 v2, v[0:1]
	s_mov_b32 s10, 0x43800000
	v_mov_b32_e32 v6, 0x80
	v_and_b32_e32 v3, 0x7fffffff, v2
	v_cmp_gt_u32_e32 vcc, s10, v3
	s_and_saveexec_b64 s[10:11], vcc
	s_cbranch_execz .LBB40_1010
; %bb.1005:
	s_mov_b32 s12, 0x3bffffff
	v_cmp_lt_u32_e32 vcc, s12, v3
	s_mov_b64 s[12:13], 0
                                        ; implicit-def: $vgpr3
	s_and_saveexec_b64 s[14:15], vcc
	s_xor_b64 s[14:15], exec, s[14:15]
	s_cbranch_execz .LBB40_1164
; %bb.1006:
	v_bfe_u32 v3, v2, 20, 1
	s_mov_b32 s16, 0x487ffff
	v_add3_u32 v3, v2, v3, s16
	s_mov_b64 s[12:13], exec
	v_lshrrev_b32_e32 v3, 20, v3
	s_andn2_saveexec_b64 s[14:15], s[14:15]
	s_cbranch_execnz .LBB40_1165
.LBB40_1007:
	s_or_b64 exec, exec, s[14:15]
	v_mov_b32_e32 v6, 0
	s_and_saveexec_b64 s[14:15], s[12:13]
.LBB40_1008:
	v_lshrrev_b32_e32 v2, 24, v2
	s_movk_i32 s12, 0x80
	v_and_or_b32 v6, v2, s12, v3
.LBB40_1009:
	s_or_b64 exec, exec, s[14:15]
.LBB40_1010:
	s_or_b64 exec, exec, s[10:11]
	global_store_byte v[4:5], v6, off
.LBB40_1011:
	s_mov_b64 s[12:13], 0
.LBB40_1012:
	s_mov_b64 s[10:11], 0
	s_and_b64 vcc, exec, s[12:13]
	s_cbranch_vccz .LBB40_1052
; %bb.1013:
	s_cmp_gt_i32 s19, 22
	s_mov_b64 s[12:13], -1
	s_cbranch_scc0 .LBB40_1045
; %bb.1014:
	s_cmp_lt_i32 s19, 24
	s_cbranch_scc1 .LBB40_1034
; %bb.1015:
	s_cmp_gt_i32 s19, 24
	s_cbranch_scc0 .LBB40_1023
; %bb.1016:
	v_cvt_f32_f64_e32 v2, v[0:1]
	s_mov_b32 s12, 0x47800000
	v_mov_b32_e32 v6, 0x80
	v_and_b32_e32 v3, 0x7fffffff, v2
	v_cmp_gt_u32_e32 vcc, s12, v3
	s_and_saveexec_b64 s[12:13], vcc
	s_cbranch_execz .LBB40_1022
; %bb.1017:
	s_mov_b32 s14, 0x37ffffff
	v_cmp_lt_u32_e32 vcc, s14, v3
	s_mov_b64 s[14:15], 0
                                        ; implicit-def: $vgpr3
	s_and_saveexec_b64 s[16:17], vcc
	s_xor_b64 s[16:17], exec, s[16:17]
	s_cbranch_execz .LBB40_1291
; %bb.1018:
	v_bfe_u32 v3, v2, 21, 1
	s_mov_b32 s20, 0x88fffff
	v_add3_u32 v3, v2, v3, s20
	s_mov_b64 s[14:15], exec
	v_lshrrev_b32_e32 v3, 21, v3
	s_andn2_saveexec_b64 s[16:17], s[16:17]
	s_cbranch_execnz .LBB40_1292
.LBB40_1019:
	s_or_b64 exec, exec, s[16:17]
	v_mov_b32_e32 v6, 0
	s_and_saveexec_b64 s[16:17], s[14:15]
.LBB40_1020:
	v_lshrrev_b32_e32 v2, 24, v2
	s_movk_i32 s14, 0x80
	v_and_or_b32 v6, v2, s14, v3
.LBB40_1021:
	s_or_b64 exec, exec, s[16:17]
.LBB40_1022:
	s_or_b64 exec, exec, s[12:13]
	s_mov_b64 s[12:13], 0
	global_store_byte v[4:5], v6, off
.LBB40_1023:
	s_and_b64 vcc, exec, s[12:13]
	s_cbranch_vccz .LBB40_1033
; %bb.1024:
	v_cvt_f32_f64_e32 v2, v[0:1]
	s_mov_b32 s12, 0x43f00000
                                        ; implicit-def: $vgpr3
	v_and_b32_e32 v6, 0x7fffffff, v2
	v_cmp_gt_u32_e32 vcc, s12, v6
	s_and_saveexec_b64 s[12:13], vcc
	s_xor_b64 s[12:13], exec, s[12:13]
	s_cbranch_execz .LBB40_1030
; %bb.1025:
	s_mov_b32 s14, 0x3c7fffff
	v_cmp_lt_u32_e32 vcc, s14, v6
                                        ; implicit-def: $vgpr3
	s_and_saveexec_b64 s[14:15], vcc
	s_xor_b64 s[14:15], exec, s[14:15]
; %bb.1026:
	v_bfe_u32 v3, v2, 20, 1
	s_mov_b32 s16, 0x407ffff
	v_add3_u32 v3, v2, v3, s16
	v_lshrrev_b32_e32 v6, 20, v3
	v_and_b32_e32 v3, 0xff00000, v3
	s_mov_b32 s16, 0x7f00000
	v_mov_b32_e32 v7, 0x7e
	v_cmp_ne_u32_e32 vcc, s16, v3
	v_cndmask_b32_e32 v3, v7, v6, vcc
; %bb.1027:
	s_andn2_saveexec_b64 s[14:15], s[14:15]
; %bb.1028:
	s_mov_b32 s16, 0x46800000
	v_add_f32_e64 v3, |v2|, s16
; %bb.1029:
	s_or_b64 exec, exec, s[14:15]
                                        ; implicit-def: $vgpr6
.LBB40_1030:
	s_andn2_saveexec_b64 s[12:13], s[12:13]
; %bb.1031:
	s_mov_b32 s14, 0x7f800000
	v_mov_b32_e32 v3, 0x7e
	v_mov_b32_e32 v7, 0x7f
	v_cmp_lt_u32_e32 vcc, s14, v6
	v_cndmask_b32_e32 v3, v3, v7, vcc
; %bb.1032:
	s_or_b64 exec, exec, s[12:13]
	v_lshrrev_b32_e32 v2, 24, v2
	s_movk_i32 s12, 0x80
	v_and_or_b32 v2, v2, s12, v3
	global_store_byte v[4:5], v2, off
.LBB40_1033:
	s_mov_b64 s[12:13], 0
.LBB40_1034:
	s_andn2_b64 vcc, exec, s[12:13]
	s_cbranch_vccnz .LBB40_1044
; %bb.1035:
	v_cvt_f32_f64_e32 v2, v[0:1]
	s_mov_b32 s12, 0x47800000
                                        ; implicit-def: $vgpr3
	v_and_b32_e32 v6, 0x7fffffff, v2
	v_cmp_gt_u32_e32 vcc, s12, v6
	s_and_saveexec_b64 s[12:13], vcc
	s_xor_b64 s[12:13], exec, s[12:13]
	s_cbranch_execz .LBB40_1041
; %bb.1036:
	s_mov_b32 s14, 0x387fffff
	v_cmp_lt_u32_e32 vcc, s14, v6
                                        ; implicit-def: $vgpr3
	s_and_saveexec_b64 s[14:15], vcc
	s_xor_b64 s[14:15], exec, s[14:15]
; %bb.1037:
	v_bfe_u32 v3, v2, 21, 1
	s_mov_b32 s16, 0x80fffff
	v_add3_u32 v3, v2, v3, s16
	v_lshrrev_b32_e32 v3, 21, v3
; %bb.1038:
	s_andn2_saveexec_b64 s[14:15], s[14:15]
; %bb.1039:
	s_mov_b32 s16, 0x43000000
	v_add_f32_e64 v3, |v2|, s16
; %bb.1040:
	s_or_b64 exec, exec, s[14:15]
                                        ; implicit-def: $vgpr6
.LBB40_1041:
	s_andn2_saveexec_b64 s[12:13], s[12:13]
; %bb.1042:
	s_mov_b32 s14, 0x7f800000
	v_mov_b32_e32 v3, 0x7c
	v_mov_b32_e32 v7, 0x7f
	v_cmp_lt_u32_e32 vcc, s14, v6
	v_cndmask_b32_e32 v3, v3, v7, vcc
; %bb.1043:
	s_or_b64 exec, exec, s[12:13]
	v_lshrrev_b32_e32 v2, 24, v2
	s_movk_i32 s12, 0x80
	v_and_or_b32 v2, v2, s12, v3
	global_store_byte v[4:5], v2, off
.LBB40_1044:
	s_mov_b64 s[12:13], 0
.LBB40_1045:
	s_andn2_b64 vcc, exec, s[12:13]
	s_mov_b64 s[12:13], 0
	s_cbranch_vccnz .LBB40_1053
; %bb.1046:
	s_cmp_gt_i32 s19, 14
	s_mov_b64 s[14:15], -1
	s_cbranch_scc0 .LBB40_1050
; %bb.1047:
	s_cmp_eq_u32 s19, 15
	s_mov_b64 s[0:1], -1
	s_cbranch_scc0 .LBB40_1049
; %bb.1048:
	v_cvt_f32_f64_e32 v2, v[0:1]
	s_movk_i32 s0, 0x7fff
	v_mov_b32_e32 v3, 0x7fc0
	v_bfe_u32 v6, v2, 16, 1
	v_cmp_o_f32_e32 vcc, v2, v2
	v_add3_u32 v2, v2, v6, s0
	v_cndmask_b32_sdwa v2, v3, v2, vcc dst_sel:DWORD dst_unused:UNUSED_PAD src0_sel:DWORD src1_sel:WORD_1
	global_store_short v[4:5], v2, off
	s_mov_b64 s[0:1], 0
.LBB40_1049:
	s_mov_b64 s[14:15], 0
.LBB40_1050:
	s_and_b64 vcc, exec, s[14:15]
	s_cbranch_vccz .LBB40_1053
; %bb.1051:
	s_cmp_lg_u32 s19, 11
	s_cselect_b64 s[14:15], -1, 0
	s_andn2_b64 s[0:1], s[0:1], exec
	s_and_b64 s[14:15], s[14:15], exec
	s_mov_b64 s[12:13], -1
	s_or_b64 s[0:1], s[0:1], s[14:15]
	s_branch .LBB40_1053
.LBB40_1052:
	s_mov_b64 s[12:13], 0
.LBB40_1053:
	s_andn2_b64 s[14:15], s[52:53], exec
	s_and_b64 s[0:1], s[0:1], exec
	s_and_b64 s[10:11], s[10:11], exec
	;; [unrolled: 1-line block ×3, first 2 shown]
	s_or_b64 s[52:53], s[14:15], s[0:1]
	s_or_b64 exec, exec, s[8:9]
	s_and_saveexec_b64 s[0:1], s[52:53]
	s_cbranch_execz .LBB40_982
.LBB40_1054:
	s_or_b64 s[2:3], s[2:3], exec
	s_andn2_b64 s[12:13], s[12:13], exec
	s_trap 2
	s_or_b64 exec, exec, s[0:1]
	s_and_saveexec_b64 s[0:1], s[12:13]
	s_xor_b64 s[0:1], exec, s[0:1]
	s_cbranch_execnz .LBB40_983
.LBB40_1055:
	s_or_b64 exec, exec, s[0:1]
	s_and_saveexec_b64 s[0:1], s[10:11]
	s_xor_b64 s[0:1], exec, s[0:1]
	s_cbranch_execz .LBB40_1093
.LBB40_1056:
	s_sext_i32_i16 s10, s18
	s_cmp_lt_i32 s10, 5
	s_mov_b64 s[8:9], -1
	s_cbranch_scc1 .LBB40_1077
; %bb.1057:
	s_cmp_lt_i32 s10, 8
	s_cbranch_scc1 .LBB40_1067
; %bb.1058:
	s_cmp_lt_i32 s10, 9
	s_cbranch_scc1 .LBB40_1064
; %bb.1059:
	s_cmp_gt_i32 s10, 9
	s_cbranch_scc0 .LBB40_1061
; %bb.1060:
	v_mov_b32_e32 v2, 0
	s_waitcnt vmcnt(0)
	v_mov_b32_e32 v3, v2
	s_mov_b64 s[8:9], 0
	global_store_dwordx4 v[4:5], v[0:3], off
.LBB40_1061:
	s_andn2_b64 vcc, exec, s[8:9]
	s_cbranch_vccnz .LBB40_1063
; %bb.1062:
	v_cvt_f32_f64_e32 v2, v[0:1]
	s_waitcnt vmcnt(0)
	v_mov_b32_e32 v3, 0
	global_store_dwordx2 v[4:5], v[2:3], off
.LBB40_1063:
	s_mov_b64 s[8:9], 0
.LBB40_1064:
	s_andn2_b64 vcc, exec, s[8:9]
	s_cbranch_vccnz .LBB40_1066
; %bb.1065:
	s_movk_i32 s8, 0x1ff
	v_and_or_b32 v2, v1, s8, v0
	v_cmp_ne_u32_e32 vcc, 0, v2
	v_cndmask_b32_e64 v2, 0, 1, vcc
	s_waitcnt vmcnt(0)
	v_lshrrev_b32_e32 v3, 8, v1
	s_movk_i32 s8, 0xffe
	v_bfe_u32 v6, v1, 20, 11
	v_and_or_b32 v2, v3, s8, v2
	v_sub_u32_e32 v7, 0x3f1, v6
	v_or_b32_e32 v3, 0x1000, v2
	v_med3_i32 v7, v7, 0, 13
	v_lshrrev_b32_e32 v8, v7, v3
	v_lshlrev_b32_e32 v7, v7, v8
	v_cmp_ne_u32_e32 vcc, v7, v3
	v_cndmask_b32_e64 v3, 0, 1, vcc
	v_add_u32_e32 v6, 0xfffffc10, v6
	v_or_b32_e32 v3, v8, v3
	v_lshl_or_b32 v7, v6, 12, v2
	v_cmp_gt_i32_e32 vcc, 1, v6
	v_cndmask_b32_e32 v3, v7, v3, vcc
	v_and_b32_e32 v7, 7, v3
	v_cmp_lt_i32_e32 vcc, 5, v7
	v_cndmask_b32_e64 v8, 0, 1, vcc
	v_cmp_eq_u32_e32 vcc, 3, v7
	v_cndmask_b32_e64 v7, 0, 1, vcc
	v_or_b32_e32 v7, v7, v8
	v_lshrrev_b32_e32 v3, 2, v3
	v_add_u32_e32 v3, v3, v7
	v_mov_b32_e32 v7, 0x7c00
	v_cmp_gt_i32_e32 vcc, 31, v6
	v_cndmask_b32_e32 v3, v7, v3, vcc
	v_mov_b32_e32 v8, 0x7e00
	v_cmp_ne_u32_e32 vcc, 0, v2
	s_movk_i32 s8, 0x40f
	v_cndmask_b32_e32 v2, v7, v8, vcc
	v_cmp_eq_u32_e32 vcc, s8, v6
	v_cndmask_b32_e32 v2, v3, v2, vcc
	v_lshrrev_b32_e32 v3, 16, v1
	s_mov_b32 s8, 0x8000
	v_and_or_b32 v2, v3, s8, v2
	v_and_b32_e32 v2, 0xffff, v2
	global_store_dword v[4:5], v2, off
.LBB40_1066:
	s_mov_b64 s[8:9], 0
.LBB40_1067:
	s_andn2_b64 vcc, exec, s[8:9]
	s_cbranch_vccnz .LBB40_1076
; %bb.1068:
	s_sext_i32_i16 s10, s18
	s_cmp_lt_i32 s10, 6
	s_mov_b64 s[8:9], -1
	s_cbranch_scc1 .LBB40_1074
; %bb.1069:
	s_cmp_gt_i32 s10, 6
	s_cbranch_scc0 .LBB40_1071
; %bb.1070:
	s_mov_b64 s[8:9], 0
	s_waitcnt vmcnt(0)
	global_store_dwordx2 v[4:5], v[0:1], off
.LBB40_1071:
	s_andn2_b64 vcc, exec, s[8:9]
	s_cbranch_vccnz .LBB40_1073
; %bb.1072:
	v_cvt_f32_f64_e32 v2, v[0:1]
	s_waitcnt vmcnt(0)
	global_store_dword v[4:5], v2, off
.LBB40_1073:
	s_mov_b64 s[8:9], 0
.LBB40_1074:
	s_andn2_b64 vcc, exec, s[8:9]
	s_cbranch_vccnz .LBB40_1076
; %bb.1075:
	s_movk_i32 s8, 0x1ff
	v_and_or_b32 v2, v1, s8, v0
	v_cmp_ne_u32_e32 vcc, 0, v2
	v_cndmask_b32_e64 v2, 0, 1, vcc
	s_waitcnt vmcnt(0)
	v_lshrrev_b32_e32 v3, 8, v1
	s_movk_i32 s8, 0xffe
	v_bfe_u32 v6, v1, 20, 11
	v_and_or_b32 v2, v3, s8, v2
	v_sub_u32_e32 v7, 0x3f1, v6
	v_or_b32_e32 v3, 0x1000, v2
	v_med3_i32 v7, v7, 0, 13
	v_lshrrev_b32_e32 v8, v7, v3
	v_lshlrev_b32_e32 v7, v7, v8
	v_cmp_ne_u32_e32 vcc, v7, v3
	v_cndmask_b32_e64 v3, 0, 1, vcc
	v_add_u32_e32 v6, 0xfffffc10, v6
	v_or_b32_e32 v3, v8, v3
	v_lshl_or_b32 v7, v6, 12, v2
	v_cmp_gt_i32_e32 vcc, 1, v6
	v_cndmask_b32_e32 v3, v7, v3, vcc
	v_and_b32_e32 v7, 7, v3
	v_cmp_lt_i32_e32 vcc, 5, v7
	v_cndmask_b32_e64 v8, 0, 1, vcc
	v_cmp_eq_u32_e32 vcc, 3, v7
	v_cndmask_b32_e64 v7, 0, 1, vcc
	v_or_b32_e32 v7, v7, v8
	v_lshrrev_b32_e32 v3, 2, v3
	v_add_u32_e32 v3, v3, v7
	v_mov_b32_e32 v7, 0x7c00
	v_cmp_gt_i32_e32 vcc, 31, v6
	v_cndmask_b32_e32 v3, v7, v3, vcc
	v_mov_b32_e32 v8, 0x7e00
	v_cmp_ne_u32_e32 vcc, 0, v2
	s_movk_i32 s8, 0x40f
	v_cndmask_b32_e32 v2, v7, v8, vcc
	v_cmp_eq_u32_e32 vcc, s8, v6
	v_cndmask_b32_e32 v2, v3, v2, vcc
	v_lshrrev_b32_e32 v3, 16, v1
	s_mov_b32 s8, 0x8000
	v_and_or_b32 v2, v3, s8, v2
	global_store_short v[4:5], v2, off
.LBB40_1076:
	s_mov_b64 s[8:9], 0
.LBB40_1077:
	s_andn2_b64 vcc, exec, s[8:9]
	s_cbranch_vccnz .LBB40_1093
; %bb.1078:
	s_sext_i32_i16 s10, s18
	s_cmp_lt_i32 s10, 2
	s_mov_b64 s[8:9], -1
	s_cbranch_scc1 .LBB40_1088
; %bb.1079:
	s_cmp_lt_i32 s10, 3
	s_cbranch_scc1 .LBB40_1085
; %bb.1080:
	s_cmp_gt_i32 s10, 3
	s_cbranch_scc0 .LBB40_1082
; %bb.1081:
	s_waitcnt vmcnt(0)
	v_trunc_f64_e32 v[2:3], v[0:1]
	s_movk_i32 s8, 0xffe0
	v_ldexp_f64 v[6:7], v[2:3], s8
	s_mov_b32 s8, 0
	s_mov_b32 s9, 0xc1f00000
	v_floor_f64_e32 v[6:7], v[6:7]
	v_fma_f64 v[2:3], v[6:7], s[8:9], v[2:3]
	v_cvt_i32_f64_e32 v7, v[6:7]
	s_mov_b64 s[8:9], 0
	v_cvt_u32_f64_e32 v6, v[2:3]
	global_store_dwordx2 v[4:5], v[6:7], off
.LBB40_1082:
	s_andn2_b64 vcc, exec, s[8:9]
	s_cbranch_vccnz .LBB40_1084
; %bb.1083:
	v_cvt_i32_f64_e32 v2, v[0:1]
	s_waitcnt vmcnt(0)
	global_store_dword v[4:5], v2, off
.LBB40_1084:
	s_mov_b64 s[8:9], 0
.LBB40_1085:
	s_andn2_b64 vcc, exec, s[8:9]
	s_cbranch_vccnz .LBB40_1087
; %bb.1086:
	v_cvt_i32_f64_e32 v2, v[0:1]
	s_waitcnt vmcnt(0)
	global_store_short v[4:5], v2, off
.LBB40_1087:
	s_mov_b64 s[8:9], 0
.LBB40_1088:
	s_andn2_b64 vcc, exec, s[8:9]
	s_cbranch_vccnz .LBB40_1093
; %bb.1089:
	s_sext_i32_i16 s8, s18
	s_cmp_gt_i32 s8, 0
	s_mov_b64 s[8:9], -1
	s_cbranch_scc0 .LBB40_1091
; %bb.1090:
	v_cvt_i32_f64_e32 v2, v[0:1]
	s_mov_b64 s[8:9], 0
	s_waitcnt vmcnt(0)
	global_store_byte v[4:5], v2, off
.LBB40_1091:
	s_andn2_b64 vcc, exec, s[8:9]
	s_cbranch_vccnz .LBB40_1093
; %bb.1092:
	v_trunc_f64_e32 v[0:1], v[0:1]
	s_movk_i32 s8, 0xffe0
	s_waitcnt vmcnt(0)
	v_ldexp_f64 v[2:3], v[0:1], s8
	s_mov_b32 s8, 0
	s_mov_b32 s9, 0xc1f00000
	v_floor_f64_e32 v[2:3], v[2:3]
	v_fma_f64 v[0:1], v[2:3], s[8:9], v[0:1]
	v_cvt_u32_f64_e32 v0, v[0:1]
	global_store_byte v[4:5], v0, off
.LBB40_1093:
	s_or_b64 exec, exec, s[0:1]
	s_waitcnt lgkmcnt(0)
	s_and_b64 s[28:29], s[2:3], exec
                                        ; implicit-def: $vgpr5
                                        ; implicit-def: $vgpr11
.LBB40_1094:
	s_or_saveexec_b64 s[30:31], s[42:43]
	s_mov_b64 s[0:1], 0
                                        ; implicit-def: $vgpr0_vgpr1
                                        ; implicit-def: $sgpr14
                                        ; implicit-def: $vgpr8_vgpr9
	s_xor_b64 exec, exec, s[30:31]
	s_cbranch_execz .LBB40_2106
; %bb.1095:
	v_cndmask_b32_e64 v0, 0, 1, s[40:41]
	v_cmp_ne_u32_e64 s[0:1], 1, v0
	s_andn2_b64 vcc, exec, s[40:41]
	s_cbranch_vccnz .LBB40_1101
; %bb.1096:
	s_cmp_lg_u32 s33, 0
	s_mov_b32 s36, 0
	s_cbranch_scc0 .LBB40_1102
; %bb.1097:
	s_min_u32 s37, s72, 15
	s_add_i32 s37, s37, 1
	s_cmp_eq_u32 s72, 2
	s_cbranch_scc1 .LBB40_1103
; %bb.1098:
	s_and_b32 s36, s37, 28
	s_add_u32 s2, s34, 0xc4
	s_addc_u32 s3, s35, 0
	v_mov_b32_e32 v0, 0
	s_mov_b32 s38, 0
	s_mov_b64 s[6:7], s[34:35]
	v_mov_b32_e32 v2, 0
	v_mov_b32_e32 v1, v11
.LBB40_1099:                            ; =>This Inner Loop Header: Depth=1
	s_load_dwordx8 s[16:23], s[6:7], 0x4
	s_load_dwordx4 s[24:27], s[6:7], 0x24
	s_load_dwordx8 s[8:15], s[2:3], 0x0
	s_add_u32 s6, s6, 48
	s_addc_u32 s7, s7, 0
	s_waitcnt vmcnt(0) lgkmcnt(0)
	v_mul_hi_u32 v3, s17, v1
	s_add_i32 s38, s38, 4
	s_add_u32 s2, s2, 32
	s_addc_u32 s3, s3, 0
	v_add_u32_e32 v3, v1, v3
	v_lshrrev_b32_e32 v3, s18, v3
	v_mul_lo_u32 v4, v3, s16
	v_mul_hi_u32 v6, s20, v3
	s_cmp_lg_u32 s36, s38
	v_sub_u32_e32 v1, v1, v4
	v_add_u32_e32 v4, v3, v6
	v_mul_lo_u32 v6, v1, s8
	v_mul_lo_u32 v7, v1, s9
	v_lshrrev_b32_e32 v1, s21, v4
	v_mul_lo_u32 v4, v1, s19
	v_mul_hi_u32 v8, s23, v1
	v_sub_u32_e32 v3, v3, v4
	v_add_u32_e32 v4, v1, v8
	v_lshrrev_b32_e32 v4, s24, v4
	v_mul_hi_u32 v9, s26, v4
	v_mul_lo_u32 v10, v4, s22
	v_mul_lo_u32 v8, v3, s10
	;; [unrolled: 1-line block ×3, first 2 shown]
	v_sub_u32_e32 v10, v1, v10
	v_add_u32_e32 v1, v4, v9
	v_lshrrev_b32_e32 v1, s27, v1
	v_mul_lo_u32 v9, v1, s25
	v_mul_lo_u32 v12, v10, s12
	;; [unrolled: 1-line block ×3, first 2 shown]
	v_add3_u32 v2, v6, v2, v8
	v_sub_u32_e32 v4, v4, v9
	v_mul_lo_u32 v9, v4, s14
	v_mul_lo_u32 v4, v4, s15
	v_add3_u32 v0, v7, v0, v3
	v_add3_u32 v2, v12, v2, v9
	;; [unrolled: 1-line block ×3, first 2 shown]
	s_cbranch_scc1 .LBB40_1099
; %bb.1100:
	s_and_b32 s8, s37, 3
	s_cmp_eq_u32 s8, 0
	s_cbranch_scc0 .LBB40_1104
	s_branch .LBB40_1106
.LBB40_1101:
                                        ; implicit-def: $vgpr2
                                        ; implicit-def: $vgpr0
	s_branch .LBB40_1107
.LBB40_1102:
	v_mov_b32_e32 v2, 0
	v_mov_b32_e32 v0, 0
	s_branch .LBB40_1106
.LBB40_1103:
	v_mov_b32_e32 v2, 0
	v_mov_b32_e32 v0, 0
	;; [unrolled: 1-line block ×3, first 2 shown]
	s_and_b32 s8, s37, 3
	s_cmp_eq_u32 s8, 0
	s_cbranch_scc1 .LBB40_1106
.LBB40_1104:
	s_lshl_b32 s2, s36, 3
	s_add_u32 s2, s34, s2
	s_addc_u32 s3, s35, 0
	s_add_u32 s2, s2, 0xc4
	s_addc_u32 s3, s3, 0
	s_mul_i32 s6, s36, 12
	s_add_u32 s6, s34, s6
	s_addc_u32 s7, s35, 0
.LBB40_1105:                            ; =>This Inner Loop Header: Depth=1
	s_load_dwordx2 s[10:11], s[6:7], 0x4
	s_load_dword s9, s[6:7], 0xc
	s_load_dwordx2 s[12:13], s[2:3], 0x0
	s_add_u32 s6, s6, 12
	s_addc_u32 s7, s7, 0
	s_waitcnt vmcnt(0) lgkmcnt(0)
	v_mul_hi_u32 v3, s11, v1
	s_add_u32 s2, s2, 8
	s_addc_u32 s3, s3, 0
	s_add_i32 s8, s8, -1
	v_add_u32_e32 v3, v1, v3
	v_lshrrev_b32_e32 v4, s9, v3
	v_mul_lo_u32 v3, v4, s10
	s_cmp_lg_u32 s8, 0
	v_sub_u32_e32 v1, v1, v3
	v_mad_u64_u32 v[2:3], s[10:11], v1, s12, v[2:3]
	v_mad_u64_u32 v[0:1], s[10:11], v1, s13, v[0:1]
	v_mov_b32_e32 v1, v4
	s_cbranch_scc1 .LBB40_1105
.LBB40_1106:
	s_cbranch_execnz .LBB40_1109
.LBB40_1107:
	s_load_dwordx4 s[8:11], s[34:35], 0x4
	s_load_dwordx2 s[2:3], s[34:35], 0xc4
	s_cmp_lt_u32 s33, 2
	s_waitcnt lgkmcnt(0)
	v_mul_hi_u32 v0, s9, v11
	v_add_u32_e32 v0, v11, v0
	v_lshrrev_b32_e32 v1, s10, v0
	v_mul_lo_u32 v0, v1, s8
	v_sub_u32_e32 v0, v11, v0
	v_mul_lo_u32 v2, v0, s2
	v_mul_lo_u32 v0, v0, s3
	s_cbranch_scc1 .LBB40_1109
; %bb.1108:
	s_load_dwordx4 s[8:11], s[34:35], 0x10
	s_load_dwordx2 s[2:3], s[34:35], 0xcc
	s_waitcnt vmcnt(0) lgkmcnt(0)
	v_mul_hi_u32 v3, s9, v1
	v_add_u32_e32 v3, v1, v3
	v_lshrrev_b32_e32 v3, s10, v3
	v_mul_lo_u32 v3, v3, s8
	v_sub_u32_e32 v1, v1, v3
	v_mad_u64_u32 v[2:3], s[6:7], v1, s2, v[2:3]
	v_mad_u64_u32 v[0:1], s[2:3], v1, s3, v[0:1]
.LBB40_1109:
	s_and_b64 vcc, exec, s[0:1]
	v_add_u32_e32 v1, 0x80, v11
	s_cbranch_vccnz .LBB40_1115
; %bb.1110:
	s_cmp_lg_u32 s33, 0
	s_mov_b32 s36, 0
	s_cbranch_scc0 .LBB40_1116
; %bb.1111:
	s_min_u32 s37, s72, 15
	s_add_i32 s37, s37, 1
	s_cmp_eq_u32 s72, 2
	s_cbranch_scc1 .LBB40_1117
; %bb.1112:
	s_and_b32 s36, s37, 28
	s_add_u32 s2, s34, 0xc4
	s_addc_u32 s3, s35, 0
	v_mov_b32_e32 v9, 0
	s_mov_b32 s38, 0
	s_mov_b64 s[6:7], s[34:35]
	s_waitcnt vmcnt(0)
	v_mov_b32_e32 v6, 0
	v_mov_b32_e32 v3, v1
.LBB40_1113:                            ; =>This Inner Loop Header: Depth=1
	s_load_dwordx8 s[16:23], s[6:7], 0x4
	s_load_dwordx4 s[24:27], s[6:7], 0x24
	s_load_dwordx8 s[8:15], s[2:3], 0x0
	s_add_u32 s6, s6, 48
	s_addc_u32 s7, s7, 0
	s_waitcnt lgkmcnt(0)
	v_mul_hi_u32 v4, s17, v3
	s_add_i32 s38, s38, 4
	s_add_u32 s2, s2, 32
	s_addc_u32 s3, s3, 0
	v_add_u32_e32 v4, v3, v4
	v_lshrrev_b32_e32 v4, s18, v4
	v_mul_lo_u32 v7, v4, s16
	v_mul_hi_u32 v8, s20, v4
	s_cmp_lg_u32 s36, s38
	v_sub_u32_e32 v3, v3, v7
	v_add_u32_e32 v7, v4, v8
	v_mul_lo_u32 v8, v3, s8
	v_mul_lo_u32 v10, v3, s9
	v_lshrrev_b32_e32 v3, s21, v7
	v_mul_lo_u32 v7, v3, s19
	v_mul_hi_u32 v12, s23, v3
	v_sub_u32_e32 v4, v4, v7
	v_add_u32_e32 v7, v3, v12
	v_lshrrev_b32_e32 v7, s24, v7
	v_mul_hi_u32 v13, s26, v7
	v_mul_lo_u32 v14, v7, s22
	v_mul_lo_u32 v12, v4, s10
	;; [unrolled: 1-line block ×3, first 2 shown]
	v_sub_u32_e32 v14, v3, v14
	v_add_u32_e32 v3, v7, v13
	v_lshrrev_b32_e32 v3, s27, v3
	v_mul_lo_u32 v13, v3, s25
	v_mul_lo_u32 v15, v14, s12
	;; [unrolled: 1-line block ×3, first 2 shown]
	v_add3_u32 v6, v8, v6, v12
	v_sub_u32_e32 v7, v7, v13
	v_mul_lo_u32 v13, v7, s14
	v_mul_lo_u32 v7, v7, s15
	v_add3_u32 v4, v10, v9, v4
	v_add3_u32 v6, v15, v6, v13
	;; [unrolled: 1-line block ×3, first 2 shown]
	s_cbranch_scc1 .LBB40_1113
; %bb.1114:
	s_and_b32 s8, s37, 3
	s_cmp_eq_u32 s8, 0
	s_cbranch_scc0 .LBB40_1118
	s_branch .LBB40_1120
.LBB40_1115:
                                        ; implicit-def: $vgpr6
                                        ; implicit-def: $vgpr9
	s_branch .LBB40_1121
.LBB40_1116:
	s_waitcnt vmcnt(0)
	v_mov_b32_e32 v6, 0
	v_mov_b32_e32 v9, 0
	s_branch .LBB40_1120
.LBB40_1117:
	s_waitcnt vmcnt(0)
	v_mov_b32_e32 v6, 0
	v_mov_b32_e32 v9, 0
	;; [unrolled: 1-line block ×3, first 2 shown]
	s_and_b32 s8, s37, 3
	s_cmp_eq_u32 s8, 0
	s_cbranch_scc1 .LBB40_1120
.LBB40_1118:
	s_lshl_b32 s2, s36, 3
	s_add_u32 s2, s34, s2
	s_addc_u32 s3, s35, 0
	s_add_u32 s2, s2, 0xc4
	s_addc_u32 s3, s3, 0
	s_mul_i32 s6, s36, 12
	s_add_u32 s6, s34, s6
	s_addc_u32 s7, s35, 0
.LBB40_1119:                            ; =>This Inner Loop Header: Depth=1
	s_load_dwordx2 s[10:11], s[6:7], 0x4
	s_load_dword s9, s[6:7], 0xc
	s_load_dwordx2 s[12:13], s[2:3], 0x0
	s_add_u32 s6, s6, 12
	s_addc_u32 s7, s7, 0
	s_waitcnt lgkmcnt(0)
	v_mul_hi_u32 v4, s11, v3
	s_add_u32 s2, s2, 8
	s_addc_u32 s3, s3, 0
	s_add_i32 s8, s8, -1
	v_add_u32_e32 v4, v3, v4
	v_lshrrev_b32_e32 v4, s9, v4
	v_mul_lo_u32 v7, v4, s10
	s_cmp_lg_u32 s8, 0
	v_sub_u32_e32 v3, v3, v7
	v_mad_u64_u32 v[6:7], s[10:11], v3, s12, v[6:7]
	v_mad_u64_u32 v[9:10], s[10:11], v3, s13, v[9:10]
	v_mov_b32_e32 v3, v4
	s_cbranch_scc1 .LBB40_1119
.LBB40_1120:
	s_cbranch_execnz .LBB40_1123
.LBB40_1121:
	s_load_dwordx4 s[8:11], s[34:35], 0x4
	s_load_dwordx2 s[2:3], s[34:35], 0xc4
	s_cmp_lt_u32 s33, 2
	s_waitcnt vmcnt(0) lgkmcnt(0)
	v_mul_hi_u32 v3, s9, v1
	v_add_u32_e32 v3, v1, v3
	v_lshrrev_b32_e32 v3, s10, v3
	v_mul_lo_u32 v4, v3, s8
	v_sub_u32_e32 v1, v1, v4
	v_mul_lo_u32 v6, v1, s2
	v_mul_lo_u32 v9, v1, s3
	s_cbranch_scc1 .LBB40_1123
; %bb.1122:
	s_load_dwordx4 s[8:11], s[34:35], 0x10
	s_load_dwordx2 s[2:3], s[34:35], 0xcc
	s_waitcnt lgkmcnt(0)
	v_mul_hi_u32 v1, s9, v3
	v_add_u32_e32 v1, v3, v1
	v_lshrrev_b32_e32 v1, s10, v1
	v_mul_lo_u32 v1, v1, s8
	v_sub_u32_e32 v1, v3, v1
	v_mad_u64_u32 v[6:7], s[6:7], v1, s2, v[6:7]
	v_mad_u64_u32 v[9:10], s[2:3], v1, s3, v[9:10]
.LBB40_1123:
	s_and_b64 vcc, exec, s[0:1]
	v_add_u32_e32 v1, 0x100, v11
	s_cbranch_vccnz .LBB40_1129
; %bb.1124:
	s_cmp_lg_u32 s33, 0
	s_mov_b32 s36, 0
	s_cbranch_scc0 .LBB40_1130
; %bb.1125:
	s_min_u32 s37, s72, 15
	s_add_i32 s37, s37, 1
	s_cmp_eq_u32 s72, 2
	s_cbranch_scc1 .LBB40_1131
; %bb.1126:
	s_and_b32 s36, s37, 28
	s_add_u32 s2, s34, 0xc4
	s_addc_u32 s3, s35, 0
	s_waitcnt vmcnt(0)
	v_mov_b32_e32 v7, 0
	s_mov_b32 s38, 0
	s_mov_b64 s[6:7], s[34:35]
	v_mov_b32_e32 v12, 0
	v_mov_b32_e32 v3, v1
.LBB40_1127:                            ; =>This Inner Loop Header: Depth=1
	s_load_dwordx8 s[16:23], s[6:7], 0x4
	s_load_dwordx4 s[24:27], s[6:7], 0x24
	s_load_dwordx8 s[8:15], s[2:3], 0x0
	s_add_u32 s6, s6, 48
	s_addc_u32 s7, s7, 0
	s_waitcnt lgkmcnt(0)
	v_mul_hi_u32 v4, s17, v3
	s_add_i32 s38, s38, 4
	s_add_u32 s2, s2, 32
	s_addc_u32 s3, s3, 0
	v_add_u32_e32 v4, v3, v4
	v_lshrrev_b32_e32 v4, s18, v4
	v_mul_lo_u32 v8, v4, s16
	v_mul_hi_u32 v10, s20, v4
	s_cmp_lg_u32 s36, s38
	v_sub_u32_e32 v3, v3, v8
	v_add_u32_e32 v8, v4, v10
	v_mul_lo_u32 v10, v3, s8
	v_mul_lo_u32 v11, v3, s9
	v_lshrrev_b32_e32 v3, s21, v8
	v_mul_lo_u32 v8, v3, s19
	v_mul_hi_u32 v13, s23, v3
	v_sub_u32_e32 v4, v4, v8
	v_add_u32_e32 v8, v3, v13
	v_lshrrev_b32_e32 v8, s24, v8
	v_mul_hi_u32 v14, s26, v8
	v_mul_lo_u32 v15, v8, s22
	v_mul_lo_u32 v13, v4, s10
	v_mul_lo_u32 v4, v4, s11
	v_sub_u32_e32 v15, v3, v15
	v_add_u32_e32 v3, v8, v14
	v_lshrrev_b32_e32 v3, s27, v3
	v_mul_lo_u32 v14, v3, s25
	v_mul_lo_u32 v16, v15, s12
	;; [unrolled: 1-line block ×3, first 2 shown]
	v_add3_u32 v10, v10, v12, v13
	v_sub_u32_e32 v8, v8, v14
	v_mul_lo_u32 v14, v8, s14
	v_mul_lo_u32 v8, v8, s15
	v_add3_u32 v4, v11, v7, v4
	v_add3_u32 v12, v16, v10, v14
	;; [unrolled: 1-line block ×3, first 2 shown]
	s_cbranch_scc1 .LBB40_1127
; %bb.1128:
	s_and_b32 s8, s37, 3
	s_cmp_eq_u32 s8, 0
	s_cbranch_scc0 .LBB40_1132
	s_branch .LBB40_1134
.LBB40_1129:
                                        ; implicit-def: $vgpr12
                                        ; implicit-def: $vgpr7
	s_branch .LBB40_1135
.LBB40_1130:
	v_mov_b32_e32 v12, 0
	s_waitcnt vmcnt(0)
	v_mov_b32_e32 v7, 0
	s_branch .LBB40_1134
.LBB40_1131:
	v_mov_b32_e32 v12, 0
	s_waitcnt vmcnt(0)
	v_mov_b32_e32 v7, 0
	v_mov_b32_e32 v3, v1
	s_and_b32 s8, s37, 3
	s_cmp_eq_u32 s8, 0
	s_cbranch_scc1 .LBB40_1134
.LBB40_1132:
	s_lshl_b32 s2, s36, 3
	s_add_u32 s2, s34, s2
	s_addc_u32 s3, s35, 0
	s_add_u32 s2, s2, 0xc4
	s_addc_u32 s3, s3, 0
	s_mul_i32 s6, s36, 12
	s_add_u32 s6, s34, s6
	s_addc_u32 s7, s35, 0
.LBB40_1133:                            ; =>This Inner Loop Header: Depth=1
	s_load_dwordx2 s[10:11], s[6:7], 0x4
	s_load_dword s9, s[6:7], 0xc
	s_load_dwordx2 s[12:13], s[2:3], 0x0
	s_add_u32 s6, s6, 12
	s_addc_u32 s7, s7, 0
	s_waitcnt lgkmcnt(0)
	v_mul_hi_u32 v4, s11, v3
	s_add_u32 s2, s2, 8
	s_addc_u32 s3, s3, 0
	s_add_i32 s8, s8, -1
	v_add_u32_e32 v4, v3, v4
	v_lshrrev_b32_e32 v4, s9, v4
	v_mul_lo_u32 v8, v4, s10
	s_cmp_lg_u32 s8, 0
	v_sub_u32_e32 v3, v3, v8
	v_mad_u64_u32 v[12:13], s[10:11], v3, s12, v[12:13]
	v_mad_u64_u32 v[7:8], s[10:11], v3, s13, v[7:8]
	v_mov_b32_e32 v3, v4
	s_cbranch_scc1 .LBB40_1133
.LBB40_1134:
	s_cbranch_execnz .LBB40_1137
.LBB40_1135:
	s_load_dwordx4 s[8:11], s[34:35], 0x4
	s_load_dwordx2 s[2:3], s[34:35], 0xc4
	s_cmp_lt_u32 s33, 2
	s_waitcnt vmcnt(0) lgkmcnt(0)
	v_mul_hi_u32 v3, s9, v1
	v_add_u32_e32 v3, v1, v3
	v_lshrrev_b32_e32 v3, s10, v3
	v_mul_lo_u32 v4, v3, s8
	v_sub_u32_e32 v1, v1, v4
	v_mul_lo_u32 v12, v1, s2
	v_mul_lo_u32 v7, v1, s3
	s_cbranch_scc1 .LBB40_1137
; %bb.1136:
	s_load_dwordx4 s[8:11], s[34:35], 0x10
	s_load_dwordx2 s[2:3], s[34:35], 0xcc
	s_waitcnt lgkmcnt(0)
	v_mul_hi_u32 v1, s9, v3
	v_add_u32_e32 v1, v3, v1
	v_lshrrev_b32_e32 v1, s10, v1
	v_mul_lo_u32 v1, v1, s8
	v_sub_u32_e32 v1, v3, v1
	v_mad_u64_u32 v[12:13], s[6:7], v1, s2, v[12:13]
	v_mad_u64_u32 v[7:8], s[2:3], v1, s3, v[7:8]
.LBB40_1137:
	s_and_b64 vcc, exec, s[0:1]
	s_cbranch_vccnz .LBB40_1143
; %bb.1138:
	s_cmp_lg_u32 s33, 0
	s_mov_b32 s26, 0
	s_cbranch_scc0 .LBB40_1144
; %bb.1139:
	s_min_u32 s27, s72, 15
	s_add_i32 s27, s27, 1
	s_cmp_eq_u32 s72, 2
	s_cbranch_scc1 .LBB40_1145
; %bb.1140:
	s_and_b32 s26, s27, 28
	s_add_u32 s6, s34, 0xc4
	s_addc_u32 s7, s35, 0
	s_waitcnt vmcnt(0)
	v_mov_b32_e32 v3, 0
	s_mov_b32 s36, 0
	s_mov_b64 s[24:25], s[34:35]
	v_mov_b32_e32 v14, 0
	v_mov_b32_e32 v1, v5
.LBB40_1141:                            ; =>This Inner Loop Header: Depth=1
	s_load_dwordx8 s[16:23], s[24:25], 0x4
	s_load_dwordx4 s[0:3], s[24:25], 0x24
	s_load_dwordx8 s[8:15], s[6:7], 0x0
	s_add_u32 s24, s24, 48
	s_addc_u32 s25, s25, 0
	s_waitcnt lgkmcnt(0)
	v_mul_hi_u32 v4, s17, v1
	s_add_i32 s36, s36, 4
	s_add_u32 s6, s6, 32
	s_addc_u32 s7, s7, 0
	v_add_u32_e32 v4, v1, v4
	v_lshrrev_b32_e32 v4, s18, v4
	v_mul_lo_u32 v8, v4, s16
	v_mul_hi_u32 v10, s20, v4
	s_cmp_lg_u32 s26, s36
	v_sub_u32_e32 v1, v1, v8
	v_add_u32_e32 v8, v4, v10
	v_mul_lo_u32 v10, v1, s8
	v_mul_lo_u32 v11, v1, s9
	v_lshrrev_b32_e32 v1, s21, v8
	v_mul_lo_u32 v8, v1, s19
	v_mul_hi_u32 v13, s23, v1
	v_sub_u32_e32 v4, v4, v8
	v_add_u32_e32 v8, v1, v13
	v_lshrrev_b32_e32 v8, s0, v8
	v_mul_hi_u32 v15, s2, v8
	v_mul_lo_u32 v16, v8, s22
	v_mul_lo_u32 v13, v4, s10
	;; [unrolled: 1-line block ×3, first 2 shown]
	v_sub_u32_e32 v16, v1, v16
	v_add_u32_e32 v1, v8, v15
	v_lshrrev_b32_e32 v1, s3, v1
	v_mul_lo_u32 v15, v1, s1
	v_mul_lo_u32 v17, v16, s12
	v_mul_lo_u32 v16, v16, s13
	v_add3_u32 v10, v10, v14, v13
	v_sub_u32_e32 v8, v8, v15
	v_mul_lo_u32 v15, v8, s14
	v_mul_lo_u32 v8, v8, s15
	v_add3_u32 v3, v11, v3, v4
	v_add3_u32 v14, v17, v10, v15
	;; [unrolled: 1-line block ×3, first 2 shown]
	s_cbranch_scc1 .LBB40_1141
; %bb.1142:
	s_and_b32 s6, s27, 3
	s_cmp_eq_u32 s6, 0
	s_cbranch_scc0 .LBB40_1146
	s_branch .LBB40_1148
.LBB40_1143:
                                        ; implicit-def: $vgpr14
                                        ; implicit-def: $vgpr3
	s_branch .LBB40_1149
.LBB40_1144:
	v_mov_b32_e32 v14, 0
	s_waitcnt vmcnt(0)
	v_mov_b32_e32 v3, 0
	s_branch .LBB40_1148
.LBB40_1145:
	v_mov_b32_e32 v14, 0
	s_waitcnt vmcnt(0)
	v_mov_b32_e32 v3, 0
	v_mov_b32_e32 v1, v5
	s_and_b32 s6, s27, 3
	s_cmp_eq_u32 s6, 0
	s_cbranch_scc1 .LBB40_1148
.LBB40_1146:
	s_lshl_b32 s0, s26, 3
	s_add_u32 s0, s34, s0
	s_addc_u32 s1, s35, 0
	s_add_u32 s0, s0, 0xc4
	s_addc_u32 s1, s1, 0
	s_mul_i32 s2, s26, 12
	s_add_u32 s2, s34, s2
	s_addc_u32 s3, s35, 0
.LBB40_1147:                            ; =>This Inner Loop Header: Depth=1
	s_load_dwordx2 s[8:9], s[2:3], 0x4
	s_load_dword s7, s[2:3], 0xc
	s_load_dwordx2 s[10:11], s[0:1], 0x0
	s_add_u32 s2, s2, 12
	s_addc_u32 s3, s3, 0
	s_waitcnt lgkmcnt(0)
	v_mul_hi_u32 v4, s9, v1
	s_add_u32 s0, s0, 8
	s_addc_u32 s1, s1, 0
	s_add_i32 s6, s6, -1
	v_add_u32_e32 v4, v1, v4
	v_lshrrev_b32_e32 v8, s7, v4
	v_mul_lo_u32 v4, v8, s8
	s_cmp_lg_u32 s6, 0
	v_sub_u32_e32 v1, v1, v4
	v_mad_u64_u32 v[14:15], s[8:9], v1, s10, v[14:15]
	v_mad_u64_u32 v[3:4], s[8:9], v1, s11, v[3:4]
	v_mov_b32_e32 v1, v8
	s_cbranch_scc1 .LBB40_1147
.LBB40_1148:
	s_cbranch_execnz .LBB40_1151
.LBB40_1149:
	s_load_dwordx4 s[0:3], s[34:35], 0x4
	s_load_dwordx2 s[6:7], s[34:35], 0xc4
	s_cmp_lt_u32 s33, 2
	s_waitcnt lgkmcnt(0)
	v_mul_hi_u32 v1, s1, v5
	v_add_u32_e32 v1, v5, v1
	v_lshrrev_b32_e32 v1, s2, v1
	s_waitcnt vmcnt(0)
	v_mul_lo_u32 v3, v1, s0
	v_sub_u32_e32 v3, v5, v3
	v_mul_lo_u32 v14, v3, s6
	v_mul_lo_u32 v3, v3, s7
	s_cbranch_scc1 .LBB40_1151
; %bb.1150:
	s_load_dwordx4 s[0:3], s[34:35], 0x10
	s_load_dwordx2 s[6:7], s[34:35], 0xcc
	s_waitcnt lgkmcnt(0)
	v_mul_hi_u32 v4, s1, v1
	v_add_u32_e32 v4, v1, v4
	v_lshrrev_b32_e32 v4, s2, v4
	v_mul_lo_u32 v4, v4, s0
	v_sub_u32_e32 v1, v1, v4
	v_mad_u64_u32 v[14:15], s[0:1], v1, s6, v[14:15]
	v_mad_u64_u32 v[3:4], s[0:1], v1, s7, v[3:4]
.LBB40_1151:
	s_load_dwordx4 s[8:11], s[34:35], 0x148
	s_load_dword s16, s[4:5], 0x160
	s_waitcnt lgkmcnt(0)
	v_mov_b32_e32 v1, s11
	s_bfe_u32 s14, s16, 0x80010
	v_add_co_u32_e32 v0, vcc, s10, v0
	s_cmp_lt_i32 s14, 11
	v_addc_co_u32_e32 v1, vcc, 0, v1, vcc
	s_cbranch_scc1 .LBB40_1158
; %bb.1152:
	s_and_b32 s15, 0xffff, s14
	s_cmp_gt_i32 s15, 25
	s_mov_b64 s[4:5], 0
	s_cbranch_scc0 .LBB40_1160
; %bb.1153:
	s_cmp_gt_i32 s15, 28
	s_cbranch_scc0 .LBB40_1161
; %bb.1154:
	s_cmp_gt_i32 s15, 43
	;; [unrolled: 3-line block ×3, first 2 shown]
	s_cbranch_scc0 .LBB40_1163
; %bb.1156:
	s_cmp_eq_u32 s15, 46
	s_mov_b64 s[2:3], 0
	s_cbranch_scc0 .LBB40_1166
; %bb.1157:
	global_load_dword v4, v[0:1], off
	s_mov_b64 s[0:1], 0
	s_mov_b64 s[6:7], -1
	s_waitcnt vmcnt(0)
	v_lshlrev_b32_e32 v4, 16, v4
	v_cvt_f64_f32_e32 v[15:16], v4
	s_branch .LBB40_1167
.LBB40_1158:
	s_mov_b64 s[6:7], 0
                                        ; implicit-def: $vgpr15_vgpr16
	s_mov_b64 s[2:3], s[28:29]
	s_cbranch_execnz .LBB40_1230
.LBB40_1159:
	s_andn2_b64 vcc, exec, s[6:7]
                                        ; implicit-def: $vgpr10_vgpr11
	s_cbranch_vccz .LBB40_1275
	s_branch .LBB40_2104
.LBB40_1160:
	s_mov_b64 s[6:7], 0
	s_mov_b64 s[0:1], 0
                                        ; implicit-def: $vgpr15_vgpr16
	s_cbranch_execnz .LBB40_1197
	s_branch .LBB40_1226
.LBB40_1161:
	s_mov_b64 s[2:3], -1
	s_mov_b64 s[6:7], 0
	s_mov_b64 s[0:1], 0
                                        ; implicit-def: $vgpr15_vgpr16
	s_branch .LBB40_1176
.LBB40_1162:
	s_mov_b64 s[6:7], 0
	s_mov_b64 s[0:1], 0
                                        ; implicit-def: $vgpr15_vgpr16
	s_cbranch_execnz .LBB40_1172
	s_branch .LBB40_1175
.LBB40_1163:
	s_mov_b64 s[2:3], -1
	s_mov_b64 s[6:7], 0
	s_mov_b64 s[0:1], 0
                                        ; implicit-def: $vgpr15_vgpr16
	s_branch .LBB40_1167
.LBB40_1164:
	s_andn2_saveexec_b64 s[14:15], s[14:15]
	s_cbranch_execz .LBB40_1007
.LBB40_1165:
	s_mov_b32 s16, 0x46000000
	v_add_f32_e64 v3, |v2|, s16
	v_and_b32_e32 v3, 0xff, v3
	v_cmp_ne_u32_e32 vcc, 0, v3
	s_andn2_b64 s[12:13], s[12:13], exec
	s_and_b64 s[16:17], vcc, exec
	s_or_b64 s[12:13], s[12:13], s[16:17]
	s_or_b64 exec, exec, s[14:15]
	v_mov_b32_e32 v6, 0
	s_and_saveexec_b64 s[14:15], s[12:13]
	s_cbranch_execnz .LBB40_1008
	s_branch .LBB40_1009
.LBB40_1166:
	s_mov_b64 s[0:1], -1
                                        ; implicit-def: $vgpr15_vgpr16
	s_mov_b64 s[6:7], 0
.LBB40_1167:
	s_and_b64 vcc, exec, s[2:3]
	s_cbranch_vccz .LBB40_1170
; %bb.1168:
	s_cmp_eq_u32 s15, 44
	s_cbranch_scc0 .LBB40_1171
; %bb.1169:
	global_load_ubyte v8, v[0:1], off
	s_movk_i32 s2, 0xff
	v_bfrev_b32_e32 v10, 4
	v_mov_b32_e32 v11, 0x7ff80000
	v_bfrev_b32_e32 v13, 28
	s_mov_b64 s[0:1], 0
	s_mov_b64 s[6:7], -1
	s_waitcnt vmcnt(0)
	v_lshlrev_b32_e32 v4, 23, v8
	v_cvt_f64_f32_e32 v[4:5], v4
	v_cmp_ne_u32_e32 vcc, s2, v8
	v_cndmask_b32_e32 v4, v10, v4, vcc
	v_cndmask_b32_e32 v5, v11, v5, vcc
	v_cmp_ne_u32_e32 vcc, 0, v8
	v_cndmask_b32_e32 v16, v13, v5, vcc
	v_cndmask_b32_e32 v15, 0, v4, vcc
.LBB40_1170:
	s_branch .LBB40_1175
.LBB40_1171:
	s_mov_b64 s[0:1], -1
                                        ; implicit-def: $vgpr15_vgpr16
	s_branch .LBB40_1175
.LBB40_1172:
	s_cmp_eq_u32 s15, 29
	s_cbranch_scc0 .LBB40_1174
; %bb.1173:
	global_load_dwordx2 v[4:5], v[0:1], off
	s_mov_b64 s[0:1], 0
	s_mov_b64 s[6:7], -1
	s_mov_b64 s[2:3], 0
	s_waitcnt vmcnt(0)
	v_cvt_f64_u32_e32 v[10:11], v5
	v_cvt_f64_u32_e32 v[4:5], v4
	v_ldexp_f64 v[10:11], v[10:11], 32
	v_add_f64 v[15:16], v[10:11], v[4:5]
	s_branch .LBB40_1176
.LBB40_1174:
	s_mov_b64 s[0:1], -1
                                        ; implicit-def: $vgpr15_vgpr16
.LBB40_1175:
	s_mov_b64 s[2:3], 0
.LBB40_1176:
	s_and_b64 vcc, exec, s[2:3]
	s_cbranch_vccz .LBB40_1196
; %bb.1177:
	s_cmp_lt_i32 s15, 27
	s_cbranch_scc1 .LBB40_1180
; %bb.1178:
	s_cmp_gt_i32 s15, 27
	s_cbranch_scc0 .LBB40_1181
; %bb.1179:
	global_load_dword v4, v[0:1], off
	s_mov_b64 s[2:3], 0
	s_waitcnt vmcnt(0)
	v_cvt_f64_u32_e32 v[15:16], v4
	s_branch .LBB40_1182
.LBB40_1180:
	s_mov_b64 s[2:3], -1
                                        ; implicit-def: $vgpr15_vgpr16
	s_branch .LBB40_1185
.LBB40_1181:
	s_mov_b64 s[2:3], -1
                                        ; implicit-def: $vgpr15_vgpr16
.LBB40_1182:
	s_andn2_b64 vcc, exec, s[2:3]
	s_cbranch_vccnz .LBB40_1184
; %bb.1183:
	global_load_ushort v4, v[0:1], off
	s_waitcnt vmcnt(0)
	v_cvt_f64_u32_e32 v[15:16], v4
.LBB40_1184:
	s_mov_b64 s[2:3], 0
.LBB40_1185:
	s_andn2_b64 vcc, exec, s[2:3]
	s_cbranch_vccnz .LBB40_1195
; %bb.1186:
	global_load_ubyte v4, v[0:1], off
	s_movk_i32 s2, 0x7f
	s_waitcnt vmcnt(0)
	v_cmp_lt_i16_e32 vcc, s2, v4
	s_mov_b64 s[2:3], 0
	s_and_saveexec_b64 s[6:7], vcc
	s_xor_b64 s[6:7], exec, s[6:7]
	s_cbranch_execz .LBB40_1190
; %bb.1187:
	s_movk_i32 s2, 0x80
	v_cmp_eq_u16_e32 vcc, s2, v4
	s_mov_b64 s[2:3], -1
	s_and_saveexec_b64 s[12:13], vcc
; %bb.1188:
	s_xor_b64 s[2:3], exec, -1
; %bb.1189:
	s_or_b64 exec, exec, s[12:13]
	s_and_b64 s[2:3], s[2:3], exec
.LBB40_1190:
	s_or_saveexec_b64 s[6:7], s[6:7]
	v_bfrev_b32_e32 v15, 4
	v_mov_b32_e32 v16, 0x7ff80000
	s_xor_b64 exec, exec, s[6:7]
; %bb.1191:
	v_cmp_ne_u16_e32 vcc, 0, v4
	v_mov_b32_e32 v15, 0
	s_andn2_b64 s[2:3], s[2:3], exec
	s_and_b64 s[12:13], vcc, exec
	v_mov_b32_e32 v16, 0
	s_or_b64 s[2:3], s[2:3], s[12:13]
; %bb.1192:
	s_or_b64 exec, exec, s[6:7]
	s_and_saveexec_b64 s[6:7], s[2:3]
	s_cbranch_execz .LBB40_1194
; %bb.1193:
	v_lshlrev_b32_e32 v5, 24, v4
	v_and_b32_e32 v4, 0xffff, v4
	v_and_b32_e32 v8, 7, v4
	v_ffbh_u32_e32 v11, v8
	v_min_u32_e32 v11, 32, v11
	v_subrev_u32_e32 v13, 28, v11
	v_bfe_u32 v10, v4, 3, 4
	v_lshlrev_b32_e32 v4, v13, v4
	v_sub_u32_e32 v11, 29, v11
	v_and_b32_e32 v4, 7, v4
	v_cmp_eq_u32_e32 vcc, 0, v10
	v_cndmask_b32_e32 v10, v10, v11, vcc
	v_cndmask_b32_e32 v4, v8, v4, vcc
	v_mov_b32_e32 v8, 0x3b800000
	v_lshlrev_b32_e32 v4, 20, v4
	v_and_b32_e32 v5, 0x80000000, v5
	v_lshl_add_u32 v8, v10, 23, v8
	v_or3_b32 v4, v5, v8, v4
	v_cvt_f64_f32_e32 v[15:16], v4
.LBB40_1194:
	s_or_b64 exec, exec, s[6:7]
.LBB40_1195:
	s_mov_b64 s[6:7], -1
.LBB40_1196:
	s_branch .LBB40_1226
.LBB40_1197:
	s_cmp_gt_i32 s15, 22
	s_cbranch_scc0 .LBB40_1209
; %bb.1198:
	s_cmp_lt_i32 s15, 24
	s_cbranch_scc1 .LBB40_1210
; %bb.1199:
	s_cmp_gt_i32 s15, 24
	s_cbranch_scc0 .LBB40_1211
; %bb.1200:
	global_load_ubyte v4, v[0:1], off
	s_movk_i32 s2, 0x7f
	s_waitcnt vmcnt(0)
	v_cmp_lt_i16_e32 vcc, s2, v4
	s_mov_b64 s[2:3], 0
	s_and_saveexec_b64 s[4:5], vcc
	s_xor_b64 s[4:5], exec, s[4:5]
	s_cbranch_execz .LBB40_1204
; %bb.1201:
	s_movk_i32 s2, 0x80
	v_cmp_eq_u16_e32 vcc, s2, v4
	s_mov_b64 s[2:3], -1
	s_and_saveexec_b64 s[6:7], vcc
; %bb.1202:
	s_xor_b64 s[2:3], exec, -1
; %bb.1203:
	s_or_b64 exec, exec, s[6:7]
	s_and_b64 s[2:3], s[2:3], exec
.LBB40_1204:
	s_or_saveexec_b64 s[4:5], s[4:5]
	v_bfrev_b32_e32 v15, 4
	v_mov_b32_e32 v16, 0x7ff80000
	s_xor_b64 exec, exec, s[4:5]
; %bb.1205:
	v_cmp_ne_u16_e32 vcc, 0, v4
	v_mov_b32_e32 v15, 0
	s_andn2_b64 s[2:3], s[2:3], exec
	s_and_b64 s[6:7], vcc, exec
	v_mov_b32_e32 v16, 0
	s_or_b64 s[2:3], s[2:3], s[6:7]
; %bb.1206:
	s_or_b64 exec, exec, s[4:5]
	s_and_saveexec_b64 s[4:5], s[2:3]
	s_cbranch_execz .LBB40_1208
; %bb.1207:
	v_lshlrev_b32_e32 v5, 24, v4
	v_and_b32_e32 v4, 0xffff, v4
	v_and_b32_e32 v8, 3, v4
	v_ffbh_u32_e32 v11, v8
	v_min_u32_e32 v11, 32, v11
	v_subrev_u32_e32 v13, 29, v11
	v_bfe_u32 v10, v4, 2, 5
	v_lshlrev_b32_e32 v4, v13, v4
	v_sub_u32_e32 v11, 30, v11
	v_and_b32_e32 v4, 3, v4
	v_cmp_eq_u32_e32 vcc, 0, v10
	v_cndmask_b32_e32 v10, v10, v11, vcc
	v_cndmask_b32_e32 v4, v8, v4, vcc
	v_mov_b32_e32 v8, 0x37800000
	v_lshlrev_b32_e32 v4, 21, v4
	v_and_b32_e32 v5, 0x80000000, v5
	v_lshl_add_u32 v8, v10, 23, v8
	v_or3_b32 v4, v5, v8, v4
	v_cvt_f64_f32_e32 v[15:16], v4
.LBB40_1208:
	s_or_b64 exec, exec, s[4:5]
	s_mov_b64 s[2:3], 0
	s_branch .LBB40_1212
.LBB40_1209:
                                        ; implicit-def: $vgpr15_vgpr16
	s_mov_b64 s[4:5], 0
	s_branch .LBB40_1218
.LBB40_1210:
	s_mov_b64 s[2:3], -1
                                        ; implicit-def: $vgpr15_vgpr16
	s_branch .LBB40_1215
.LBB40_1211:
	s_mov_b64 s[2:3], -1
                                        ; implicit-def: $vgpr15_vgpr16
.LBB40_1212:
	s_and_b64 vcc, exec, s[2:3]
	s_cbranch_vccz .LBB40_1214
; %bb.1213:
	global_load_ubyte v4, v[0:1], off
	s_mov_b32 s2, 0x7f800000
	s_waitcnt vmcnt(0)
	v_lshlrev_b32_e32 v4, 24, v4
	v_and_b32_e32 v5, 0x7f000000, v4
	v_ffbh_u32_e32 v8, v5
	v_min_u32_e32 v8, 32, v8
	v_sub_u32_e64 v8, v8, 4 clamp
	v_lshlrev_b32_e32 v11, v8, v5
	v_lshlrev_b32_e32 v8, 23, v8
	v_lshrrev_b32_e32 v11, 4, v11
	v_add_u32_e32 v10, 0x1000000, v5
	v_sub_u32_e32 v8, v11, v8
	v_ashrrev_i32_e32 v10, 8, v10
	v_add_u32_e32 v8, 0x3c000000, v8
	v_and_or_b32 v8, v10, s2, v8
	v_cmp_ne_u32_e32 vcc, 0, v5
	v_cndmask_b32_e32 v5, 0, v8, vcc
	s_brev_b32 s2, 1
	v_and_or_b32 v4, v4, s2, v5
	v_cvt_f64_f32_e32 v[15:16], v4
.LBB40_1214:
	s_mov_b64 s[2:3], 0
.LBB40_1215:
	s_andn2_b64 vcc, exec, s[2:3]
	s_cbranch_vccnz .LBB40_1217
; %bb.1216:
	global_load_ubyte v4, v[0:1], off
	s_movk_i32 s2, 0x7f00
	s_brev_b32 s3, 16
	s_waitcnt vmcnt(0)
	v_lshlrev_b16_e32 v5, 8, v4
	v_lshlrev_b32_e32 v4, 25, v4
	v_lshrrev_b32_e32 v8, 4, v4
	v_and_or_b32 v10, v5, s2, 0.5
	v_or_b32_e32 v8, 0x70000000, v8
	v_add_f32_e32 v10, -0.5, v10
	v_mul_f32_e32 v8, 0x7800000, v8
	v_cmp_gt_u32_e32 vcc, s3, v4
	v_bfe_i32 v5, v5, 0, 16
	v_cndmask_b32_e32 v4, v8, v10, vcc
	s_brev_b32 s2, 1
	v_and_or_b32 v4, v5, s2, v4
	v_cvt_f64_f32_e32 v[15:16], v4
.LBB40_1217:
	s_mov_b64 s[6:7], -1
	s_mov_b64 s[4:5], 0
	s_cbranch_execnz .LBB40_1226
.LBB40_1218:
	s_cmp_gt_i32 s15, 14
	s_cbranch_scc0 .LBB40_1221
; %bb.1219:
	s_cmp_eq_u32 s15, 15
	s_cbranch_scc0 .LBB40_1222
; %bb.1220:
	global_load_ushort v4, v[0:1], off
	s_mov_b64 s[0:1], 0
	s_mov_b64 s[6:7], -1
	s_waitcnt vmcnt(0)
	v_lshlrev_b32_e32 v4, 16, v4
	v_cvt_f64_f32_e32 v[15:16], v4
	s_branch .LBB40_1223
.LBB40_1221:
	s_mov_b64 s[2:3], -1
                                        ; implicit-def: $vgpr15_vgpr16
	s_branch .LBB40_1224
.LBB40_1222:
	s_mov_b64 s[0:1], -1
                                        ; implicit-def: $vgpr15_vgpr16
.LBB40_1223:
	s_mov_b64 s[2:3], 0
.LBB40_1224:
	s_and_b64 vcc, exec, s[2:3]
	s_cbranch_vccz .LBB40_1226
; %bb.1225:
	s_cmp_lg_u32 s15, 11
	s_mov_b64 s[4:5], -1
	s_cselect_b64 s[0:1], -1, 0
.LBB40_1226:
	s_and_b64 vcc, exec, s[0:1]
	s_mov_b64 s[2:3], s[28:29]
	s_cbranch_vccnz .LBB40_1289
; %bb.1227:
	s_andn2_b64 vcc, exec, s[4:5]
	s_cbranch_vccnz .LBB40_1229
.LBB40_1228:
	global_load_ubyte v4, v[0:1], off
	v_mov_b32_e32 v5, 0x3ff00000
	v_mov_b32_e32 v15, 0
	s_mov_b64 s[6:7], -1
	s_waitcnt vmcnt(0)
	v_cmp_ne_u16_e32 vcc, 0, v4
	v_cndmask_b32_e32 v16, 0, v5, vcc
.LBB40_1229:
	s_branch .LBB40_1159
.LBB40_1230:
	s_and_b32 s4, 0xffff, s14
	s_cmp_lt_i32 s4, 5
	s_cbranch_scc1 .LBB40_1235
; %bb.1231:
	s_cmp_lt_i32 s4, 8
	s_cbranch_scc1 .LBB40_1236
; %bb.1232:
	;; [unrolled: 3-line block ×3, first 2 shown]
	s_cmp_gt_i32 s4, 9
	s_cbranch_scc0 .LBB40_1238
; %bb.1234:
	global_load_dwordx2 v[15:16], v[0:1], off
	s_mov_b64 s[0:1], 0
	s_branch .LBB40_1239
.LBB40_1235:
                                        ; implicit-def: $vgpr15_vgpr16
	s_branch .LBB40_1256
.LBB40_1236:
                                        ; implicit-def: $vgpr15_vgpr16
	s_branch .LBB40_1245
.LBB40_1237:
	s_mov_b64 s[0:1], -1
                                        ; implicit-def: $vgpr15_vgpr16
	s_branch .LBB40_1242
.LBB40_1238:
	s_mov_b64 s[0:1], -1
                                        ; implicit-def: $vgpr15_vgpr16
.LBB40_1239:
	s_andn2_b64 vcc, exec, s[0:1]
	s_cbranch_vccnz .LBB40_1241
; %bb.1240:
	global_load_dword v4, v[0:1], off
	s_waitcnt vmcnt(0)
	v_cvt_f64_f32_e32 v[15:16], v4
.LBB40_1241:
	s_mov_b64 s[0:1], 0
.LBB40_1242:
	s_andn2_b64 vcc, exec, s[0:1]
	s_cbranch_vccnz .LBB40_1244
; %bb.1243:
	global_load_dword v4, v[0:1], off
	s_waitcnt vmcnt(0)
	v_cvt_f32_f16_e32 v4, v4
	v_cvt_f64_f32_e32 v[15:16], v4
.LBB40_1244:
	s_cbranch_execnz .LBB40_1255
.LBB40_1245:
	s_cmp_lt_i32 s4, 6
	s_cbranch_scc1 .LBB40_1248
; %bb.1246:
	s_cmp_gt_i32 s4, 6
	s_cbranch_scc0 .LBB40_1249
; %bb.1247:
	global_load_dwordx2 v[15:16], v[0:1], off
	s_mov_b64 s[0:1], 0
	s_branch .LBB40_1250
.LBB40_1248:
	s_mov_b64 s[0:1], -1
                                        ; implicit-def: $vgpr15_vgpr16
	s_branch .LBB40_1253
.LBB40_1249:
	s_mov_b64 s[0:1], -1
                                        ; implicit-def: $vgpr15_vgpr16
.LBB40_1250:
	s_andn2_b64 vcc, exec, s[0:1]
	s_cbranch_vccnz .LBB40_1252
; %bb.1251:
	global_load_dword v4, v[0:1], off
	s_waitcnt vmcnt(0)
	v_cvt_f64_f32_e32 v[15:16], v4
.LBB40_1252:
	s_mov_b64 s[0:1], 0
.LBB40_1253:
	s_andn2_b64 vcc, exec, s[0:1]
	s_cbranch_vccnz .LBB40_1255
; %bb.1254:
	global_load_ushort v4, v[0:1], off
	s_waitcnt vmcnt(0)
	v_cvt_f32_f16_e32 v4, v4
	v_cvt_f64_f32_e32 v[15:16], v4
.LBB40_1255:
	s_cbranch_execnz .LBB40_1274
.LBB40_1256:
	s_cmp_lt_i32 s4, 2
	s_cbranch_scc1 .LBB40_1260
; %bb.1257:
	s_cmp_lt_i32 s4, 3
	s_cbranch_scc1 .LBB40_1261
; %bb.1258:
	s_cmp_gt_i32 s4, 3
	s_cbranch_scc0 .LBB40_1262
; %bb.1259:
	global_load_dwordx2 v[4:5], v[0:1], off
	s_mov_b64 s[0:1], 0
	s_waitcnt vmcnt(0)
	v_cvt_f64_i32_e32 v[10:11], v5
	v_cvt_f64_u32_e32 v[4:5], v4
	v_ldexp_f64 v[10:11], v[10:11], 32
	v_add_f64 v[15:16], v[10:11], v[4:5]
	s_branch .LBB40_1263
.LBB40_1260:
                                        ; implicit-def: $vgpr15_vgpr16
	s_branch .LBB40_1269
.LBB40_1261:
	s_mov_b64 s[0:1], -1
                                        ; implicit-def: $vgpr15_vgpr16
	s_branch .LBB40_1266
.LBB40_1262:
	s_mov_b64 s[0:1], -1
                                        ; implicit-def: $vgpr15_vgpr16
.LBB40_1263:
	s_andn2_b64 vcc, exec, s[0:1]
	s_cbranch_vccnz .LBB40_1265
; %bb.1264:
	global_load_dword v4, v[0:1], off
	s_waitcnt vmcnt(0)
	v_cvt_f64_i32_e32 v[15:16], v4
.LBB40_1265:
	s_mov_b64 s[0:1], 0
.LBB40_1266:
	s_andn2_b64 vcc, exec, s[0:1]
	s_cbranch_vccnz .LBB40_1268
; %bb.1267:
	global_load_sshort v4, v[0:1], off
	s_waitcnt vmcnt(0)
	v_cvt_f64_i32_e32 v[15:16], v4
.LBB40_1268:
	s_cbranch_execnz .LBB40_1274
.LBB40_1269:
	s_cmp_gt_i32 s4, 0
	s_cbranch_scc0 .LBB40_1271
; %bb.1270:
	global_load_sbyte v4, v[0:1], off
	s_mov_b64 s[0:1], 0
	s_waitcnt vmcnt(0)
	v_cvt_f64_i32_e32 v[15:16], v4
	s_branch .LBB40_1272
.LBB40_1271:
	s_mov_b64 s[0:1], -1
                                        ; implicit-def: $vgpr15_vgpr16
.LBB40_1272:
	s_andn2_b64 vcc, exec, s[0:1]
	s_cbranch_vccnz .LBB40_1274
; %bb.1273:
	global_load_ubyte v0, v[0:1], off
	s_waitcnt vmcnt(0)
	v_cvt_f64_u32_e32 v[15:16], v0
.LBB40_1274:
                                        ; implicit-def: $vgpr10_vgpr11
.LBB40_1275:
	s_waitcnt vmcnt(0)
	v_fma_f64 v[4:5], |v[15:16]|, -0.5, 0.5
	v_mul_f64 v[0:1], v[15:16], v[15:16]
	v_cmp_ge_f64_e64 vcc, |v[15:16]|, 0.5
	s_mov_b32 s0, 0x9fea6a70
	v_mov_b32_e32 v10, 0x78a05eaf
	v_mov_b32_e32 v11, 0xbf90a5a3
	s_mov_b32 s1, 0x3fa05985
	v_cndmask_b32_e32 v1, v1, v5, vcc
	v_cndmask_b32_e32 v0, v0, v4, vcc
	v_fma_f64 v[10:11], v[0:1], s[0:1], v[10:11]
	s_mov_b32 s0, 0x37024d6a
	s_mov_b32 s1, 0x3f940521
	v_fma_f64 v[10:11], v[0:1], v[10:11], s[0:1]
	s_mov_b32 s0, 0x98a70509
	s_mov_b32 s1, 0x3f7ab3a0
	;; [unrolled: 3-line block ×10, first 2 shown]
	v_fma_f64 v[10:11], v[0:1], v[10:11], s[0:1]
	v_mul_f64 v[10:11], v[0:1], v[10:11]
	v_fma_f64 v[0:1], |v[15:16]|, v[10:11], |v[15:16]|
	s_and_saveexec_b64 s[0:1], vcc
	s_cbranch_execz .LBB40_1277
; %bb.1276:
	v_rsq_f64_e32 v[0:1], v[4:5]
	v_cmp_eq_f64_e32 vcc, 0, v[4:5]
	s_mov_b32 s4, 0x54442d18
	s_mov_b32 s5, 0x3fe921fb
	v_mul_f64 v[17:18], v[4:5], v[0:1]
	v_mul_f64 v[0:1], v[0:1], 0.5
	v_fma_f64 v[19:20], -v[0:1], v[17:18], 0.5
	v_fma_f64 v[17:18], v[17:18], v[19:20], v[17:18]
	v_fma_f64 v[0:1], v[0:1], v[19:20], v[0:1]
	v_fma_f64 v[19:20], -v[17:18], v[17:18], v[4:5]
	v_fma_f64 v[0:1], v[19:20], v[0:1], v[17:18]
	v_cndmask_b32_e32 v1, v1, v5, vcc
	v_cndmask_b32_e32 v0, v0, v4, vcc
	v_add_f64 v[17:18], v[0:1], v[0:1]
	v_mul_f64 v[19:20], v[0:1], v[0:1]
	v_rcp_f64_e32 v[21:22], v[17:18]
	v_add_f64 v[23:24], v[4:5], -v[19:20]
	v_fma_f64 v[27:28], v[0:1], v[0:1], -v[19:20]
	v_add_f64 v[4:5], v[4:5], -v[23:24]
	v_fma_f64 v[25:26], -v[17:18], v[21:22], 1.0
	v_add_f64 v[4:5], v[4:5], -v[19:20]
	v_fma_f64 v[19:20], v[25:26], v[21:22], v[21:22]
	v_add_f64 v[4:5], v[4:5], -v[27:28]
	v_fma_f64 v[21:22], -v[17:18], v[19:20], 1.0
	v_add_f64 v[4:5], v[23:24], v[4:5]
	v_fma_f64 v[19:20], v[21:22], v[19:20], v[19:20]
	v_mul_f64 v[21:22], v[4:5], v[19:20]
	v_fma_f64 v[4:5], -v[17:18], v[21:22], v[4:5]
	v_fma_f64 v[4:5], v[4:5], v[19:20], v[21:22]
	v_cndmask_b32_e64 v5, v5, 0, vcc
	v_cndmask_b32_e64 v4, v4, 0, vcc
	v_add_f64 v[17:18], v[0:1], v[4:5]
	v_cmp_neq_f64_e64 vcc, |v[15:16]|, 1.0
	v_add_f64 v[0:1], v[17:18], -v[0:1]
	v_mul_f64 v[19:20], v[10:11], v[17:18]
	v_add_f64 v[0:1], v[4:5], -v[0:1]
	v_fma_f64 v[4:5], v[17:18], v[10:11], -v[19:20]
	v_fma_f64 v[4:5], v[0:1], v[10:11], v[4:5]
	v_add_f64 v[10:11], v[19:20], v[4:5]
	v_add_f64 v[21:22], v[17:18], v[10:11]
	v_add_f64 v[19:20], v[10:11], -v[19:20]
	v_add_f64 v[17:18], v[21:22], -v[17:18]
	v_add_f64 v[4:5], v[4:5], -v[19:20]
	v_add_f64 v[10:11], v[10:11], -v[17:18]
	v_add_f64 v[0:1], v[0:1], v[4:5]
	v_add_f64 v[0:1], v[0:1], v[10:11]
	v_add_f64 v[4:5], v[21:22], v[0:1]
	v_add_f64 v[10:11], -v[4:5], s[4:5]
	v_add_f64 v[19:20], v[4:5], -v[21:22]
	v_add_f64 v[17:18], -v[10:11], s[4:5]
	s_mov_b32 s4, 0x33145c07
	s_mov_b32 s5, 0x3c81a626
	v_add_f64 v[0:1], v[19:20], -v[0:1]
	v_add_f64 v[4:5], v[17:18], -v[4:5]
	v_add_f64 v[4:5], v[4:5], s[4:5]
	v_add_f64 v[0:1], v[0:1], v[4:5]
	v_mov_b32_e32 v4, 0x3ff921fb
	v_mov_b32_e32 v5, 0x54442d18
	v_add_f64 v[0:1], v[10:11], v[0:1]
	v_add_f64 v[0:1], v[0:1], v[0:1]
	v_cndmask_b32_e32 v1, v4, v1, vcc
	v_cndmask_b32_e32 v0, v5, v0, vcc
.LBB40_1277:
	s_or_b64 exec, exec, s[0:1]
	s_lshr_b32 s0, s16, 16
	v_mov_b32_e32 v5, s11
	s_and_b32 s17, s0, 0xff
	v_add_co_u32_e32 v4, vcc, s10, v9
	s_cmp_lt_i32 s17, 11
	v_addc_co_u32_e32 v5, vcc, 0, v5, vcc
	s_cbranch_scc1 .LBB40_1284
; %bb.1278:
	s_and_b32 s18, 0xffff, s17
	s_cmp_gt_i32 s18, 25
	s_mov_b64 s[4:5], 0
	s_cbranch_scc0 .LBB40_1286
; %bb.1279:
	s_cmp_gt_i32 s18, 28
	s_cbranch_scc0 .LBB40_1287
; %bb.1280:
	s_cmp_gt_i32 s18, 43
	;; [unrolled: 3-line block ×3, first 2 shown]
	s_cbranch_scc0 .LBB40_1290
; %bb.1282:
	s_cmp_eq_u32 s18, 46
	s_mov_b64 s[12:13], 0
	s_cbranch_scc0 .LBB40_1293
; %bb.1283:
	global_load_dword v8, v[4:5], off
	s_mov_b64 s[0:1], 0
	s_mov_b64 s[6:7], -1
	s_waitcnt vmcnt(0)
	v_lshlrev_b32_e32 v8, 16, v8
	v_cvt_f64_f32_e32 v[17:18], v8
	s_branch .LBB40_1294
.LBB40_1284:
	s_mov_b64 s[6:7], 0
                                        ; implicit-def: $vgpr17_vgpr18
	s_cbranch_execnz .LBB40_1359
.LBB40_1285:
	s_andn2_b64 vcc, exec, s[6:7]
	s_cbranch_vccnz .LBB40_2104
	s_branch .LBB40_1406
.LBB40_1286:
	s_mov_b64 s[6:7], 0
	s_mov_b64 s[0:1], 0
                                        ; implicit-def: $vgpr17_vgpr18
	s_cbranch_execnz .LBB40_1325
	s_branch .LBB40_1355
.LBB40_1287:
	s_mov_b64 s[12:13], -1
	s_mov_b64 s[6:7], 0
	s_mov_b64 s[0:1], 0
                                        ; implicit-def: $vgpr17_vgpr18
	s_branch .LBB40_1304
.LBB40_1288:
	s_mov_b64 s[12:13], -1
	s_mov_b64 s[6:7], 0
	s_mov_b64 s[0:1], 0
                                        ; implicit-def: $vgpr17_vgpr18
	s_branch .LBB40_1299
.LBB40_1289:
	s_or_b64 s[2:3], s[28:29], exec
	s_trap 2
	s_cbranch_execz .LBB40_1228
	s_branch .LBB40_1229
.LBB40_1290:
	s_mov_b64 s[12:13], -1
	s_mov_b64 s[6:7], 0
	s_mov_b64 s[0:1], 0
                                        ; implicit-def: $vgpr17_vgpr18
	s_branch .LBB40_1294
.LBB40_1291:
	s_andn2_saveexec_b64 s[16:17], s[16:17]
	s_cbranch_execz .LBB40_1019
.LBB40_1292:
	s_mov_b32 s20, 0x42800000
	v_add_f32_e64 v3, |v2|, s20
	v_and_b32_e32 v3, 0xff, v3
	v_cmp_ne_u32_e32 vcc, 0, v3
	s_andn2_b64 s[14:15], s[14:15], exec
	s_and_b64 s[20:21], vcc, exec
	s_or_b64 s[14:15], s[14:15], s[20:21]
	s_or_b64 exec, exec, s[16:17]
	v_mov_b32_e32 v6, 0
	s_and_saveexec_b64 s[16:17], s[14:15]
	s_cbranch_execnz .LBB40_1020
	s_branch .LBB40_1021
.LBB40_1293:
	s_mov_b64 s[0:1], -1
                                        ; implicit-def: $vgpr17_vgpr18
	s_mov_b64 s[6:7], 0
.LBB40_1294:
	s_and_b64 vcc, exec, s[12:13]
	s_cbranch_vccz .LBB40_1298
; %bb.1295:
	s_cmp_eq_u32 s18, 44
	s_cbranch_scc0 .LBB40_1297
; %bb.1296:
	global_load_ubyte v10, v[4:5], off
	s_movk_i32 s6, 0xff
	v_bfrev_b32_e32 v11, 4
	v_mov_b32_e32 v13, 0x7ff80000
	v_bfrev_b32_e32 v15, 28
	s_mov_b64 s[0:1], 0
	s_waitcnt vmcnt(0)
	v_lshlrev_b32_e32 v8, 23, v10
	v_cvt_f64_f32_e32 v[8:9], v8
	v_cmp_ne_u32_e32 vcc, s6, v10
	s_mov_b64 s[6:7], -1
	v_cndmask_b32_e32 v8, v11, v8, vcc
	v_cndmask_b32_e32 v9, v13, v9, vcc
	v_cmp_ne_u32_e32 vcc, 0, v10
	v_cndmask_b32_e32 v18, v15, v9, vcc
	v_cndmask_b32_e32 v17, 0, v8, vcc
	s_branch .LBB40_1298
.LBB40_1297:
	s_mov_b64 s[0:1], -1
                                        ; implicit-def: $vgpr17_vgpr18
.LBB40_1298:
	s_mov_b64 s[12:13], 0
.LBB40_1299:
	s_and_b64 vcc, exec, s[12:13]
	s_cbranch_vccz .LBB40_1303
; %bb.1300:
	s_cmp_eq_u32 s18, 29
	s_cbranch_scc0 .LBB40_1302
; %bb.1301:
	global_load_dwordx2 v[8:9], v[4:5], off
	s_mov_b64 s[0:1], 0
	s_mov_b64 s[6:7], -1
	s_mov_b64 s[12:13], 0
	s_waitcnt vmcnt(0)
	v_cvt_f64_u32_e32 v[9:10], v9
	v_cvt_f64_u32_e32 v[17:18], v8
	v_ldexp_f64 v[9:10], v[9:10], 32
	v_add_f64 v[17:18], v[9:10], v[17:18]
	s_branch .LBB40_1304
.LBB40_1302:
	s_mov_b64 s[0:1], -1
                                        ; implicit-def: $vgpr17_vgpr18
.LBB40_1303:
	s_mov_b64 s[12:13], 0
.LBB40_1304:
	s_and_b64 vcc, exec, s[12:13]
	s_cbranch_vccz .LBB40_1324
; %bb.1305:
	s_cmp_lt_i32 s18, 27
	s_cbranch_scc1 .LBB40_1308
; %bb.1306:
	s_cmp_gt_i32 s18, 27
	s_cbranch_scc0 .LBB40_1309
; %bb.1307:
	global_load_dword v8, v[4:5], off
	s_mov_b64 s[6:7], 0
	s_waitcnt vmcnt(0)
	v_cvt_f64_u32_e32 v[17:18], v8
	s_branch .LBB40_1310
.LBB40_1308:
	s_mov_b64 s[6:7], -1
                                        ; implicit-def: $vgpr17_vgpr18
	s_branch .LBB40_1313
.LBB40_1309:
	s_mov_b64 s[6:7], -1
                                        ; implicit-def: $vgpr17_vgpr18
.LBB40_1310:
	s_andn2_b64 vcc, exec, s[6:7]
	s_cbranch_vccnz .LBB40_1312
; %bb.1311:
	global_load_ushort v8, v[4:5], off
	s_waitcnt vmcnt(0)
	v_cvt_f64_u32_e32 v[17:18], v8
.LBB40_1312:
	s_mov_b64 s[6:7], 0
.LBB40_1313:
	s_andn2_b64 vcc, exec, s[6:7]
	s_cbranch_vccnz .LBB40_1323
; %bb.1314:
	global_load_ubyte v8, v[4:5], off
	s_movk_i32 s6, 0x7f
	s_waitcnt vmcnt(0)
	v_cmp_lt_i16_e32 vcc, s6, v8
	s_mov_b64 s[6:7], 0
	s_and_saveexec_b64 s[12:13], vcc
	s_xor_b64 s[12:13], exec, s[12:13]
	s_cbranch_execz .LBB40_1318
; %bb.1315:
	s_movk_i32 s6, 0x80
	v_cmp_eq_u16_e32 vcc, s6, v8
	s_mov_b64 s[6:7], -1
	s_and_saveexec_b64 s[14:15], vcc
; %bb.1316:
	s_xor_b64 s[6:7], exec, -1
; %bb.1317:
	s_or_b64 exec, exec, s[14:15]
	s_and_b64 s[6:7], s[6:7], exec
.LBB40_1318:
	s_or_saveexec_b64 s[12:13], s[12:13]
	v_bfrev_b32_e32 v17, 4
	v_mov_b32_e32 v18, 0x7ff80000
	s_xor_b64 exec, exec, s[12:13]
; %bb.1319:
	v_cmp_ne_u16_e32 vcc, 0, v8
	v_mov_b32_e32 v17, 0
	s_andn2_b64 s[6:7], s[6:7], exec
	s_and_b64 s[14:15], vcc, exec
	v_mov_b32_e32 v18, 0
	s_or_b64 s[6:7], s[6:7], s[14:15]
; %bb.1320:
	s_or_b64 exec, exec, s[12:13]
	s_and_saveexec_b64 s[12:13], s[6:7]
	s_cbranch_execz .LBB40_1322
; %bb.1321:
	v_lshlrev_b32_e32 v9, 24, v8
	v_and_b32_e32 v8, 0xffff, v8
	v_and_b32_e32 v10, 7, v8
	v_ffbh_u32_e32 v13, v10
	v_min_u32_e32 v13, 32, v13
	v_subrev_u32_e32 v15, 28, v13
	v_bfe_u32 v11, v8, 3, 4
	v_lshlrev_b32_e32 v8, v15, v8
	v_sub_u32_e32 v13, 29, v13
	v_and_b32_e32 v8, 7, v8
	v_cmp_eq_u32_e32 vcc, 0, v11
	v_cndmask_b32_e32 v11, v11, v13, vcc
	v_cndmask_b32_e32 v8, v10, v8, vcc
	v_mov_b32_e32 v10, 0x3b800000
	v_lshlrev_b32_e32 v8, 20, v8
	v_and_b32_e32 v9, 0x80000000, v9
	v_lshl_add_u32 v10, v11, 23, v10
	v_or3_b32 v8, v9, v10, v8
	v_cvt_f64_f32_e32 v[17:18], v8
.LBB40_1322:
	s_or_b64 exec, exec, s[12:13]
.LBB40_1323:
	s_mov_b64 s[6:7], -1
.LBB40_1324:
	s_branch .LBB40_1355
.LBB40_1325:
	s_cmp_gt_i32 s18, 22
	s_cbranch_scc0 .LBB40_1337
; %bb.1326:
	s_cmp_lt_i32 s18, 24
	s_cbranch_scc1 .LBB40_1338
; %bb.1327:
	s_cmp_gt_i32 s18, 24
	s_cbranch_scc0 .LBB40_1339
; %bb.1328:
	global_load_ubyte v8, v[4:5], off
	s_movk_i32 s4, 0x7f
	s_waitcnt vmcnt(0)
	v_cmp_lt_i16_e32 vcc, s4, v8
	s_mov_b64 s[4:5], 0
	s_and_saveexec_b64 s[6:7], vcc
	s_xor_b64 s[6:7], exec, s[6:7]
	s_cbranch_execz .LBB40_1332
; %bb.1329:
	s_movk_i32 s4, 0x80
	v_cmp_eq_u16_e32 vcc, s4, v8
	s_mov_b64 s[4:5], -1
	s_and_saveexec_b64 s[12:13], vcc
; %bb.1330:
	s_xor_b64 s[4:5], exec, -1
; %bb.1331:
	s_or_b64 exec, exec, s[12:13]
	s_and_b64 s[4:5], s[4:5], exec
.LBB40_1332:
	s_or_saveexec_b64 s[6:7], s[6:7]
	v_bfrev_b32_e32 v17, 4
	v_mov_b32_e32 v18, 0x7ff80000
	s_xor_b64 exec, exec, s[6:7]
; %bb.1333:
	v_cmp_ne_u16_e32 vcc, 0, v8
	v_mov_b32_e32 v17, 0
	s_andn2_b64 s[4:5], s[4:5], exec
	s_and_b64 s[12:13], vcc, exec
	v_mov_b32_e32 v18, 0
	s_or_b64 s[4:5], s[4:5], s[12:13]
; %bb.1334:
	s_or_b64 exec, exec, s[6:7]
	s_and_saveexec_b64 s[6:7], s[4:5]
	s_cbranch_execz .LBB40_1336
; %bb.1335:
	v_lshlrev_b32_e32 v9, 24, v8
	v_and_b32_e32 v8, 0xffff, v8
	v_and_b32_e32 v10, 3, v8
	v_ffbh_u32_e32 v13, v10
	v_min_u32_e32 v13, 32, v13
	v_subrev_u32_e32 v15, 29, v13
	v_bfe_u32 v11, v8, 2, 5
	v_lshlrev_b32_e32 v8, v15, v8
	v_sub_u32_e32 v13, 30, v13
	v_and_b32_e32 v8, 3, v8
	v_cmp_eq_u32_e32 vcc, 0, v11
	v_cndmask_b32_e32 v11, v11, v13, vcc
	v_cndmask_b32_e32 v8, v10, v8, vcc
	v_mov_b32_e32 v10, 0x37800000
	v_lshlrev_b32_e32 v8, 21, v8
	v_and_b32_e32 v9, 0x80000000, v9
	v_lshl_add_u32 v10, v11, 23, v10
	v_or3_b32 v8, v9, v10, v8
	v_cvt_f64_f32_e32 v[17:18], v8
.LBB40_1336:
	s_or_b64 exec, exec, s[6:7]
	s_mov_b64 s[4:5], 0
	s_branch .LBB40_1340
.LBB40_1337:
	s_mov_b64 s[4:5], -1
                                        ; implicit-def: $vgpr17_vgpr18
	s_branch .LBB40_1346
.LBB40_1338:
	s_mov_b64 s[4:5], -1
                                        ; implicit-def: $vgpr17_vgpr18
	s_branch .LBB40_1343
.LBB40_1339:
	s_mov_b64 s[4:5], -1
                                        ; implicit-def: $vgpr17_vgpr18
.LBB40_1340:
	s_and_b64 vcc, exec, s[4:5]
	s_cbranch_vccz .LBB40_1342
; %bb.1341:
	global_load_ubyte v8, v[4:5], off
	s_mov_b32 s4, 0x7f800000
	s_waitcnt vmcnt(0)
	v_lshlrev_b32_e32 v8, 24, v8
	v_and_b32_e32 v9, 0x7f000000, v8
	v_ffbh_u32_e32 v10, v9
	v_min_u32_e32 v10, 32, v10
	v_sub_u32_e64 v10, v10, 4 clamp
	v_lshlrev_b32_e32 v13, v10, v9
	v_lshlrev_b32_e32 v10, 23, v10
	v_lshrrev_b32_e32 v13, 4, v13
	v_add_u32_e32 v11, 0x1000000, v9
	v_sub_u32_e32 v10, v13, v10
	v_ashrrev_i32_e32 v11, 8, v11
	v_add_u32_e32 v10, 0x3c000000, v10
	v_and_or_b32 v10, v11, s4, v10
	v_cmp_ne_u32_e32 vcc, 0, v9
	v_cndmask_b32_e32 v9, 0, v10, vcc
	s_brev_b32 s4, 1
	v_and_or_b32 v8, v8, s4, v9
	v_cvt_f64_f32_e32 v[17:18], v8
.LBB40_1342:
	s_mov_b64 s[4:5], 0
.LBB40_1343:
	s_andn2_b64 vcc, exec, s[4:5]
	s_cbranch_vccnz .LBB40_1345
; %bb.1344:
	global_load_ubyte v8, v[4:5], off
	s_movk_i32 s4, 0x7f00
	s_brev_b32 s5, 16
	s_waitcnt vmcnt(0)
	v_lshlrev_b16_e32 v9, 8, v8
	v_lshlrev_b32_e32 v8, 25, v8
	v_lshrrev_b32_e32 v10, 4, v8
	v_and_or_b32 v11, v9, s4, 0.5
	v_or_b32_e32 v10, 0x70000000, v10
	v_add_f32_e32 v11, -0.5, v11
	v_mul_f32_e32 v10, 0x7800000, v10
	v_cmp_gt_u32_e32 vcc, s5, v8
	v_bfe_i32 v9, v9, 0, 16
	v_cndmask_b32_e32 v8, v10, v11, vcc
	s_brev_b32 s4, 1
	v_and_or_b32 v8, v9, s4, v8
	v_cvt_f64_f32_e32 v[17:18], v8
.LBB40_1345:
	s_mov_b64 s[4:5], 0
	s_mov_b64 s[6:7], -1
.LBB40_1346:
	s_andn2_b64 vcc, exec, s[4:5]
	s_mov_b64 s[4:5], 0
	s_cbranch_vccnz .LBB40_1355
; %bb.1347:
	s_cmp_gt_i32 s18, 14
	s_cbranch_scc0 .LBB40_1350
; %bb.1348:
	s_cmp_eq_u32 s18, 15
	s_cbranch_scc0 .LBB40_1351
; %bb.1349:
	global_load_ushort v8, v[4:5], off
	s_mov_b64 s[0:1], 0
	s_mov_b64 s[6:7], -1
	s_waitcnt vmcnt(0)
	v_lshlrev_b32_e32 v8, 16, v8
	v_cvt_f64_f32_e32 v[17:18], v8
	s_branch .LBB40_1352
.LBB40_1350:
	s_mov_b64 s[12:13], -1
                                        ; implicit-def: $vgpr17_vgpr18
	s_branch .LBB40_1353
.LBB40_1351:
	s_mov_b64 s[0:1], -1
                                        ; implicit-def: $vgpr17_vgpr18
.LBB40_1352:
	s_mov_b64 s[12:13], 0
.LBB40_1353:
	s_and_b64 vcc, exec, s[12:13]
	s_cbranch_vccz .LBB40_1355
; %bb.1354:
	s_cmp_lg_u32 s18, 11
	s_mov_b64 s[4:5], -1
	s_cselect_b64 s[0:1], -1, 0
.LBB40_1355:
	s_and_b64 vcc, exec, s[0:1]
	s_cbranch_vccnz .LBB40_1420
; %bb.1356:
	s_andn2_b64 vcc, exec, s[4:5]
	s_cbranch_vccnz .LBB40_1358
.LBB40_1357:
	global_load_ubyte v8, v[4:5], off
	v_mov_b32_e32 v9, 0x3ff00000
	v_mov_b32_e32 v17, 0
	s_mov_b64 s[6:7], -1
	s_waitcnt vmcnt(0)
	v_cmp_ne_u16_e32 vcc, 0, v8
	v_cndmask_b32_e32 v18, 0, v9, vcc
.LBB40_1358:
	s_branch .LBB40_1285
.LBB40_1359:
	s_and_b32 s4, 0xffff, s17
	s_cmp_lt_i32 s4, 5
	s_cbranch_scc1 .LBB40_1364
; %bb.1360:
	s_cmp_lt_i32 s4, 8
	s_cbranch_scc1 .LBB40_1365
; %bb.1361:
	;; [unrolled: 3-line block ×3, first 2 shown]
	s_cmp_gt_i32 s4, 9
	s_cbranch_scc0 .LBB40_1367
; %bb.1363:
	global_load_dwordx2 v[17:18], v[4:5], off
	s_mov_b64 s[0:1], 0
	s_branch .LBB40_1368
.LBB40_1364:
                                        ; implicit-def: $vgpr17_vgpr18
	s_branch .LBB40_1386
.LBB40_1365:
	s_mov_b64 s[0:1], -1
                                        ; implicit-def: $vgpr17_vgpr18
	s_branch .LBB40_1374
.LBB40_1366:
	s_mov_b64 s[0:1], -1
                                        ; implicit-def: $vgpr17_vgpr18
	s_branch .LBB40_1371
.LBB40_1367:
	s_mov_b64 s[0:1], -1
                                        ; implicit-def: $vgpr17_vgpr18
.LBB40_1368:
	s_andn2_b64 vcc, exec, s[0:1]
	s_cbranch_vccnz .LBB40_1370
; %bb.1369:
	global_load_dword v8, v[4:5], off
	s_waitcnt vmcnt(0)
	v_cvt_f64_f32_e32 v[17:18], v8
.LBB40_1370:
	s_mov_b64 s[0:1], 0
.LBB40_1371:
	s_andn2_b64 vcc, exec, s[0:1]
	s_cbranch_vccnz .LBB40_1373
; %bb.1372:
	global_load_dword v8, v[4:5], off
	s_waitcnt vmcnt(0)
	v_cvt_f32_f16_e32 v8, v8
	v_cvt_f64_f32_e32 v[17:18], v8
.LBB40_1373:
	s_mov_b64 s[0:1], 0
.LBB40_1374:
	s_andn2_b64 vcc, exec, s[0:1]
	s_cbranch_vccnz .LBB40_1385
; %bb.1375:
	s_cmp_lt_i32 s4, 6
	s_cbranch_scc1 .LBB40_1378
; %bb.1376:
	s_cmp_gt_i32 s4, 6
	s_cbranch_scc0 .LBB40_1379
; %bb.1377:
	global_load_dwordx2 v[17:18], v[4:5], off
	s_mov_b64 s[0:1], 0
	s_branch .LBB40_1380
.LBB40_1378:
	s_mov_b64 s[0:1], -1
                                        ; implicit-def: $vgpr17_vgpr18
	s_branch .LBB40_1383
.LBB40_1379:
	s_mov_b64 s[0:1], -1
                                        ; implicit-def: $vgpr17_vgpr18
.LBB40_1380:
	s_andn2_b64 vcc, exec, s[0:1]
	s_cbranch_vccnz .LBB40_1382
; %bb.1381:
	global_load_dword v8, v[4:5], off
	s_waitcnt vmcnt(0)
	v_cvt_f64_f32_e32 v[17:18], v8
.LBB40_1382:
	s_mov_b64 s[0:1], 0
.LBB40_1383:
	s_andn2_b64 vcc, exec, s[0:1]
	s_cbranch_vccnz .LBB40_1385
; %bb.1384:
	global_load_ushort v8, v[4:5], off
	s_waitcnt vmcnt(0)
	v_cvt_f32_f16_e32 v8, v8
	v_cvt_f64_f32_e32 v[17:18], v8
.LBB40_1385:
	s_cbranch_execnz .LBB40_1405
.LBB40_1386:
	s_cmp_lt_i32 s4, 2
	s_cbranch_scc1 .LBB40_1390
; %bb.1387:
	s_cmp_lt_i32 s4, 3
	s_cbranch_scc1 .LBB40_1391
; %bb.1388:
	s_cmp_gt_i32 s4, 3
	s_cbranch_scc0 .LBB40_1392
; %bb.1389:
	global_load_dwordx2 v[8:9], v[4:5], off
	s_mov_b64 s[0:1], 0
	s_waitcnt vmcnt(0)
	v_cvt_f64_i32_e32 v[9:10], v9
	v_cvt_f64_u32_e32 v[17:18], v8
	v_ldexp_f64 v[9:10], v[9:10], 32
	v_add_f64 v[17:18], v[9:10], v[17:18]
	s_branch .LBB40_1393
.LBB40_1390:
	s_mov_b64 s[0:1], -1
                                        ; implicit-def: $vgpr17_vgpr18
	s_branch .LBB40_1399
.LBB40_1391:
	s_mov_b64 s[0:1], -1
                                        ; implicit-def: $vgpr17_vgpr18
	s_branch .LBB40_1396
.LBB40_1392:
	s_mov_b64 s[0:1], -1
                                        ; implicit-def: $vgpr17_vgpr18
.LBB40_1393:
	s_andn2_b64 vcc, exec, s[0:1]
	s_cbranch_vccnz .LBB40_1395
; %bb.1394:
	global_load_dword v8, v[4:5], off
	s_waitcnt vmcnt(0)
	v_cvt_f64_i32_e32 v[17:18], v8
.LBB40_1395:
	s_mov_b64 s[0:1], 0
.LBB40_1396:
	s_andn2_b64 vcc, exec, s[0:1]
	s_cbranch_vccnz .LBB40_1398
; %bb.1397:
	global_load_sshort v8, v[4:5], off
	s_waitcnt vmcnt(0)
	v_cvt_f64_i32_e32 v[17:18], v8
.LBB40_1398:
	s_mov_b64 s[0:1], 0
.LBB40_1399:
	s_andn2_b64 vcc, exec, s[0:1]
	s_cbranch_vccnz .LBB40_1405
; %bb.1400:
	s_cmp_gt_i32 s4, 0
	s_cbranch_scc0 .LBB40_1402
; %bb.1401:
	global_load_sbyte v8, v[4:5], off
	s_mov_b64 s[0:1], 0
	s_waitcnt vmcnt(0)
	v_cvt_f64_i32_e32 v[17:18], v8
	s_branch .LBB40_1403
.LBB40_1402:
	s_mov_b64 s[0:1], -1
                                        ; implicit-def: $vgpr17_vgpr18
.LBB40_1403:
	s_andn2_b64 vcc, exec, s[0:1]
	s_cbranch_vccnz .LBB40_1405
; %bb.1404:
	global_load_ubyte v4, v[4:5], off
	s_waitcnt vmcnt(0)
	v_cvt_f64_u32_e32 v[17:18], v4
.LBB40_1405:
.LBB40_1406:
	s_waitcnt vmcnt(0)
	v_fma_f64 v[8:9], |v[17:18]|, -0.5, 0.5
	v_mul_f64 v[4:5], v[17:18], v[17:18]
	v_cmp_ge_f64_e64 vcc, |v[17:18]|, 0.5
	s_mov_b32 s0, 0x9fea6a70
	v_mov_b32_e32 v10, 0x78a05eaf
	v_mov_b32_e32 v11, 0xbf90a5a3
	s_mov_b32 s1, 0x3fa05985
	v_cndmask_b32_e32 v5, v5, v9, vcc
	v_cndmask_b32_e32 v4, v4, v8, vcc
	v_fma_f64 v[10:11], v[4:5], s[0:1], v[10:11]
	s_mov_b32 s0, 0x37024d6a
	s_mov_b32 s1, 0x3f940521
	v_fma_f64 v[10:11], v[4:5], v[10:11], s[0:1]
	s_mov_b32 s0, 0x98a70509
	s_mov_b32 s1, 0x3f7ab3a0
	;; [unrolled: 3-line block ×10, first 2 shown]
	v_fma_f64 v[10:11], v[4:5], v[10:11], s[0:1]
	v_mul_f64 v[10:11], v[4:5], v[10:11]
	v_fma_f64 v[4:5], |v[17:18]|, v[10:11], |v[17:18]|
	s_and_saveexec_b64 s[0:1], vcc
	s_cbranch_execz .LBB40_1408
; %bb.1407:
	v_rsq_f64_e32 v[4:5], v[8:9]
	v_cmp_eq_f64_e32 vcc, 0, v[8:9]
	s_mov_b32 s4, 0x54442d18
	s_mov_b32 s5, 0x3fe921fb
	v_mul_f64 v[19:20], v[8:9], v[4:5]
	v_mul_f64 v[4:5], v[4:5], 0.5
	v_fma_f64 v[21:22], -v[4:5], v[19:20], 0.5
	v_fma_f64 v[19:20], v[19:20], v[21:22], v[19:20]
	v_fma_f64 v[4:5], v[4:5], v[21:22], v[4:5]
	v_fma_f64 v[21:22], -v[19:20], v[19:20], v[8:9]
	v_fma_f64 v[4:5], v[21:22], v[4:5], v[19:20]
	v_cndmask_b32_e32 v5, v5, v9, vcc
	v_cndmask_b32_e32 v4, v4, v8, vcc
	v_add_f64 v[19:20], v[4:5], v[4:5]
	v_mul_f64 v[21:22], v[4:5], v[4:5]
	v_rcp_f64_e32 v[23:24], v[19:20]
	v_add_f64 v[25:26], v[8:9], -v[21:22]
	v_fma_f64 v[29:30], v[4:5], v[4:5], -v[21:22]
	v_add_f64 v[8:9], v[8:9], -v[25:26]
	v_fma_f64 v[27:28], -v[19:20], v[23:24], 1.0
	v_add_f64 v[8:9], v[8:9], -v[21:22]
	v_fma_f64 v[21:22], v[27:28], v[23:24], v[23:24]
	v_add_f64 v[8:9], v[8:9], -v[29:30]
	v_fma_f64 v[23:24], -v[19:20], v[21:22], 1.0
	v_add_f64 v[8:9], v[25:26], v[8:9]
	v_fma_f64 v[21:22], v[23:24], v[21:22], v[21:22]
	v_mul_f64 v[23:24], v[8:9], v[21:22]
	v_fma_f64 v[8:9], -v[19:20], v[23:24], v[8:9]
	v_fma_f64 v[8:9], v[8:9], v[21:22], v[23:24]
	v_cndmask_b32_e64 v9, v9, 0, vcc
	v_cndmask_b32_e64 v8, v8, 0, vcc
	v_add_f64 v[19:20], v[4:5], v[8:9]
	v_cmp_neq_f64_e64 vcc, |v[17:18]|, 1.0
	v_add_f64 v[4:5], v[19:20], -v[4:5]
	v_mul_f64 v[21:22], v[10:11], v[19:20]
	v_add_f64 v[4:5], v[8:9], -v[4:5]
	v_fma_f64 v[8:9], v[19:20], v[10:11], -v[21:22]
	v_fma_f64 v[8:9], v[4:5], v[10:11], v[8:9]
	v_add_f64 v[10:11], v[21:22], v[8:9]
	v_add_f64 v[23:24], v[19:20], v[10:11]
	v_add_f64 v[21:22], v[10:11], -v[21:22]
	v_add_f64 v[19:20], v[23:24], -v[19:20]
	;; [unrolled: 1-line block ×4, first 2 shown]
	v_add_f64 v[4:5], v[4:5], v[8:9]
	v_add_f64 v[4:5], v[4:5], v[10:11]
	;; [unrolled: 1-line block ×3, first 2 shown]
	v_add_f64 v[10:11], -v[8:9], s[4:5]
	v_add_f64 v[21:22], v[8:9], -v[23:24]
	v_add_f64 v[19:20], -v[10:11], s[4:5]
	s_mov_b32 s4, 0x33145c07
	s_mov_b32 s5, 0x3c81a626
	v_add_f64 v[4:5], v[21:22], -v[4:5]
	v_add_f64 v[8:9], v[19:20], -v[8:9]
	v_add_f64 v[8:9], v[8:9], s[4:5]
	v_add_f64 v[4:5], v[4:5], v[8:9]
	v_mov_b32_e32 v8, 0x3ff921fb
	v_mov_b32_e32 v9, 0x54442d18
	v_add_f64 v[4:5], v[10:11], v[4:5]
	v_add_f64 v[4:5], v[4:5], v[4:5]
	v_cndmask_b32_e32 v5, v8, v5, vcc
	v_cndmask_b32_e32 v4, v9, v4, vcc
.LBB40_1408:
	s_or_b64 exec, exec, s[0:1]
	v_mov_b32_e32 v8, s11
	v_add_co_u32_e32 v7, vcc, s10, v7
	s_cmp_lt_i32 s17, 11
	v_addc_co_u32_e32 v8, vcc, 0, v8, vcc
	s_cbranch_scc1 .LBB40_1415
; %bb.1409:
	s_and_b32 s18, 0xffff, s17
	s_cmp_gt_i32 s18, 25
	s_mov_b64 s[4:5], 0
	s_cbranch_scc0 .LBB40_1417
; %bb.1410:
	s_cmp_gt_i32 s18, 28
	s_cbranch_scc0 .LBB40_1418
; %bb.1411:
	s_cmp_gt_i32 s18, 43
	;; [unrolled: 3-line block ×3, first 2 shown]
	s_cbranch_scc0 .LBB40_1421
; %bb.1413:
	s_cmp_eq_u32 s18, 46
	s_mov_b64 s[12:13], 0
	s_cbranch_scc0 .LBB40_1422
; %bb.1414:
	global_load_dword v9, v[7:8], off
	s_mov_b64 s[0:1], 0
	s_mov_b64 s[6:7], -1
	s_waitcnt vmcnt(0)
	v_lshlrev_b32_e32 v9, 16, v9
	v_cvt_f64_f32_e32 v[19:20], v9
	s_branch .LBB40_1423
.LBB40_1415:
	s_mov_b64 s[6:7], 0
                                        ; implicit-def: $vgpr19_vgpr20
	s_cbranch_execnz .LBB40_1489
.LBB40_1416:
	s_andn2_b64 vcc, exec, s[6:7]
	s_cbranch_vccnz .LBB40_2104
	s_branch .LBB40_1537
.LBB40_1417:
	s_mov_b64 s[12:13], -1
	s_mov_b64 s[6:7], 0
	s_mov_b64 s[0:1], 0
                                        ; implicit-def: $vgpr19_vgpr20
	s_branch .LBB40_1454
.LBB40_1418:
	s_mov_b64 s[12:13], -1
	s_mov_b64 s[6:7], 0
	s_mov_b64 s[0:1], 0
                                        ; implicit-def: $vgpr19_vgpr20
	s_branch .LBB40_1433
.LBB40_1419:
	s_mov_b64 s[12:13], -1
	s_mov_b64 s[6:7], 0
	s_mov_b64 s[0:1], 0
                                        ; implicit-def: $vgpr19_vgpr20
	s_branch .LBB40_1428
.LBB40_1420:
	s_trap 2
	s_or_b64 s[2:3], s[2:3], exec
	s_cbranch_execz .LBB40_1357
	s_branch .LBB40_1358
.LBB40_1421:
	s_mov_b64 s[12:13], -1
	s_mov_b64 s[6:7], 0
	s_mov_b64 s[0:1], 0
                                        ; implicit-def: $vgpr19_vgpr20
	s_branch .LBB40_1423
.LBB40_1422:
	s_mov_b64 s[0:1], -1
                                        ; implicit-def: $vgpr19_vgpr20
	s_mov_b64 s[6:7], 0
.LBB40_1423:
	s_and_b64 vcc, exec, s[12:13]
	s_cbranch_vccz .LBB40_1427
; %bb.1424:
	s_cmp_eq_u32 s18, 44
	s_cbranch_scc0 .LBB40_1426
; %bb.1425:
	global_load_ubyte v11, v[7:8], off
	s_movk_i32 s6, 0xff
	v_bfrev_b32_e32 v13, 4
	v_mov_b32_e32 v15, 0x7ff80000
	v_bfrev_b32_e32 v17, 28
	s_mov_b64 s[0:1], 0
	s_waitcnt vmcnt(0)
	v_lshlrev_b32_e32 v9, 23, v11
	v_cvt_f64_f32_e32 v[9:10], v9
	v_cmp_ne_u32_e32 vcc, s6, v11
	s_mov_b64 s[6:7], -1
	v_cndmask_b32_e32 v9, v13, v9, vcc
	v_cndmask_b32_e32 v10, v15, v10, vcc
	v_cmp_ne_u32_e32 vcc, 0, v11
	v_cndmask_b32_e32 v20, v17, v10, vcc
	v_cndmask_b32_e32 v19, 0, v9, vcc
	s_branch .LBB40_1427
.LBB40_1426:
	s_mov_b64 s[0:1], -1
                                        ; implicit-def: $vgpr19_vgpr20
.LBB40_1427:
	s_mov_b64 s[12:13], 0
.LBB40_1428:
	s_and_b64 vcc, exec, s[12:13]
	s_cbranch_vccz .LBB40_1432
; %bb.1429:
	s_cmp_eq_u32 s18, 29
	s_cbranch_scc0 .LBB40_1431
; %bb.1430:
	global_load_dwordx2 v[9:10], v[7:8], off
	s_mov_b64 s[0:1], 0
	s_mov_b64 s[6:7], -1
	s_mov_b64 s[12:13], 0
	s_waitcnt vmcnt(0)
	v_cvt_f64_u32_e32 v[10:11], v10
	v_cvt_f64_u32_e32 v[19:20], v9
	v_ldexp_f64 v[10:11], v[10:11], 32
	v_add_f64 v[19:20], v[10:11], v[19:20]
	s_branch .LBB40_1433
.LBB40_1431:
	s_mov_b64 s[0:1], -1
                                        ; implicit-def: $vgpr19_vgpr20
.LBB40_1432:
	s_mov_b64 s[12:13], 0
.LBB40_1433:
	s_and_b64 vcc, exec, s[12:13]
	s_cbranch_vccz .LBB40_1453
; %bb.1434:
	s_cmp_lt_i32 s18, 27
	s_cbranch_scc1 .LBB40_1437
; %bb.1435:
	s_cmp_gt_i32 s18, 27
	s_cbranch_scc0 .LBB40_1438
; %bb.1436:
	global_load_dword v9, v[7:8], off
	s_mov_b64 s[6:7], 0
	s_waitcnt vmcnt(0)
	v_cvt_f64_u32_e32 v[19:20], v9
	s_branch .LBB40_1439
.LBB40_1437:
	s_mov_b64 s[6:7], -1
                                        ; implicit-def: $vgpr19_vgpr20
	s_branch .LBB40_1442
.LBB40_1438:
	s_mov_b64 s[6:7], -1
                                        ; implicit-def: $vgpr19_vgpr20
.LBB40_1439:
	s_andn2_b64 vcc, exec, s[6:7]
	s_cbranch_vccnz .LBB40_1441
; %bb.1440:
	global_load_ushort v9, v[7:8], off
	s_waitcnt vmcnt(0)
	v_cvt_f64_u32_e32 v[19:20], v9
.LBB40_1441:
	s_mov_b64 s[6:7], 0
.LBB40_1442:
	s_andn2_b64 vcc, exec, s[6:7]
	s_cbranch_vccnz .LBB40_1452
; %bb.1443:
	global_load_ubyte v9, v[7:8], off
	s_movk_i32 s6, 0x7f
	s_waitcnt vmcnt(0)
	v_cmp_lt_i16_e32 vcc, s6, v9
	s_mov_b64 s[6:7], 0
	s_and_saveexec_b64 s[12:13], vcc
	s_xor_b64 s[12:13], exec, s[12:13]
	s_cbranch_execz .LBB40_1447
; %bb.1444:
	s_movk_i32 s6, 0x80
	v_cmp_eq_u16_e32 vcc, s6, v9
	s_mov_b64 s[6:7], -1
	s_and_saveexec_b64 s[14:15], vcc
; %bb.1445:
	s_xor_b64 s[6:7], exec, -1
; %bb.1446:
	s_or_b64 exec, exec, s[14:15]
	s_and_b64 s[6:7], s[6:7], exec
.LBB40_1447:
	s_or_saveexec_b64 s[12:13], s[12:13]
	v_bfrev_b32_e32 v19, 4
	v_mov_b32_e32 v20, 0x7ff80000
	s_xor_b64 exec, exec, s[12:13]
; %bb.1448:
	v_cmp_ne_u16_e32 vcc, 0, v9
	v_mov_b32_e32 v19, 0
	s_andn2_b64 s[6:7], s[6:7], exec
	s_and_b64 s[14:15], vcc, exec
	v_mov_b32_e32 v20, 0
	s_or_b64 s[6:7], s[6:7], s[14:15]
; %bb.1449:
	s_or_b64 exec, exec, s[12:13]
	s_and_saveexec_b64 s[12:13], s[6:7]
	s_cbranch_execz .LBB40_1451
; %bb.1450:
	v_lshlrev_b32_e32 v10, 24, v9
	v_and_b32_e32 v9, 0xffff, v9
	v_and_b32_e32 v11, 7, v9
	v_ffbh_u32_e32 v15, v11
	v_min_u32_e32 v15, 32, v15
	v_subrev_u32_e32 v17, 28, v15
	v_bfe_u32 v13, v9, 3, 4
	v_lshlrev_b32_e32 v9, v17, v9
	v_sub_u32_e32 v15, 29, v15
	v_and_b32_e32 v9, 7, v9
	v_cmp_eq_u32_e32 vcc, 0, v13
	v_cndmask_b32_e32 v13, v13, v15, vcc
	v_cndmask_b32_e32 v9, v11, v9, vcc
	v_mov_b32_e32 v11, 0x3b800000
	v_lshlrev_b32_e32 v9, 20, v9
	v_and_b32_e32 v10, 0x80000000, v10
	v_lshl_add_u32 v11, v13, 23, v11
	v_or3_b32 v9, v10, v11, v9
	v_cvt_f64_f32_e32 v[19:20], v9
.LBB40_1451:
	s_or_b64 exec, exec, s[12:13]
.LBB40_1452:
	s_mov_b64 s[6:7], -1
.LBB40_1453:
	s_mov_b64 s[12:13], 0
.LBB40_1454:
	s_and_b64 vcc, exec, s[12:13]
	s_cbranch_vccz .LBB40_1485
; %bb.1455:
	s_cmp_gt_i32 s18, 22
	s_cbranch_scc0 .LBB40_1467
; %bb.1456:
	s_cmp_lt_i32 s18, 24
	s_cbranch_scc1 .LBB40_1468
; %bb.1457:
	s_cmp_gt_i32 s18, 24
	s_cbranch_scc0 .LBB40_1469
; %bb.1458:
	global_load_ubyte v9, v[7:8], off
	s_movk_i32 s4, 0x7f
	s_waitcnt vmcnt(0)
	v_cmp_lt_i16_e32 vcc, s4, v9
	s_mov_b64 s[4:5], 0
	s_and_saveexec_b64 s[6:7], vcc
	s_xor_b64 s[6:7], exec, s[6:7]
	s_cbranch_execz .LBB40_1462
; %bb.1459:
	s_movk_i32 s4, 0x80
	v_cmp_eq_u16_e32 vcc, s4, v9
	s_mov_b64 s[4:5], -1
	s_and_saveexec_b64 s[12:13], vcc
; %bb.1460:
	s_xor_b64 s[4:5], exec, -1
; %bb.1461:
	s_or_b64 exec, exec, s[12:13]
	s_and_b64 s[4:5], s[4:5], exec
.LBB40_1462:
	s_or_saveexec_b64 s[6:7], s[6:7]
	v_bfrev_b32_e32 v19, 4
	v_mov_b32_e32 v20, 0x7ff80000
	s_xor_b64 exec, exec, s[6:7]
; %bb.1463:
	v_cmp_ne_u16_e32 vcc, 0, v9
	v_mov_b32_e32 v19, 0
	s_andn2_b64 s[4:5], s[4:5], exec
	s_and_b64 s[12:13], vcc, exec
	v_mov_b32_e32 v20, 0
	s_or_b64 s[4:5], s[4:5], s[12:13]
; %bb.1464:
	s_or_b64 exec, exec, s[6:7]
	s_and_saveexec_b64 s[6:7], s[4:5]
	s_cbranch_execz .LBB40_1466
; %bb.1465:
	v_lshlrev_b32_e32 v10, 24, v9
	v_and_b32_e32 v9, 0xffff, v9
	v_and_b32_e32 v11, 3, v9
	v_ffbh_u32_e32 v15, v11
	v_min_u32_e32 v15, 32, v15
	v_subrev_u32_e32 v17, 29, v15
	v_bfe_u32 v13, v9, 2, 5
	v_lshlrev_b32_e32 v9, v17, v9
	v_sub_u32_e32 v15, 30, v15
	v_and_b32_e32 v9, 3, v9
	v_cmp_eq_u32_e32 vcc, 0, v13
	v_cndmask_b32_e32 v13, v13, v15, vcc
	v_cndmask_b32_e32 v9, v11, v9, vcc
	v_mov_b32_e32 v11, 0x37800000
	v_lshlrev_b32_e32 v9, 21, v9
	v_and_b32_e32 v10, 0x80000000, v10
	v_lshl_add_u32 v11, v13, 23, v11
	v_or3_b32 v9, v10, v11, v9
	v_cvt_f64_f32_e32 v[19:20], v9
.LBB40_1466:
	s_or_b64 exec, exec, s[6:7]
	s_mov_b64 s[4:5], 0
	s_branch .LBB40_1470
.LBB40_1467:
	s_mov_b64 s[4:5], -1
                                        ; implicit-def: $vgpr19_vgpr20
	s_branch .LBB40_1476
.LBB40_1468:
	s_mov_b64 s[4:5], -1
                                        ; implicit-def: $vgpr19_vgpr20
	s_branch .LBB40_1473
.LBB40_1469:
	s_mov_b64 s[4:5], -1
                                        ; implicit-def: $vgpr19_vgpr20
.LBB40_1470:
	s_and_b64 vcc, exec, s[4:5]
	s_cbranch_vccz .LBB40_1472
; %bb.1471:
	global_load_ubyte v9, v[7:8], off
	s_mov_b32 s4, 0x7f800000
	s_waitcnt vmcnt(0)
	v_lshlrev_b32_e32 v9, 24, v9
	v_and_b32_e32 v10, 0x7f000000, v9
	v_ffbh_u32_e32 v11, v10
	v_min_u32_e32 v11, 32, v11
	v_sub_u32_e64 v11, v11, 4 clamp
	v_lshlrev_b32_e32 v15, v11, v10
	v_lshlrev_b32_e32 v11, 23, v11
	v_lshrrev_b32_e32 v15, 4, v15
	v_add_u32_e32 v13, 0x1000000, v10
	v_sub_u32_e32 v11, v15, v11
	v_ashrrev_i32_e32 v13, 8, v13
	v_add_u32_e32 v11, 0x3c000000, v11
	v_and_or_b32 v11, v13, s4, v11
	v_cmp_ne_u32_e32 vcc, 0, v10
	v_cndmask_b32_e32 v10, 0, v11, vcc
	s_brev_b32 s4, 1
	v_and_or_b32 v9, v9, s4, v10
	v_cvt_f64_f32_e32 v[19:20], v9
.LBB40_1472:
	s_mov_b64 s[4:5], 0
.LBB40_1473:
	s_andn2_b64 vcc, exec, s[4:5]
	s_cbranch_vccnz .LBB40_1475
; %bb.1474:
	global_load_ubyte v9, v[7:8], off
	s_movk_i32 s4, 0x7f00
	s_brev_b32 s5, 16
	s_waitcnt vmcnt(0)
	v_lshlrev_b16_e32 v10, 8, v9
	v_lshlrev_b32_e32 v9, 25, v9
	v_lshrrev_b32_e32 v11, 4, v9
	v_and_or_b32 v13, v10, s4, 0.5
	v_or_b32_e32 v11, 0x70000000, v11
	v_add_f32_e32 v13, -0.5, v13
	v_mul_f32_e32 v11, 0x7800000, v11
	v_cmp_gt_u32_e32 vcc, s5, v9
	v_bfe_i32 v10, v10, 0, 16
	v_cndmask_b32_e32 v9, v11, v13, vcc
	s_brev_b32 s4, 1
	v_and_or_b32 v9, v10, s4, v9
	v_cvt_f64_f32_e32 v[19:20], v9
.LBB40_1475:
	s_mov_b64 s[4:5], 0
	s_mov_b64 s[6:7], -1
.LBB40_1476:
	s_andn2_b64 vcc, exec, s[4:5]
	s_mov_b64 s[4:5], 0
	s_cbranch_vccnz .LBB40_1485
; %bb.1477:
	s_cmp_gt_i32 s18, 14
	s_cbranch_scc0 .LBB40_1480
; %bb.1478:
	s_cmp_eq_u32 s18, 15
	s_cbranch_scc0 .LBB40_1481
; %bb.1479:
	global_load_ushort v9, v[7:8], off
	s_mov_b64 s[0:1], 0
	s_mov_b64 s[6:7], -1
	s_waitcnt vmcnt(0)
	v_lshlrev_b32_e32 v9, 16, v9
	v_cvt_f64_f32_e32 v[19:20], v9
	s_branch .LBB40_1482
.LBB40_1480:
	s_mov_b64 s[12:13], -1
                                        ; implicit-def: $vgpr19_vgpr20
	s_branch .LBB40_1483
.LBB40_1481:
	s_mov_b64 s[0:1], -1
                                        ; implicit-def: $vgpr19_vgpr20
.LBB40_1482:
	s_mov_b64 s[12:13], 0
.LBB40_1483:
	s_and_b64 vcc, exec, s[12:13]
	s_cbranch_vccz .LBB40_1485
; %bb.1484:
	s_cmp_lg_u32 s18, 11
	s_mov_b64 s[4:5], -1
	s_cselect_b64 s[0:1], -1, 0
.LBB40_1485:
	s_and_b64 vcc, exec, s[0:1]
	s_cbranch_vccnz .LBB40_1550
; %bb.1486:
	s_andn2_b64 vcc, exec, s[4:5]
	s_cbranch_vccnz .LBB40_1488
.LBB40_1487:
	global_load_ubyte v9, v[7:8], off
	v_mov_b32_e32 v10, 0x3ff00000
	v_mov_b32_e32 v19, 0
	s_mov_b64 s[6:7], -1
	s_waitcnt vmcnt(0)
	v_cmp_ne_u16_e32 vcc, 0, v9
	v_cndmask_b32_e32 v20, 0, v10, vcc
.LBB40_1488:
	s_branch .LBB40_1416
.LBB40_1489:
	s_and_b32 s4, 0xffff, s17
	s_cmp_lt_i32 s4, 5
	s_cbranch_scc1 .LBB40_1494
; %bb.1490:
	s_cmp_lt_i32 s4, 8
	s_cbranch_scc1 .LBB40_1495
; %bb.1491:
	;; [unrolled: 3-line block ×3, first 2 shown]
	s_cmp_gt_i32 s4, 9
	s_cbranch_scc0 .LBB40_1497
; %bb.1493:
	global_load_dwordx2 v[19:20], v[7:8], off
	s_mov_b64 s[0:1], 0
	s_branch .LBB40_1498
.LBB40_1494:
	s_mov_b64 s[0:1], -1
                                        ; implicit-def: $vgpr19_vgpr20
	s_branch .LBB40_1516
.LBB40_1495:
	s_mov_b64 s[0:1], -1
                                        ; implicit-def: $vgpr19_vgpr20
	s_branch .LBB40_1504
.LBB40_1496:
	s_mov_b64 s[0:1], -1
                                        ; implicit-def: $vgpr19_vgpr20
	s_branch .LBB40_1501
.LBB40_1497:
	s_mov_b64 s[0:1], -1
                                        ; implicit-def: $vgpr19_vgpr20
.LBB40_1498:
	s_andn2_b64 vcc, exec, s[0:1]
	s_cbranch_vccnz .LBB40_1500
; %bb.1499:
	global_load_dword v9, v[7:8], off
	s_waitcnt vmcnt(0)
	v_cvt_f64_f32_e32 v[19:20], v9
.LBB40_1500:
	s_mov_b64 s[0:1], 0
.LBB40_1501:
	s_andn2_b64 vcc, exec, s[0:1]
	s_cbranch_vccnz .LBB40_1503
; %bb.1502:
	global_load_dword v9, v[7:8], off
	s_waitcnt vmcnt(0)
	v_cvt_f32_f16_e32 v9, v9
	v_cvt_f64_f32_e32 v[19:20], v9
.LBB40_1503:
	s_mov_b64 s[0:1], 0
.LBB40_1504:
	s_andn2_b64 vcc, exec, s[0:1]
	s_cbranch_vccnz .LBB40_1515
; %bb.1505:
	s_cmp_lt_i32 s4, 6
	s_cbranch_scc1 .LBB40_1508
; %bb.1506:
	s_cmp_gt_i32 s4, 6
	s_cbranch_scc0 .LBB40_1509
; %bb.1507:
	global_load_dwordx2 v[19:20], v[7:8], off
	s_mov_b64 s[0:1], 0
	s_branch .LBB40_1510
.LBB40_1508:
	s_mov_b64 s[0:1], -1
                                        ; implicit-def: $vgpr19_vgpr20
	s_branch .LBB40_1513
.LBB40_1509:
	s_mov_b64 s[0:1], -1
                                        ; implicit-def: $vgpr19_vgpr20
.LBB40_1510:
	s_andn2_b64 vcc, exec, s[0:1]
	s_cbranch_vccnz .LBB40_1512
; %bb.1511:
	global_load_dword v9, v[7:8], off
	s_waitcnt vmcnt(0)
	v_cvt_f64_f32_e32 v[19:20], v9
.LBB40_1512:
	s_mov_b64 s[0:1], 0
.LBB40_1513:
	s_andn2_b64 vcc, exec, s[0:1]
	s_cbranch_vccnz .LBB40_1515
; %bb.1514:
	global_load_ushort v9, v[7:8], off
	s_waitcnt vmcnt(0)
	v_cvt_f32_f16_e32 v9, v9
	v_cvt_f64_f32_e32 v[19:20], v9
.LBB40_1515:
	s_mov_b64 s[0:1], 0
.LBB40_1516:
	s_andn2_b64 vcc, exec, s[0:1]
	s_cbranch_vccnz .LBB40_1536
; %bb.1517:
	s_cmp_lt_i32 s4, 2
	s_cbranch_scc1 .LBB40_1521
; %bb.1518:
	s_cmp_lt_i32 s4, 3
	s_cbranch_scc1 .LBB40_1522
; %bb.1519:
	s_cmp_gt_i32 s4, 3
	s_cbranch_scc0 .LBB40_1523
; %bb.1520:
	global_load_dwordx2 v[9:10], v[7:8], off
	s_mov_b64 s[0:1], 0
	s_waitcnt vmcnt(0)
	v_cvt_f64_i32_e32 v[10:11], v10
	v_cvt_f64_u32_e32 v[19:20], v9
	v_ldexp_f64 v[10:11], v[10:11], 32
	v_add_f64 v[19:20], v[10:11], v[19:20]
	s_branch .LBB40_1524
.LBB40_1521:
	s_mov_b64 s[0:1], -1
                                        ; implicit-def: $vgpr19_vgpr20
	s_branch .LBB40_1530
.LBB40_1522:
	s_mov_b64 s[0:1], -1
                                        ; implicit-def: $vgpr19_vgpr20
	s_branch .LBB40_1527
.LBB40_1523:
	s_mov_b64 s[0:1], -1
                                        ; implicit-def: $vgpr19_vgpr20
.LBB40_1524:
	s_andn2_b64 vcc, exec, s[0:1]
	s_cbranch_vccnz .LBB40_1526
; %bb.1525:
	global_load_dword v9, v[7:8], off
	s_waitcnt vmcnt(0)
	v_cvt_f64_i32_e32 v[19:20], v9
.LBB40_1526:
	s_mov_b64 s[0:1], 0
.LBB40_1527:
	s_andn2_b64 vcc, exec, s[0:1]
	s_cbranch_vccnz .LBB40_1529
; %bb.1528:
	global_load_sshort v9, v[7:8], off
	s_waitcnt vmcnt(0)
	v_cvt_f64_i32_e32 v[19:20], v9
.LBB40_1529:
	s_mov_b64 s[0:1], 0
.LBB40_1530:
	s_andn2_b64 vcc, exec, s[0:1]
	s_cbranch_vccnz .LBB40_1536
; %bb.1531:
	s_cmp_gt_i32 s4, 0
	s_cbranch_scc0 .LBB40_1533
; %bb.1532:
	global_load_sbyte v9, v[7:8], off
	s_mov_b64 s[0:1], 0
	s_waitcnt vmcnt(0)
	v_cvt_f64_i32_e32 v[19:20], v9
	s_branch .LBB40_1534
.LBB40_1533:
	s_mov_b64 s[0:1], -1
                                        ; implicit-def: $vgpr19_vgpr20
.LBB40_1534:
	s_andn2_b64 vcc, exec, s[0:1]
	s_cbranch_vccnz .LBB40_1536
; %bb.1535:
	global_load_ubyte v7, v[7:8], off
	s_waitcnt vmcnt(0)
	v_cvt_f64_u32_e32 v[19:20], v7
.LBB40_1536:
.LBB40_1537:
	s_waitcnt vmcnt(0)
	v_fma_f64 v[7:8], |v[19:20]|, -0.5, 0.5
	v_mul_f64 v[9:10], v[19:20], v[19:20]
	v_cmp_ge_f64_e64 vcc, |v[19:20]|, 0.5
	s_mov_b32 s0, 0x9fea6a70
	v_mov_b32_e32 v21, 0x78a05eaf
	v_mov_b32_e32 v22, 0xbf90a5a3
	s_mov_b32 s1, 0x3fa05985
	v_cndmask_b32_e32 v10, v10, v8, vcc
	v_cndmask_b32_e32 v9, v9, v7, vcc
	v_fma_f64 v[21:22], v[9:10], s[0:1], v[21:22]
	s_mov_b32 s0, 0x37024d6a
	s_mov_b32 s1, 0x3f940521
	v_fma_f64 v[21:22], v[9:10], v[21:22], s[0:1]
	s_mov_b32 s0, 0x98a70509
	s_mov_b32 s1, 0x3f7ab3a0
	;; [unrolled: 3-line block ×10, first 2 shown]
	v_fma_f64 v[21:22], v[9:10], v[21:22], s[0:1]
	v_mul_f64 v[21:22], v[9:10], v[21:22]
	v_fma_f64 v[10:11], |v[19:20]|, v[21:22], |v[19:20]|
	s_and_saveexec_b64 s[0:1], vcc
	s_cbranch_execz .LBB40_1539
; %bb.1538:
	v_rsq_f64_e32 v[9:10], v[7:8]
	v_cmp_eq_f64_e32 vcc, 0, v[7:8]
	s_mov_b32 s4, 0x54442d18
	s_mov_b32 s5, 0x3fe921fb
	v_mul_f64 v[23:24], v[7:8], v[9:10]
	v_mul_f64 v[9:10], v[9:10], 0.5
	v_fma_f64 v[25:26], -v[9:10], v[23:24], 0.5
	v_fma_f64 v[23:24], v[23:24], v[25:26], v[23:24]
	v_fma_f64 v[9:10], v[9:10], v[25:26], v[9:10]
	v_fma_f64 v[25:26], -v[23:24], v[23:24], v[7:8]
	v_fma_f64 v[9:10], v[25:26], v[9:10], v[23:24]
	v_cndmask_b32_e32 v10, v10, v8, vcc
	v_cndmask_b32_e32 v9, v9, v7, vcc
	v_add_f64 v[23:24], v[9:10], v[9:10]
	v_mul_f64 v[25:26], v[9:10], v[9:10]
	v_rcp_f64_e32 v[27:28], v[23:24]
	v_add_f64 v[29:30], v[7:8], -v[25:26]
	v_fma_f64 v[33:34], v[9:10], v[9:10], -v[25:26]
	v_add_f64 v[7:8], v[7:8], -v[29:30]
	v_fma_f64 v[31:32], -v[23:24], v[27:28], 1.0
	v_add_f64 v[7:8], v[7:8], -v[25:26]
	v_fma_f64 v[25:26], v[31:32], v[27:28], v[27:28]
	v_add_f64 v[7:8], v[7:8], -v[33:34]
	v_fma_f64 v[27:28], -v[23:24], v[25:26], 1.0
	v_add_f64 v[7:8], v[29:30], v[7:8]
	v_fma_f64 v[25:26], v[27:28], v[25:26], v[25:26]
	v_mul_f64 v[27:28], v[7:8], v[25:26]
	v_fma_f64 v[7:8], -v[23:24], v[27:28], v[7:8]
	v_fma_f64 v[7:8], v[7:8], v[25:26], v[27:28]
	v_cndmask_b32_e64 v8, v8, 0, vcc
	v_cndmask_b32_e64 v7, v7, 0, vcc
	v_add_f64 v[23:24], v[9:10], v[7:8]
	v_cmp_neq_f64_e64 vcc, |v[19:20]|, 1.0
	v_add_f64 v[9:10], v[23:24], -v[9:10]
	v_mul_f64 v[25:26], v[21:22], v[23:24]
	v_add_f64 v[7:8], v[7:8], -v[9:10]
	v_fma_f64 v[9:10], v[23:24], v[21:22], -v[25:26]
	v_fma_f64 v[9:10], v[7:8], v[21:22], v[9:10]
	v_add_f64 v[21:22], v[25:26], v[9:10]
	v_add_f64 v[27:28], v[23:24], v[21:22]
	v_add_f64 v[25:26], v[21:22], -v[25:26]
	v_add_f64 v[23:24], v[27:28], -v[23:24]
	;; [unrolled: 1-line block ×4, first 2 shown]
	v_add_f64 v[7:8], v[7:8], v[9:10]
	v_add_f64 v[7:8], v[7:8], v[21:22]
	;; [unrolled: 1-line block ×3, first 2 shown]
	v_add_f64 v[21:22], -v[9:10], s[4:5]
	v_add_f64 v[25:26], v[9:10], -v[27:28]
	v_add_f64 v[23:24], -v[21:22], s[4:5]
	s_mov_b32 s4, 0x33145c07
	s_mov_b32 s5, 0x3c81a626
	v_add_f64 v[7:8], v[25:26], -v[7:8]
	v_add_f64 v[9:10], v[23:24], -v[9:10]
	v_add_f64 v[9:10], v[9:10], s[4:5]
	v_add_f64 v[7:8], v[7:8], v[9:10]
	v_mov_b32_e32 v9, 0x3ff921fb
	v_mov_b32_e32 v10, 0x54442d18
	v_add_f64 v[7:8], v[21:22], v[7:8]
	v_add_f64 v[7:8], v[7:8], v[7:8]
	v_cndmask_b32_e32 v11, v9, v8, vcc
	v_cndmask_b32_e32 v10, v10, v7, vcc
.LBB40_1539:
	s_or_b64 exec, exec, s[0:1]
	v_mov_b32_e32 v8, s11
	v_add_co_u32_e32 v7, vcc, s10, v3
	s_cmp_lt_i32 s17, 11
	v_addc_co_u32_e32 v8, vcc, 0, v8, vcc
	s_cbranch_scc1 .LBB40_1546
; %bb.1540:
	s_and_b32 s14, 0xffff, s17
	s_cmp_gt_i32 s14, 25
	s_mov_b64 s[4:5], 0
	s_cbranch_scc0 .LBB40_1547
; %bb.1541:
	s_cmp_gt_i32 s14, 28
	s_cbranch_scc0 .LBB40_1548
; %bb.1542:
	s_cmp_gt_i32 s14, 43
	;; [unrolled: 3-line block ×3, first 2 shown]
	s_cbranch_scc0 .LBB40_1551
; %bb.1544:
	s_cmp_eq_u32 s14, 46
	s_mov_b64 s[10:11], 0
	s_cbranch_scc0 .LBB40_1552
; %bb.1545:
	global_load_dword v3, v[7:8], off
	s_mov_b64 s[0:1], 0
	s_mov_b64 s[6:7], -1
	s_waitcnt vmcnt(0)
	v_lshlrev_b32_e32 v3, 16, v3
	v_cvt_f64_f32_e32 v[21:22], v3
	s_branch .LBB40_1553
.LBB40_1546:
	s_mov_b64 s[0:1], -1
	s_mov_b64 s[6:7], 0
                                        ; implicit-def: $vgpr21_vgpr22
	s_branch .LBB40_1619
.LBB40_1547:
	s_mov_b64 s[10:11], -1
	s_mov_b64 s[6:7], 0
	s_mov_b64 s[0:1], 0
                                        ; implicit-def: $vgpr21_vgpr22
	s_branch .LBB40_1584
.LBB40_1548:
	s_mov_b64 s[10:11], -1
	s_mov_b64 s[6:7], 0
	s_mov_b64 s[0:1], 0
                                        ; implicit-def: $vgpr21_vgpr22
	s_branch .LBB40_1563
.LBB40_1549:
	s_mov_b64 s[10:11], -1
	s_mov_b64 s[6:7], 0
	s_mov_b64 s[0:1], 0
                                        ; implicit-def: $vgpr21_vgpr22
	s_branch .LBB40_1558
.LBB40_1550:
	s_trap 2
	s_or_b64 s[2:3], s[2:3], exec
	s_cbranch_execz .LBB40_1487
	s_branch .LBB40_1488
.LBB40_1551:
	s_mov_b64 s[10:11], -1
	s_mov_b64 s[6:7], 0
	s_mov_b64 s[0:1], 0
                                        ; implicit-def: $vgpr21_vgpr22
	s_branch .LBB40_1553
.LBB40_1552:
	s_mov_b64 s[0:1], -1
                                        ; implicit-def: $vgpr21_vgpr22
	s_mov_b64 s[6:7], 0
.LBB40_1553:
	s_and_b64 vcc, exec, s[10:11]
	s_cbranch_vccz .LBB40_1557
; %bb.1554:
	s_cmp_eq_u32 s14, 44
	s_cbranch_scc0 .LBB40_1556
; %bb.1555:
	global_load_ubyte v3, v[7:8], off
	s_movk_i32 s6, 0xff
	v_bfrev_b32_e32 v9, 4
	v_mov_b32_e32 v13, 0x7ff80000
	s_mov_b64 s[0:1], 0
	s_waitcnt vmcnt(0)
	v_lshlrev_b32_e32 v15, 23, v3
	v_cvt_f64_f32_e32 v[21:22], v15
	v_cmp_ne_u32_e32 vcc, s6, v3
	v_bfrev_b32_e32 v15, 28
	s_mov_b64 s[6:7], -1
	v_cndmask_b32_e32 v9, v9, v21, vcc
	v_cndmask_b32_e32 v13, v13, v22, vcc
	v_cmp_ne_u32_e32 vcc, 0, v3
	v_cndmask_b32_e32 v22, v15, v13, vcc
	v_cndmask_b32_e32 v21, 0, v9, vcc
	s_branch .LBB40_1557
.LBB40_1556:
	s_mov_b64 s[0:1], -1
                                        ; implicit-def: $vgpr21_vgpr22
.LBB40_1557:
	s_mov_b64 s[10:11], 0
.LBB40_1558:
	s_and_b64 vcc, exec, s[10:11]
	s_cbranch_vccz .LBB40_1562
; %bb.1559:
	s_cmp_eq_u32 s14, 29
	s_cbranch_scc0 .LBB40_1561
; %bb.1560:
	global_load_dwordx2 v[21:22], v[7:8], off
	s_mov_b64 s[0:1], 0
	s_mov_b64 s[6:7], -1
	s_mov_b64 s[10:11], 0
	s_waitcnt vmcnt(0)
	v_cvt_f64_u32_e32 v[22:23], v22
	v_cvt_f64_u32_e32 v[24:25], v21
	v_ldexp_f64 v[22:23], v[22:23], 32
	v_add_f64 v[21:22], v[22:23], v[24:25]
	s_branch .LBB40_1563
.LBB40_1561:
	s_mov_b64 s[0:1], -1
                                        ; implicit-def: $vgpr21_vgpr22
.LBB40_1562:
	s_mov_b64 s[10:11], 0
.LBB40_1563:
	s_and_b64 vcc, exec, s[10:11]
	s_cbranch_vccz .LBB40_1583
; %bb.1564:
	s_cmp_lt_i32 s14, 27
	s_cbranch_scc1 .LBB40_1567
; %bb.1565:
	s_cmp_gt_i32 s14, 27
	s_cbranch_scc0 .LBB40_1568
; %bb.1566:
	global_load_dword v3, v[7:8], off
	s_mov_b64 s[6:7], 0
	s_waitcnt vmcnt(0)
	v_cvt_f64_u32_e32 v[21:22], v3
	s_branch .LBB40_1569
.LBB40_1567:
	s_mov_b64 s[6:7], -1
                                        ; implicit-def: $vgpr21_vgpr22
	s_branch .LBB40_1572
.LBB40_1568:
	s_mov_b64 s[6:7], -1
                                        ; implicit-def: $vgpr21_vgpr22
.LBB40_1569:
	s_andn2_b64 vcc, exec, s[6:7]
	s_cbranch_vccnz .LBB40_1571
; %bb.1570:
	global_load_ushort v3, v[7:8], off
	s_waitcnt vmcnt(0)
	v_cvt_f64_u32_e32 v[21:22], v3
.LBB40_1571:
	s_mov_b64 s[6:7], 0
.LBB40_1572:
	s_andn2_b64 vcc, exec, s[6:7]
	s_cbranch_vccnz .LBB40_1582
; %bb.1573:
	global_load_ubyte v3, v[7:8], off
	s_movk_i32 s6, 0x7f
	s_waitcnt vmcnt(0)
	v_cmp_lt_i16_e32 vcc, s6, v3
	s_mov_b64 s[6:7], 0
	s_and_saveexec_b64 s[10:11], vcc
	s_xor_b64 s[10:11], exec, s[10:11]
	s_cbranch_execz .LBB40_1577
; %bb.1574:
	s_movk_i32 s6, 0x80
	v_cmp_eq_u16_e32 vcc, s6, v3
	s_mov_b64 s[6:7], -1
	s_and_saveexec_b64 s[12:13], vcc
; %bb.1575:
	s_xor_b64 s[6:7], exec, -1
; %bb.1576:
	s_or_b64 exec, exec, s[12:13]
	s_and_b64 s[6:7], s[6:7], exec
.LBB40_1577:
	s_or_saveexec_b64 s[10:11], s[10:11]
	v_bfrev_b32_e32 v21, 4
	v_mov_b32_e32 v22, 0x7ff80000
	s_xor_b64 exec, exec, s[10:11]
; %bb.1578:
	v_cmp_ne_u16_e32 vcc, 0, v3
	v_mov_b32_e32 v21, 0
	s_andn2_b64 s[6:7], s[6:7], exec
	s_and_b64 s[12:13], vcc, exec
	v_mov_b32_e32 v22, 0
	s_or_b64 s[6:7], s[6:7], s[12:13]
; %bb.1579:
	s_or_b64 exec, exec, s[10:11]
	s_and_saveexec_b64 s[10:11], s[6:7]
	s_cbranch_execz .LBB40_1581
; %bb.1580:
	v_lshlrev_b32_e32 v9, 24, v3
	v_and_b32_e32 v3, 0xffff, v3
	v_and_b32_e32 v13, 7, v3
	v_ffbh_u32_e32 v17, v13
	v_min_u32_e32 v17, 32, v17
	v_subrev_u32_e32 v19, 28, v17
	v_bfe_u32 v15, v3, 3, 4
	v_lshlrev_b32_e32 v3, v19, v3
	v_sub_u32_e32 v17, 29, v17
	v_and_b32_e32 v3, 7, v3
	v_cmp_eq_u32_e32 vcc, 0, v15
	v_cndmask_b32_e32 v15, v15, v17, vcc
	v_cndmask_b32_e32 v3, v13, v3, vcc
	v_mov_b32_e32 v13, 0x3b800000
	v_lshlrev_b32_e32 v3, 20, v3
	v_and_b32_e32 v9, 0x80000000, v9
	v_lshl_add_u32 v13, v15, 23, v13
	v_or3_b32 v3, v9, v13, v3
	v_cvt_f64_f32_e32 v[21:22], v3
.LBB40_1581:
	s_or_b64 exec, exec, s[10:11]
.LBB40_1582:
	s_mov_b64 s[6:7], -1
.LBB40_1583:
	s_mov_b64 s[10:11], 0
.LBB40_1584:
	s_and_b64 vcc, exec, s[10:11]
	s_cbranch_vccz .LBB40_1615
; %bb.1585:
	s_cmp_gt_i32 s14, 22
	s_cbranch_scc0 .LBB40_1597
; %bb.1586:
	s_cmp_lt_i32 s14, 24
	s_cbranch_scc1 .LBB40_1598
; %bb.1587:
	s_cmp_gt_i32 s14, 24
	s_cbranch_scc0 .LBB40_1599
; %bb.1588:
	global_load_ubyte v3, v[7:8], off
	s_movk_i32 s4, 0x7f
	s_waitcnt vmcnt(0)
	v_cmp_lt_i16_e32 vcc, s4, v3
	s_mov_b64 s[4:5], 0
	s_and_saveexec_b64 s[6:7], vcc
	s_xor_b64 s[6:7], exec, s[6:7]
	s_cbranch_execz .LBB40_1592
; %bb.1589:
	s_movk_i32 s4, 0x80
	v_cmp_eq_u16_e32 vcc, s4, v3
	s_mov_b64 s[4:5], -1
	s_and_saveexec_b64 s[10:11], vcc
; %bb.1590:
	s_xor_b64 s[4:5], exec, -1
; %bb.1591:
	s_or_b64 exec, exec, s[10:11]
	s_and_b64 s[4:5], s[4:5], exec
.LBB40_1592:
	s_or_saveexec_b64 s[6:7], s[6:7]
	v_bfrev_b32_e32 v21, 4
	v_mov_b32_e32 v22, 0x7ff80000
	s_xor_b64 exec, exec, s[6:7]
; %bb.1593:
	v_cmp_ne_u16_e32 vcc, 0, v3
	v_mov_b32_e32 v21, 0
	s_andn2_b64 s[4:5], s[4:5], exec
	s_and_b64 s[10:11], vcc, exec
	v_mov_b32_e32 v22, 0
	s_or_b64 s[4:5], s[4:5], s[10:11]
; %bb.1594:
	s_or_b64 exec, exec, s[6:7]
	s_and_saveexec_b64 s[6:7], s[4:5]
	s_cbranch_execz .LBB40_1596
; %bb.1595:
	v_lshlrev_b32_e32 v9, 24, v3
	v_and_b32_e32 v3, 0xffff, v3
	v_and_b32_e32 v13, 3, v3
	v_ffbh_u32_e32 v17, v13
	v_min_u32_e32 v17, 32, v17
	v_subrev_u32_e32 v19, 29, v17
	v_bfe_u32 v15, v3, 2, 5
	v_lshlrev_b32_e32 v3, v19, v3
	v_sub_u32_e32 v17, 30, v17
	v_and_b32_e32 v3, 3, v3
	v_cmp_eq_u32_e32 vcc, 0, v15
	v_cndmask_b32_e32 v15, v15, v17, vcc
	v_cndmask_b32_e32 v3, v13, v3, vcc
	v_mov_b32_e32 v13, 0x37800000
	v_lshlrev_b32_e32 v3, 21, v3
	v_and_b32_e32 v9, 0x80000000, v9
	v_lshl_add_u32 v13, v15, 23, v13
	v_or3_b32 v3, v9, v13, v3
	v_cvt_f64_f32_e32 v[21:22], v3
.LBB40_1596:
	s_or_b64 exec, exec, s[6:7]
	s_mov_b64 s[4:5], 0
	s_branch .LBB40_1600
.LBB40_1597:
	s_mov_b64 s[4:5], -1
                                        ; implicit-def: $vgpr21_vgpr22
	s_branch .LBB40_1606
.LBB40_1598:
	s_mov_b64 s[4:5], -1
                                        ; implicit-def: $vgpr21_vgpr22
	s_branch .LBB40_1603
.LBB40_1599:
	s_mov_b64 s[4:5], -1
                                        ; implicit-def: $vgpr21_vgpr22
.LBB40_1600:
	s_and_b64 vcc, exec, s[4:5]
	s_cbranch_vccz .LBB40_1602
; %bb.1601:
	global_load_ubyte v3, v[7:8], off
	s_mov_b32 s4, 0x7f800000
	s_waitcnt vmcnt(0)
	v_lshlrev_b32_e32 v3, 24, v3
	v_and_b32_e32 v9, 0x7f000000, v3
	v_ffbh_u32_e32 v13, v9
	v_min_u32_e32 v13, 32, v13
	v_sub_u32_e64 v13, v13, 4 clamp
	v_lshlrev_b32_e32 v17, v13, v9
	v_lshlrev_b32_e32 v13, 23, v13
	v_lshrrev_b32_e32 v17, 4, v17
	v_add_u32_e32 v15, 0x1000000, v9
	v_sub_u32_e32 v13, v17, v13
	v_ashrrev_i32_e32 v15, 8, v15
	v_add_u32_e32 v13, 0x3c000000, v13
	v_and_or_b32 v13, v15, s4, v13
	v_cmp_ne_u32_e32 vcc, 0, v9
	v_cndmask_b32_e32 v9, 0, v13, vcc
	s_brev_b32 s4, 1
	v_and_or_b32 v3, v3, s4, v9
	v_cvt_f64_f32_e32 v[21:22], v3
.LBB40_1602:
	s_mov_b64 s[4:5], 0
.LBB40_1603:
	s_andn2_b64 vcc, exec, s[4:5]
	s_cbranch_vccnz .LBB40_1605
; %bb.1604:
	global_load_ubyte v3, v[7:8], off
	s_movk_i32 s4, 0x7f00
	s_brev_b32 s5, 16
	s_waitcnt vmcnt(0)
	v_lshlrev_b16_e32 v9, 8, v3
	v_lshlrev_b32_e32 v3, 25, v3
	v_lshrrev_b32_e32 v13, 4, v3
	v_and_or_b32 v15, v9, s4, 0.5
	v_or_b32_e32 v13, 0x70000000, v13
	v_add_f32_e32 v15, -0.5, v15
	v_mul_f32_e32 v13, 0x7800000, v13
	v_cmp_gt_u32_e32 vcc, s5, v3
	v_bfe_i32 v9, v9, 0, 16
	v_cndmask_b32_e32 v3, v13, v15, vcc
	s_brev_b32 s4, 1
	v_and_or_b32 v3, v9, s4, v3
	v_cvt_f64_f32_e32 v[21:22], v3
.LBB40_1605:
	s_mov_b64 s[4:5], 0
	s_mov_b64 s[6:7], -1
.LBB40_1606:
	s_andn2_b64 vcc, exec, s[4:5]
	s_mov_b64 s[4:5], 0
	s_cbranch_vccnz .LBB40_1615
; %bb.1607:
	s_cmp_gt_i32 s14, 14
	s_cbranch_scc0 .LBB40_1610
; %bb.1608:
	s_cmp_eq_u32 s14, 15
	s_cbranch_scc0 .LBB40_1611
; %bb.1609:
	global_load_ushort v3, v[7:8], off
	s_mov_b64 s[0:1], 0
	s_mov_b64 s[6:7], -1
	s_waitcnt vmcnt(0)
	v_lshlrev_b32_e32 v3, 16, v3
	v_cvt_f64_f32_e32 v[21:22], v3
	s_branch .LBB40_1612
.LBB40_1610:
	s_mov_b64 s[10:11], -1
                                        ; implicit-def: $vgpr21_vgpr22
	s_branch .LBB40_1613
.LBB40_1611:
	s_mov_b64 s[0:1], -1
                                        ; implicit-def: $vgpr21_vgpr22
.LBB40_1612:
	s_mov_b64 s[10:11], 0
.LBB40_1613:
	s_and_b64 vcc, exec, s[10:11]
	s_cbranch_vccz .LBB40_1615
; %bb.1614:
	s_cmp_lg_u32 s14, 11
	s_mov_b64 s[4:5], -1
	s_cselect_b64 s[0:1], -1, 0
.LBB40_1615:
	s_and_b64 vcc, exec, s[0:1]
	s_cbranch_vccnz .LBB40_2150
; %bb.1616:
	s_andn2_b64 vcc, exec, s[4:5]
	s_cbranch_vccnz .LBB40_1618
.LBB40_1617:
	global_load_ubyte v3, v[7:8], off
	v_mov_b32_e32 v9, 0x3ff00000
	v_mov_b32_e32 v21, 0
	s_mov_b64 s[6:7], -1
	s_waitcnt vmcnt(0)
	v_cmp_ne_u16_e32 vcc, 0, v3
	v_cndmask_b32_e32 v22, 0, v9, vcc
.LBB40_1618:
	s_mov_b64 s[0:1], 0
.LBB40_1619:
	s_and_b64 vcc, exec, s[0:1]
	s_cbranch_vccz .LBB40_1668
; %bb.1620:
	s_and_b32 s4, 0xffff, s17
	s_cmp_lt_i32 s4, 5
	s_cbranch_scc1 .LBB40_1625
; %bb.1621:
	s_cmp_lt_i32 s4, 8
	s_cbranch_scc1 .LBB40_1626
; %bb.1622:
	;; [unrolled: 3-line block ×3, first 2 shown]
	s_cmp_gt_i32 s4, 9
	s_cbranch_scc0 .LBB40_1628
; %bb.1624:
	global_load_dwordx2 v[21:22], v[7:8], off
	s_mov_b64 s[0:1], 0
	s_branch .LBB40_1629
.LBB40_1625:
	s_mov_b64 s[0:1], -1
                                        ; implicit-def: $vgpr21_vgpr22
	s_branch .LBB40_1647
.LBB40_1626:
	s_mov_b64 s[0:1], -1
                                        ; implicit-def: $vgpr21_vgpr22
	s_branch .LBB40_1635
.LBB40_1627:
	s_mov_b64 s[0:1], -1
                                        ; implicit-def: $vgpr21_vgpr22
	s_branch .LBB40_1632
.LBB40_1628:
	s_mov_b64 s[0:1], -1
                                        ; implicit-def: $vgpr21_vgpr22
.LBB40_1629:
	s_andn2_b64 vcc, exec, s[0:1]
	s_cbranch_vccnz .LBB40_1631
; %bb.1630:
	global_load_dword v3, v[7:8], off
	s_waitcnt vmcnt(0)
	v_cvt_f64_f32_e32 v[21:22], v3
.LBB40_1631:
	s_mov_b64 s[0:1], 0
.LBB40_1632:
	s_andn2_b64 vcc, exec, s[0:1]
	s_cbranch_vccnz .LBB40_1634
; %bb.1633:
	global_load_dword v3, v[7:8], off
	s_waitcnt vmcnt(0)
	v_cvt_f32_f16_e32 v3, v3
	v_cvt_f64_f32_e32 v[21:22], v3
.LBB40_1634:
	s_mov_b64 s[0:1], 0
.LBB40_1635:
	s_andn2_b64 vcc, exec, s[0:1]
	s_cbranch_vccnz .LBB40_1646
; %bb.1636:
	s_cmp_lt_i32 s4, 6
	s_cbranch_scc1 .LBB40_1639
; %bb.1637:
	s_cmp_gt_i32 s4, 6
	s_cbranch_scc0 .LBB40_1640
; %bb.1638:
	global_load_dwordx2 v[21:22], v[7:8], off
	s_mov_b64 s[0:1], 0
	s_branch .LBB40_1641
.LBB40_1639:
	s_mov_b64 s[0:1], -1
                                        ; implicit-def: $vgpr21_vgpr22
	s_branch .LBB40_1644
.LBB40_1640:
	s_mov_b64 s[0:1], -1
                                        ; implicit-def: $vgpr21_vgpr22
.LBB40_1641:
	s_andn2_b64 vcc, exec, s[0:1]
	s_cbranch_vccnz .LBB40_1643
; %bb.1642:
	global_load_dword v3, v[7:8], off
	s_waitcnt vmcnt(0)
	v_cvt_f64_f32_e32 v[21:22], v3
.LBB40_1643:
	s_mov_b64 s[0:1], 0
.LBB40_1644:
	s_andn2_b64 vcc, exec, s[0:1]
	s_cbranch_vccnz .LBB40_1646
; %bb.1645:
	global_load_ushort v3, v[7:8], off
	s_waitcnt vmcnt(0)
	v_cvt_f32_f16_e32 v3, v3
	v_cvt_f64_f32_e32 v[21:22], v3
.LBB40_1646:
	s_mov_b64 s[0:1], 0
.LBB40_1647:
	s_andn2_b64 vcc, exec, s[0:1]
	s_cbranch_vccnz .LBB40_1667
; %bb.1648:
	s_cmp_lt_i32 s4, 2
	s_cbranch_scc1 .LBB40_1652
; %bb.1649:
	s_cmp_lt_i32 s4, 3
	s_cbranch_scc1 .LBB40_1653
; %bb.1650:
	s_cmp_gt_i32 s4, 3
	s_cbranch_scc0 .LBB40_1654
; %bb.1651:
	global_load_dwordx2 v[21:22], v[7:8], off
	s_mov_b64 s[0:1], 0
	s_waitcnt vmcnt(0)
	v_cvt_f64_i32_e32 v[22:23], v22
	v_cvt_f64_u32_e32 v[24:25], v21
	v_ldexp_f64 v[22:23], v[22:23], 32
	v_add_f64 v[21:22], v[22:23], v[24:25]
	s_branch .LBB40_1655
.LBB40_1652:
	s_mov_b64 s[0:1], -1
                                        ; implicit-def: $vgpr21_vgpr22
	s_branch .LBB40_1661
.LBB40_1653:
	s_mov_b64 s[0:1], -1
                                        ; implicit-def: $vgpr21_vgpr22
	s_branch .LBB40_1658
.LBB40_1654:
	s_mov_b64 s[0:1], -1
                                        ; implicit-def: $vgpr21_vgpr22
.LBB40_1655:
	s_andn2_b64 vcc, exec, s[0:1]
	s_cbranch_vccnz .LBB40_1657
; %bb.1656:
	global_load_dword v3, v[7:8], off
	s_waitcnt vmcnt(0)
	v_cvt_f64_i32_e32 v[21:22], v3
.LBB40_1657:
	s_mov_b64 s[0:1], 0
.LBB40_1658:
	s_andn2_b64 vcc, exec, s[0:1]
	s_cbranch_vccnz .LBB40_1660
; %bb.1659:
	global_load_sshort v3, v[7:8], off
	s_waitcnt vmcnt(0)
	v_cvt_f64_i32_e32 v[21:22], v3
.LBB40_1660:
	s_mov_b64 s[0:1], 0
.LBB40_1661:
	s_andn2_b64 vcc, exec, s[0:1]
	s_cbranch_vccnz .LBB40_1667
; %bb.1662:
	s_cmp_gt_i32 s4, 0
	s_cbranch_scc0 .LBB40_1664
; %bb.1663:
	global_load_sbyte v3, v[7:8], off
	s_mov_b64 s[0:1], 0
	s_waitcnt vmcnt(0)
	v_cvt_f64_i32_e32 v[21:22], v3
	s_branch .LBB40_1665
.LBB40_1664:
	s_mov_b64 s[0:1], -1
                                        ; implicit-def: $vgpr21_vgpr22
.LBB40_1665:
	s_andn2_b64 vcc, exec, s[0:1]
	s_cbranch_vccnz .LBB40_1667
; %bb.1666:
	global_load_ubyte v3, v[7:8], off
	s_waitcnt vmcnt(0)
	v_cvt_f64_u32_e32 v[21:22], v3
.LBB40_1667:
	s_mov_b64 s[6:7], -1
.LBB40_1668:
	s_andn2_b64 vcc, exec, s[6:7]
	s_cbranch_vccnz .LBB40_2104
; %bb.1669:
	s_waitcnt vmcnt(0)
	v_fma_f64 v[23:24], |v[21:22]|, -0.5, 0.5
	v_mul_f64 v[7:8], v[21:22], v[21:22]
	v_cmp_ge_f64_e64 vcc, |v[21:22]|, 0.5
	s_mov_b32 s0, 0x9fea6a70
	v_mov_b32_e32 v25, 0x78a05eaf
	v_mov_b32_e32 v26, 0xbf90a5a3
	s_mov_b32 s1, 0x3fa05985
	v_cndmask_b32_e32 v8, v8, v24, vcc
	v_cndmask_b32_e32 v7, v7, v23, vcc
	v_fma_f64 v[25:26], v[7:8], s[0:1], v[25:26]
	s_mov_b32 s0, 0x37024d6a
	s_mov_b32 s1, 0x3f940521
	v_fma_f64 v[25:26], v[7:8], v[25:26], s[0:1]
	s_mov_b32 s0, 0x98a70509
	s_mov_b32 s1, 0x3f7ab3a0
	;; [unrolled: 3-line block ×10, first 2 shown]
	v_fma_f64 v[25:26], v[7:8], v[25:26], s[0:1]
	v_mul_f64 v[25:26], v[7:8], v[25:26]
	v_fma_f64 v[8:9], |v[21:22]|, v[25:26], |v[21:22]|
	s_and_saveexec_b64 s[0:1], vcc
	s_cbranch_execz .LBB40_1671
; %bb.1670:
	v_rsq_f64_e32 v[7:8], v[23:24]
	v_cmp_eq_f64_e32 vcc, 0, v[23:24]
	s_mov_b32 s4, 0x54442d18
	s_mov_b32 s5, 0x3fe921fb
	v_mov_b32_e32 v3, 0x3ff921fb
	v_mov_b32_e32 v13, 0x54442d18
	v_mul_f64 v[27:28], v[23:24], v[7:8]
	v_mul_f64 v[7:8], v[7:8], 0.5
	v_fma_f64 v[29:30], -v[7:8], v[27:28], 0.5
	v_fma_f64 v[27:28], v[27:28], v[29:30], v[27:28]
	v_fma_f64 v[7:8], v[7:8], v[29:30], v[7:8]
	v_fma_f64 v[29:30], -v[27:28], v[27:28], v[23:24]
	v_fma_f64 v[7:8], v[29:30], v[7:8], v[27:28]
	v_cndmask_b32_e32 v8, v8, v24, vcc
	v_cndmask_b32_e32 v7, v7, v23, vcc
	v_add_f64 v[27:28], v[7:8], v[7:8]
	v_mul_f64 v[29:30], v[7:8], v[7:8]
	v_rcp_f64_e32 v[31:32], v[27:28]
	v_add_f64 v[33:34], v[23:24], -v[29:30]
	v_fma_f64 v[37:38], v[7:8], v[7:8], -v[29:30]
	v_add_f64 v[23:24], v[23:24], -v[33:34]
	v_fma_f64 v[35:36], -v[27:28], v[31:32], 1.0
	v_add_f64 v[23:24], v[23:24], -v[29:30]
	v_fma_f64 v[29:30], v[35:36], v[31:32], v[31:32]
	v_add_f64 v[23:24], v[23:24], -v[37:38]
	v_fma_f64 v[31:32], -v[27:28], v[29:30], 1.0
	v_add_f64 v[23:24], v[33:34], v[23:24]
	v_fma_f64 v[29:30], v[31:32], v[29:30], v[29:30]
	v_mul_f64 v[31:32], v[23:24], v[29:30]
	v_fma_f64 v[23:24], -v[27:28], v[31:32], v[23:24]
	v_fma_f64 v[23:24], v[23:24], v[29:30], v[31:32]
	v_cndmask_b32_e64 v24, v24, 0, vcc
	v_cndmask_b32_e64 v23, v23, 0, vcc
	v_add_f64 v[27:28], v[7:8], v[23:24]
	v_cmp_neq_f64_e64 vcc, |v[21:22]|, 1.0
	v_add_f64 v[7:8], v[27:28], -v[7:8]
	v_mul_f64 v[29:30], v[25:26], v[27:28]
	v_add_f64 v[7:8], v[23:24], -v[7:8]
	v_fma_f64 v[23:24], v[27:28], v[25:26], -v[29:30]
	v_fma_f64 v[23:24], v[7:8], v[25:26], v[23:24]
	v_add_f64 v[25:26], v[29:30], v[23:24]
	v_add_f64 v[31:32], v[27:28], v[25:26]
	v_add_f64 v[29:30], v[25:26], -v[29:30]
	v_add_f64 v[27:28], v[31:32], -v[27:28]
	;; [unrolled: 1-line block ×4, first 2 shown]
	v_add_f64 v[7:8], v[7:8], v[23:24]
	v_add_f64 v[7:8], v[7:8], v[25:26]
	;; [unrolled: 1-line block ×3, first 2 shown]
	v_add_f64 v[25:26], -v[23:24], s[4:5]
	v_add_f64 v[29:30], v[23:24], -v[31:32]
	v_add_f64 v[27:28], -v[25:26], s[4:5]
	s_mov_b32 s4, 0x33145c07
	s_mov_b32 s5, 0x3c81a626
	v_add_f64 v[7:8], v[29:30], -v[7:8]
	v_add_f64 v[23:24], v[27:28], -v[23:24]
	v_add_f64 v[23:24], v[23:24], s[4:5]
	v_add_f64 v[7:8], v[7:8], v[23:24]
	v_add_f64 v[7:8], v[25:26], v[7:8]
	v_add_f64 v[7:8], v[7:8], v[7:8]
	v_cndmask_b32_e32 v9, v3, v8, vcc
	v_cndmask_b32_e32 v8, v13, v7, vcc
.LBB40_1671:
	s_or_b64 exec, exec, s[0:1]
	s_bfe_u32 s14, s16, 0x80008
	s_brev_b32 s0, -2
	v_mov_b32_e32 v3, s9
	v_add_co_u32_e32 v15, vcc, s8, v2
	v_bfi_b32 v1, s0, v1, v16
	s_cmp_lt_i32 s14, 11
	v_addc_co_u32_e32 v16, vcc, 0, v3, vcc
	s_cbranch_scc1 .LBB40_1749
; %bb.1672:
	s_and_b32 s15, 0xffff, s14
	s_mov_b64 s[10:11], -1
	s_mov_b64 s[4:5], 0
	s_cmp_gt_i32 s15, 25
	s_mov_b64 s[6:7], 0
	s_mov_b64 s[0:1], 0
	s_cbranch_scc0 .LBB40_1705
; %bb.1673:
	s_cmp_gt_i32 s15, 28
	s_cbranch_scc0 .LBB40_1688
; %bb.1674:
	s_cmp_gt_i32 s15, 43
	;; [unrolled: 3-line block ×3, first 2 shown]
	s_cbranch_scc0 .LBB40_1678
; %bb.1676:
	s_mov_b64 s[0:1], -1
	s_mov_b64 s[10:11], 0
	s_cmp_eq_u32 s15, 46
	s_cbranch_scc0 .LBB40_1678
; %bb.1677:
	v_cvt_f32_f64_e32 v2, v[0:1]
	s_movk_i32 s0, 0x7fff
	v_mov_b32_e32 v3, 0x7fc0
	s_mov_b64 s[6:7], -1
	v_bfe_u32 v7, v2, 16, 1
	v_cmp_o_f32_e32 vcc, v2, v2
	v_add3_u32 v2, v2, v7, s0
	v_cndmask_b32_sdwa v2, v3, v2, vcc dst_sel:DWORD dst_unused:UNUSED_PAD src0_sel:DWORD src1_sel:WORD_1
	global_store_dword v[15:16], v2, off
	s_mov_b64 s[0:1], 0
.LBB40_1678:
	s_and_b64 vcc, exec, s[10:11]
	s_cbranch_vccz .LBB40_1683
; %bb.1679:
	s_cmp_eq_u32 s15, 44
	s_mov_b64 s[0:1], -1
	s_cbranch_scc0 .LBB40_1683
; %bb.1680:
	v_cvt_f32_f64_e32 v2, v[0:1]
	s_movk_i32 s0, 0xff
	v_mov_b32_e32 v7, 0xff
	v_bfe_u32 v3, v2, 23, 8
	v_cmp_ne_u32_e32 vcc, s0, v3
	s_and_saveexec_b64 s[6:7], vcc
; %bb.1681:
	s_mov_b32 s0, 0x3fffff
	v_lshrrev_b32_e32 v7, 23, v2
	v_and_b32_e32 v13, 0x400000, v2
	v_and_or_b32 v2, v2, s0, v3
	v_cmp_ne_u32_e32 vcc, 0, v13
	v_cmp_ne_u32_e64 s[0:1], 0, v2
	s_and_b64 s[0:1], vcc, s[0:1]
	v_cndmask_b32_e64 v2, 0, 1, s[0:1]
	v_add_u32_e32 v7, v7, v2
; %bb.1682:
	s_or_b64 exec, exec, s[6:7]
	s_mov_b64 s[0:1], 0
	s_mov_b64 s[6:7], -1
	global_store_byte v[15:16], v7, off
.LBB40_1683:
	s_mov_b64 s[10:11], 0
.LBB40_1684:
	s_and_b64 vcc, exec, s[10:11]
	s_cbranch_vccz .LBB40_1687
; %bb.1685:
	s_cmp_eq_u32 s15, 29
	s_mov_b64 s[0:1], -1
	s_cbranch_scc0 .LBB40_1687
; %bb.1686:
	v_trunc_f64_e32 v[2:3], v[0:1]
	s_movk_i32 s0, 0xffe0
	s_mov_b64 s[6:7], -1
	v_ldexp_f64 v[23:24], v[2:3], s0
	s_mov_b32 s0, 0
	s_mov_b32 s1, 0xc1f00000
	v_floor_f64_e32 v[23:24], v[23:24]
	v_fma_f64 v[2:3], v[23:24], s[0:1], v[2:3]
	v_cvt_u32_f64_e32 v24, v[23:24]
	s_mov_b64 s[0:1], 0
	v_cvt_u32_f64_e32 v23, v[2:3]
	global_store_dwordx2 v[15:16], v[23:24], off
.LBB40_1687:
	s_mov_b64 s[10:11], 0
.LBB40_1688:
	s_and_b64 vcc, exec, s[10:11]
	s_cbranch_vccz .LBB40_1704
; %bb.1689:
	s_cmp_lt_i32 s15, 27
	s_mov_b64 s[6:7], -1
	s_cbranch_scc1 .LBB40_1695
; %bb.1690:
	v_cvt_u32_f64_e32 v2, v[0:1]
	s_cmp_gt_i32 s15, 27
	s_cbranch_scc0 .LBB40_1692
; %bb.1691:
	s_mov_b64 s[6:7], 0
	global_store_dword v[15:16], v2, off
.LBB40_1692:
	s_andn2_b64 vcc, exec, s[6:7]
	s_cbranch_vccnz .LBB40_1694
; %bb.1693:
	global_store_short v[15:16], v2, off
.LBB40_1694:
	s_mov_b64 s[6:7], 0
.LBB40_1695:
	s_andn2_b64 vcc, exec, s[6:7]
	s_cbranch_vccnz .LBB40_1703
; %bb.1696:
	v_cvt_f32_f64_e32 v2, v[0:1]
	s_mov_b32 s6, 0x43800000
	v_mov_b32_e32 v7, 0x80
	v_and_b32_e32 v3, 0x7fffffff, v2
	v_cmp_gt_u32_e32 vcc, s6, v3
	s_and_saveexec_b64 s[6:7], vcc
	s_cbranch_execz .LBB40_1702
; %bb.1697:
	s_mov_b32 s10, 0x3bffffff
	v_cmp_lt_u32_e32 vcc, s10, v3
	s_mov_b64 s[10:11], 0
                                        ; implicit-def: $vgpr3
	s_and_saveexec_b64 s[12:13], vcc
	s_xor_b64 s[12:13], exec, s[12:13]
	s_cbranch_execz .LBB40_2151
; %bb.1698:
	v_bfe_u32 v3, v2, 20, 1
	s_mov_b32 s17, 0x487ffff
	v_add3_u32 v3, v2, v3, s17
	s_mov_b64 s[10:11], exec
	v_lshrrev_b32_e32 v3, 20, v3
	s_andn2_saveexec_b64 s[12:13], s[12:13]
	s_cbranch_execnz .LBB40_2152
.LBB40_1699:
	s_or_b64 exec, exec, s[12:13]
	v_mov_b32_e32 v7, 0
	s_and_saveexec_b64 s[12:13], s[10:11]
.LBB40_1700:
	v_lshrrev_b32_e32 v2, 24, v2
	s_movk_i32 s10, 0x80
	v_and_or_b32 v7, v2, s10, v3
.LBB40_1701:
	s_or_b64 exec, exec, s[12:13]
.LBB40_1702:
	s_or_b64 exec, exec, s[6:7]
	global_store_byte v[15:16], v7, off
.LBB40_1703:
	s_mov_b64 s[6:7], -1
.LBB40_1704:
	s_mov_b64 s[10:11], 0
.LBB40_1705:
	s_and_b64 vcc, exec, s[10:11]
	s_cbranch_vccz .LBB40_1745
; %bb.1706:
	s_cmp_gt_i32 s15, 22
	s_mov_b64 s[4:5], -1
	s_cbranch_scc0 .LBB40_1738
; %bb.1707:
	s_cmp_lt_i32 s15, 24
	s_cbranch_scc1 .LBB40_1727
; %bb.1708:
	s_cmp_gt_i32 s15, 24
	s_cbranch_scc0 .LBB40_1716
; %bb.1709:
	v_cvt_f32_f64_e32 v2, v[0:1]
	s_mov_b32 s4, 0x47800000
	v_mov_b32_e32 v7, 0x80
	v_and_b32_e32 v3, 0x7fffffff, v2
	v_cmp_gt_u32_e32 vcc, s4, v3
	s_and_saveexec_b64 s[4:5], vcc
	s_cbranch_execz .LBB40_1715
; %bb.1710:
	s_mov_b32 s6, 0x37ffffff
	v_cmp_lt_u32_e32 vcc, s6, v3
	s_mov_b64 s[6:7], 0
                                        ; implicit-def: $vgpr3
	s_and_saveexec_b64 s[10:11], vcc
	s_xor_b64 s[10:11], exec, s[10:11]
	s_cbranch_execz .LBB40_2154
; %bb.1711:
	v_bfe_u32 v3, v2, 21, 1
	s_mov_b32 s12, 0x88fffff
	v_add3_u32 v3, v2, v3, s12
	s_mov_b64 s[6:7], exec
	v_lshrrev_b32_e32 v3, 21, v3
	s_andn2_saveexec_b64 s[10:11], s[10:11]
	s_cbranch_execnz .LBB40_2155
.LBB40_1712:
	s_or_b64 exec, exec, s[10:11]
	v_mov_b32_e32 v7, 0
	s_and_saveexec_b64 s[10:11], s[6:7]
.LBB40_1713:
	v_lshrrev_b32_e32 v2, 24, v2
	s_movk_i32 s6, 0x80
	v_and_or_b32 v7, v2, s6, v3
.LBB40_1714:
	s_or_b64 exec, exec, s[10:11]
.LBB40_1715:
	s_or_b64 exec, exec, s[4:5]
	s_mov_b64 s[4:5], 0
	global_store_byte v[15:16], v7, off
.LBB40_1716:
	s_and_b64 vcc, exec, s[4:5]
	s_cbranch_vccz .LBB40_1726
; %bb.1717:
	v_cvt_f32_f64_e32 v2, v[0:1]
	s_mov_b32 s4, 0x43f00000
                                        ; implicit-def: $vgpr3
	v_and_b32_e32 v7, 0x7fffffff, v2
	v_cmp_gt_u32_e32 vcc, s4, v7
	s_and_saveexec_b64 s[4:5], vcc
	s_xor_b64 s[4:5], exec, s[4:5]
	s_cbranch_execz .LBB40_1723
; %bb.1718:
	s_mov_b32 s6, 0x3c7fffff
	v_cmp_lt_u32_e32 vcc, s6, v7
                                        ; implicit-def: $vgpr3
	s_and_saveexec_b64 s[6:7], vcc
	s_xor_b64 s[6:7], exec, s[6:7]
; %bb.1719:
	v_bfe_u32 v3, v2, 20, 1
	s_mov_b32 s10, 0x407ffff
	v_add3_u32 v3, v2, v3, s10
	v_lshrrev_b32_e32 v7, 20, v3
	v_and_b32_e32 v3, 0xff00000, v3
	s_mov_b32 s10, 0x7f00000
	v_mov_b32_e32 v13, 0x7e
	v_cmp_ne_u32_e32 vcc, s10, v3
	v_cndmask_b32_e32 v3, v13, v7, vcc
; %bb.1720:
	s_andn2_saveexec_b64 s[6:7], s[6:7]
; %bb.1721:
	s_mov_b32 s10, 0x46800000
	v_add_f32_e64 v3, |v2|, s10
; %bb.1722:
	s_or_b64 exec, exec, s[6:7]
                                        ; implicit-def: $vgpr7
.LBB40_1723:
	s_andn2_saveexec_b64 s[4:5], s[4:5]
; %bb.1724:
	s_mov_b32 s6, 0x7f800000
	v_mov_b32_e32 v3, 0x7e
	v_mov_b32_e32 v13, 0x7f
	v_cmp_lt_u32_e32 vcc, s6, v7
	v_cndmask_b32_e32 v3, v3, v13, vcc
; %bb.1725:
	s_or_b64 exec, exec, s[4:5]
	v_lshrrev_b32_e32 v2, 24, v2
	s_movk_i32 s4, 0x80
	v_and_or_b32 v2, v2, s4, v3
	global_store_byte v[15:16], v2, off
.LBB40_1726:
	s_mov_b64 s[4:5], 0
.LBB40_1727:
	s_andn2_b64 vcc, exec, s[4:5]
	s_cbranch_vccnz .LBB40_1737
; %bb.1728:
	v_cvt_f32_f64_e32 v2, v[0:1]
	s_mov_b32 s4, 0x47800000
                                        ; implicit-def: $vgpr3
	v_and_b32_e32 v7, 0x7fffffff, v2
	v_cmp_gt_u32_e32 vcc, s4, v7
	s_and_saveexec_b64 s[4:5], vcc
	s_xor_b64 s[4:5], exec, s[4:5]
	s_cbranch_execz .LBB40_1734
; %bb.1729:
	s_mov_b32 s6, 0x387fffff
	v_cmp_lt_u32_e32 vcc, s6, v7
                                        ; implicit-def: $vgpr3
	s_and_saveexec_b64 s[6:7], vcc
	s_xor_b64 s[6:7], exec, s[6:7]
; %bb.1730:
	v_bfe_u32 v3, v2, 21, 1
	s_mov_b32 s10, 0x80fffff
	v_add3_u32 v3, v2, v3, s10
	v_lshrrev_b32_e32 v3, 21, v3
; %bb.1731:
	s_andn2_saveexec_b64 s[6:7], s[6:7]
; %bb.1732:
	s_mov_b32 s10, 0x43000000
	v_add_f32_e64 v3, |v2|, s10
; %bb.1733:
	s_or_b64 exec, exec, s[6:7]
                                        ; implicit-def: $vgpr7
.LBB40_1734:
	s_andn2_saveexec_b64 s[4:5], s[4:5]
; %bb.1735:
	s_mov_b32 s6, 0x7f800000
	v_mov_b32_e32 v3, 0x7c
	v_mov_b32_e32 v13, 0x7f
	v_cmp_lt_u32_e32 vcc, s6, v7
	v_cndmask_b32_e32 v3, v3, v13, vcc
; %bb.1736:
	s_or_b64 exec, exec, s[4:5]
	v_lshrrev_b32_e32 v2, 24, v2
	s_movk_i32 s4, 0x80
	v_and_or_b32 v2, v2, s4, v3
	global_store_byte v[15:16], v2, off
.LBB40_1737:
	s_mov_b64 s[4:5], 0
	s_mov_b64 s[6:7], -1
.LBB40_1738:
	s_andn2_b64 vcc, exec, s[4:5]
	s_mov_b64 s[4:5], 0
	s_cbranch_vccnz .LBB40_1745
; %bb.1739:
	s_cmp_gt_i32 s15, 14
	s_mov_b64 s[10:11], -1
	s_cbranch_scc0 .LBB40_1743
; %bb.1740:
	s_cmp_eq_u32 s15, 15
	s_mov_b64 s[0:1], -1
	s_cbranch_scc0 .LBB40_1742
; %bb.1741:
	v_cvt_f32_f64_e32 v2, v[0:1]
	s_movk_i32 s0, 0x7fff
	v_mov_b32_e32 v3, 0x7fc0
	s_mov_b64 s[6:7], -1
	v_bfe_u32 v7, v2, 16, 1
	v_cmp_o_f32_e32 vcc, v2, v2
	v_add3_u32 v2, v2, v7, s0
	v_cndmask_b32_sdwa v2, v3, v2, vcc dst_sel:DWORD dst_unused:UNUSED_PAD src0_sel:DWORD src1_sel:WORD_1
	global_store_short v[15:16], v2, off
	s_mov_b64 s[0:1], 0
.LBB40_1742:
	s_mov_b64 s[10:11], 0
.LBB40_1743:
	s_and_b64 vcc, exec, s[10:11]
	s_cbranch_vccz .LBB40_1745
; %bb.1744:
	s_cmp_lg_u32 s15, 11
	s_mov_b64 s[4:5], -1
	s_cselect_b64 s[0:1], -1, 0
.LBB40_1745:
	s_and_b64 vcc, exec, s[0:1]
	s_cbranch_vccnz .LBB40_2153
; %bb.1746:
	s_andn2_b64 vcc, exec, s[4:5]
	s_cbranch_vccnz .LBB40_1748
.LBB40_1747:
	v_cmp_neq_f64_e32 vcc, 0, v[0:1]
	s_mov_b64 s[6:7], -1
	v_cndmask_b32_e64 v2, 0, 1, vcc
	global_store_byte v[15:16], v2, off
.LBB40_1748:
	s_mov_b64 s[0:1], 0
	s_branch .LBB40_1750
.LBB40_1749:
	s_mov_b64 s[0:1], -1
	s_mov_b64 s[6:7], 0
.LBB40_1750:
	s_and_b64 vcc, exec, s[0:1]
	s_cbranch_vccz .LBB40_1789
; %bb.1751:
	s_and_b32 s4, 0xffff, s14
	s_cmp_lt_i32 s4, 5
	s_mov_b64 s[0:1], -1
	s_cbranch_scc1 .LBB40_1772
; %bb.1752:
	s_cmp_lt_i32 s4, 8
	s_cbranch_scc1 .LBB40_1762
; %bb.1753:
	s_cmp_lt_i32 s4, 9
	s_cbranch_scc1 .LBB40_1759
; %bb.1754:
	s_cmp_gt_i32 s4, 9
	s_cbranch_scc0 .LBB40_1756
; %bb.1755:
	v_mov_b32_e32 v2, 0
	v_mov_b32_e32 v3, v2
	global_store_dwordx4 v[15:16], v[0:3], off
	s_mov_b64 s[0:1], 0
.LBB40_1756:
	s_andn2_b64 vcc, exec, s[0:1]
	s_cbranch_vccnz .LBB40_1758
; %bb.1757:
	v_cvt_f32_f64_e32 v2, v[0:1]
	v_mov_b32_e32 v3, 0
	global_store_dwordx2 v[15:16], v[2:3], off
.LBB40_1758:
	s_mov_b64 s[0:1], 0
.LBB40_1759:
	s_andn2_b64 vcc, exec, s[0:1]
	s_cbranch_vccnz .LBB40_1761
; %bb.1760:
	s_movk_i32 s0, 0x1ff
	v_and_or_b32 v2, v1, s0, v0
	v_cmp_ne_u32_e32 vcc, 0, v2
	v_cndmask_b32_e64 v2, 0, 1, vcc
	v_lshrrev_b32_e32 v3, 8, v1
	s_movk_i32 s0, 0xffe
	v_bfe_u32 v7, v1, 20, 11
	v_and_or_b32 v2, v3, s0, v2
	v_sub_u32_e32 v13, 0x3f1, v7
	v_or_b32_e32 v3, 0x1000, v2
	v_med3_i32 v13, v13, 0, 13
	v_lshrrev_b32_e32 v17, v13, v3
	v_lshlrev_b32_e32 v13, v13, v17
	v_cmp_ne_u32_e32 vcc, v13, v3
	v_cndmask_b32_e64 v3, 0, 1, vcc
	v_add_u32_e32 v7, 0xfffffc10, v7
	v_or_b32_e32 v3, v17, v3
	v_lshl_or_b32 v13, v7, 12, v2
	v_cmp_gt_i32_e32 vcc, 1, v7
	v_cndmask_b32_e32 v3, v13, v3, vcc
	v_and_b32_e32 v13, 7, v3
	v_cmp_lt_i32_e32 vcc, 5, v13
	v_cndmask_b32_e64 v17, 0, 1, vcc
	v_cmp_eq_u32_e32 vcc, 3, v13
	v_cndmask_b32_e64 v13, 0, 1, vcc
	v_or_b32_e32 v13, v13, v17
	v_lshrrev_b32_e32 v3, 2, v3
	v_add_u32_e32 v3, v3, v13
	v_mov_b32_e32 v13, 0x7c00
	v_cmp_gt_i32_e32 vcc, 31, v7
	v_cndmask_b32_e32 v3, v13, v3, vcc
	v_mov_b32_e32 v17, 0x7e00
	v_cmp_ne_u32_e32 vcc, 0, v2
	s_movk_i32 s0, 0x40f
	v_cndmask_b32_e32 v2, v13, v17, vcc
	v_cmp_eq_u32_e32 vcc, s0, v7
	v_cndmask_b32_e32 v2, v3, v2, vcc
	v_lshrrev_b32_e32 v3, 16, v1
	s_mov_b32 s0, 0x8000
	v_and_or_b32 v2, v3, s0, v2
	v_and_b32_e32 v2, 0xffff, v2
	global_store_dword v[15:16], v2, off
.LBB40_1761:
	s_mov_b64 s[0:1], 0
.LBB40_1762:
	s_andn2_b64 vcc, exec, s[0:1]
	s_cbranch_vccnz .LBB40_1771
; %bb.1763:
	s_cmp_lt_i32 s4, 6
	s_mov_b64 s[0:1], -1
	s_cbranch_scc1 .LBB40_1769
; %bb.1764:
	s_cmp_gt_i32 s4, 6
	s_cbranch_scc0 .LBB40_1766
; %bb.1765:
	global_store_dwordx2 v[15:16], v[0:1], off
	s_mov_b64 s[0:1], 0
.LBB40_1766:
	s_andn2_b64 vcc, exec, s[0:1]
	s_cbranch_vccnz .LBB40_1768
; %bb.1767:
	v_cvt_f32_f64_e32 v2, v[0:1]
	global_store_dword v[15:16], v2, off
.LBB40_1768:
	s_mov_b64 s[0:1], 0
.LBB40_1769:
	s_andn2_b64 vcc, exec, s[0:1]
	s_cbranch_vccnz .LBB40_1771
; %bb.1770:
	s_movk_i32 s0, 0x1ff
	v_and_or_b32 v2, v1, s0, v0
	v_cmp_ne_u32_e32 vcc, 0, v2
	v_cndmask_b32_e64 v2, 0, 1, vcc
	v_lshrrev_b32_e32 v3, 8, v1
	s_movk_i32 s0, 0xffe
	v_bfe_u32 v7, v1, 20, 11
	v_and_or_b32 v2, v3, s0, v2
	v_sub_u32_e32 v13, 0x3f1, v7
	v_or_b32_e32 v3, 0x1000, v2
	v_med3_i32 v13, v13, 0, 13
	v_lshrrev_b32_e32 v17, v13, v3
	v_lshlrev_b32_e32 v13, v13, v17
	v_cmp_ne_u32_e32 vcc, v13, v3
	v_cndmask_b32_e64 v3, 0, 1, vcc
	v_add_u32_e32 v7, 0xfffffc10, v7
	v_or_b32_e32 v3, v17, v3
	v_lshl_or_b32 v13, v7, 12, v2
	v_cmp_gt_i32_e32 vcc, 1, v7
	v_cndmask_b32_e32 v3, v13, v3, vcc
	v_and_b32_e32 v13, 7, v3
	v_cmp_lt_i32_e32 vcc, 5, v13
	v_cndmask_b32_e64 v17, 0, 1, vcc
	v_cmp_eq_u32_e32 vcc, 3, v13
	v_cndmask_b32_e64 v13, 0, 1, vcc
	v_or_b32_e32 v13, v13, v17
	v_lshrrev_b32_e32 v3, 2, v3
	v_add_u32_e32 v3, v3, v13
	v_mov_b32_e32 v13, 0x7c00
	v_cmp_gt_i32_e32 vcc, 31, v7
	v_cndmask_b32_e32 v3, v13, v3, vcc
	v_mov_b32_e32 v17, 0x7e00
	v_cmp_ne_u32_e32 vcc, 0, v2
	s_movk_i32 s0, 0x40f
	v_cndmask_b32_e32 v2, v13, v17, vcc
	v_cmp_eq_u32_e32 vcc, s0, v7
	v_cndmask_b32_e32 v2, v3, v2, vcc
	v_lshrrev_b32_e32 v3, 16, v1
	s_mov_b32 s0, 0x8000
	v_and_or_b32 v2, v3, s0, v2
	global_store_short v[15:16], v2, off
.LBB40_1771:
	s_mov_b64 s[0:1], 0
.LBB40_1772:
	s_andn2_b64 vcc, exec, s[0:1]
	s_cbranch_vccnz .LBB40_1788
; %bb.1773:
	s_cmp_lt_i32 s4, 2
	s_mov_b64 s[0:1], -1
	s_cbranch_scc1 .LBB40_1783
; %bb.1774:
	s_cmp_lt_i32 s4, 3
	s_cbranch_scc1 .LBB40_1780
; %bb.1775:
	s_cmp_gt_i32 s4, 3
	s_cbranch_scc0 .LBB40_1777
; %bb.1776:
	v_trunc_f64_e32 v[2:3], v[0:1]
	s_movk_i32 s0, 0xffe0
	v_ldexp_f64 v[23:24], v[2:3], s0
	s_mov_b32 s0, 0
	s_mov_b32 s1, 0xc1f00000
	v_floor_f64_e32 v[23:24], v[23:24]
	v_fma_f64 v[2:3], v[23:24], s[0:1], v[2:3]
	v_cvt_i32_f64_e32 v24, v[23:24]
	s_mov_b64 s[0:1], 0
	v_cvt_u32_f64_e32 v23, v[2:3]
	global_store_dwordx2 v[15:16], v[23:24], off
.LBB40_1777:
	s_andn2_b64 vcc, exec, s[0:1]
	s_cbranch_vccnz .LBB40_1779
; %bb.1778:
	v_cvt_i32_f64_e32 v2, v[0:1]
	global_store_dword v[15:16], v2, off
.LBB40_1779:
	s_mov_b64 s[0:1], 0
.LBB40_1780:
	s_andn2_b64 vcc, exec, s[0:1]
	s_cbranch_vccnz .LBB40_1782
; %bb.1781:
	v_cvt_i32_f64_e32 v2, v[0:1]
	global_store_short v[15:16], v2, off
.LBB40_1782:
	s_mov_b64 s[0:1], 0
.LBB40_1783:
	s_andn2_b64 vcc, exec, s[0:1]
	s_cbranch_vccnz .LBB40_1788
; %bb.1784:
	s_cmp_gt_i32 s4, 0
	s_mov_b64 s[0:1], -1
	s_cbranch_scc0 .LBB40_1786
; %bb.1785:
	v_cvt_i32_f64_e32 v2, v[0:1]
	s_mov_b64 s[0:1], 0
	global_store_byte v[15:16], v2, off
.LBB40_1786:
	s_andn2_b64 vcc, exec, s[0:1]
	s_cbranch_vccnz .LBB40_1788
; %bb.1787:
	v_trunc_f64_e32 v[0:1], v[0:1]
	s_movk_i32 s0, 0xffe0
	v_ldexp_f64 v[2:3], v[0:1], s0
	s_mov_b32 s0, 0
	s_mov_b32 s1, 0xc1f00000
	v_floor_f64_e32 v[2:3], v[2:3]
	v_fma_f64 v[0:1], v[2:3], s[0:1], v[0:1]
	v_cvt_u32_f64_e32 v0, v[0:1]
	global_store_byte v[15:16], v0, off
.LBB40_1788:
	s_mov_b64 s[6:7], -1
.LBB40_1789:
	s_andn2_b64 vcc, exec, s[6:7]
	s_cbranch_vccnz .LBB40_2104
; %bb.1790:
	s_lshr_b32 s0, s16, 8
	s_and_b32 s14, s0, 0xff
	s_brev_b32 s0, -2
	v_mov_b32_e32 v1, s9
	v_add_co_u32_e32 v0, vcc, s8, v6
	v_bfi_b32 v5, s0, v5, v18
	s_cmp_lt_i32 s14, 11
	v_addc_co_u32_e32 v1, vcc, 0, v1, vcc
	s_cbranch_scc1 .LBB40_1868
; %bb.1791:
	s_and_b32 s15, 0xffff, s14
	s_mov_b64 s[10:11], -1
	s_mov_b64 s[4:5], 0
	s_cmp_gt_i32 s15, 25
	s_mov_b64 s[6:7], 0
	s_mov_b64 s[0:1], 0
	s_cbranch_scc0 .LBB40_1824
; %bb.1792:
	s_cmp_gt_i32 s15, 28
	s_cbranch_scc0 .LBB40_1807
; %bb.1793:
	s_cmp_gt_i32 s15, 43
	;; [unrolled: 3-line block ×3, first 2 shown]
	s_cbranch_scc0 .LBB40_1797
; %bb.1795:
	s_mov_b64 s[0:1], -1
	s_mov_b64 s[10:11], 0
	s_cmp_eq_u32 s15, 46
	s_cbranch_scc0 .LBB40_1797
; %bb.1796:
	v_cvt_f32_f64_e32 v2, v[4:5]
	s_movk_i32 s0, 0x7fff
	v_mov_b32_e32 v3, 0x7fc0
	s_mov_b64 s[6:7], -1
	v_bfe_u32 v6, v2, 16, 1
	v_cmp_o_f32_e32 vcc, v2, v2
	v_add3_u32 v2, v2, v6, s0
	v_cndmask_b32_sdwa v2, v3, v2, vcc dst_sel:DWORD dst_unused:UNUSED_PAD src0_sel:DWORD src1_sel:WORD_1
	global_store_dword v[0:1], v2, off
	s_mov_b64 s[0:1], 0
.LBB40_1797:
	s_and_b64 vcc, exec, s[10:11]
	s_cbranch_vccz .LBB40_1802
; %bb.1798:
	s_cmp_eq_u32 s15, 44
	s_mov_b64 s[0:1], -1
	s_cbranch_scc0 .LBB40_1802
; %bb.1799:
	v_cvt_f32_f64_e32 v2, v[4:5]
	s_movk_i32 s0, 0xff
	v_mov_b32_e32 v6, 0xff
	v_bfe_u32 v3, v2, 23, 8
	v_cmp_ne_u32_e32 vcc, s0, v3
	s_and_saveexec_b64 s[6:7], vcc
; %bb.1800:
	s_mov_b32 s0, 0x3fffff
	v_lshrrev_b32_e32 v6, 23, v2
	v_and_b32_e32 v7, 0x400000, v2
	v_and_or_b32 v2, v2, s0, v3
	v_cmp_ne_u32_e32 vcc, 0, v7
	v_cmp_ne_u32_e64 s[0:1], 0, v2
	s_and_b64 s[0:1], vcc, s[0:1]
	v_cndmask_b32_e64 v2, 0, 1, s[0:1]
	v_add_u32_e32 v6, v6, v2
; %bb.1801:
	s_or_b64 exec, exec, s[6:7]
	s_mov_b64 s[0:1], 0
	s_mov_b64 s[6:7], -1
	global_store_byte v[0:1], v6, off
.LBB40_1802:
	s_mov_b64 s[10:11], 0
.LBB40_1803:
	s_and_b64 vcc, exec, s[10:11]
	s_cbranch_vccz .LBB40_1806
; %bb.1804:
	s_cmp_eq_u32 s15, 29
	s_mov_b64 s[0:1], -1
	s_cbranch_scc0 .LBB40_1806
; %bb.1805:
	v_trunc_f64_e32 v[2:3], v[4:5]
	s_movk_i32 s0, 0xffe0
	s_mov_b64 s[6:7], -1
	v_ldexp_f64 v[6:7], v[2:3], s0
	s_mov_b32 s0, 0
	s_mov_b32 s1, 0xc1f00000
	v_floor_f64_e32 v[6:7], v[6:7]
	v_fma_f64 v[2:3], v[6:7], s[0:1], v[2:3]
	v_cvt_u32_f64_e32 v7, v[6:7]
	s_mov_b64 s[0:1], 0
	v_cvt_u32_f64_e32 v6, v[2:3]
	global_store_dwordx2 v[0:1], v[6:7], off
.LBB40_1806:
	s_mov_b64 s[10:11], 0
.LBB40_1807:
	s_and_b64 vcc, exec, s[10:11]
	s_cbranch_vccz .LBB40_1823
; %bb.1808:
	s_cmp_lt_i32 s15, 27
	s_mov_b64 s[6:7], -1
	s_cbranch_scc1 .LBB40_1814
; %bb.1809:
	s_cmp_gt_i32 s15, 27
	s_cbranch_scc0 .LBB40_1811
; %bb.1810:
	v_cvt_u32_f64_e32 v2, v[4:5]
	s_mov_b64 s[6:7], 0
	global_store_dword v[0:1], v2, off
.LBB40_1811:
	s_andn2_b64 vcc, exec, s[6:7]
	s_cbranch_vccnz .LBB40_1813
; %bb.1812:
	v_cvt_u32_f64_e32 v2, v[4:5]
	global_store_short v[0:1], v2, off
.LBB40_1813:
	s_mov_b64 s[6:7], 0
.LBB40_1814:
	s_andn2_b64 vcc, exec, s[6:7]
	s_cbranch_vccnz .LBB40_1822
; %bb.1815:
	v_cvt_f32_f64_e32 v2, v[4:5]
	s_mov_b32 s6, 0x43800000
	v_mov_b32_e32 v6, 0x80
	v_and_b32_e32 v3, 0x7fffffff, v2
	v_cmp_gt_u32_e32 vcc, s6, v3
	s_and_saveexec_b64 s[6:7], vcc
	s_cbranch_execz .LBB40_1821
; %bb.1816:
	s_mov_b32 s10, 0x3bffffff
	v_cmp_lt_u32_e32 vcc, s10, v3
	s_mov_b64 s[10:11], 0
                                        ; implicit-def: $vgpr3
	s_and_saveexec_b64 s[12:13], vcc
	s_xor_b64 s[12:13], exec, s[12:13]
	s_cbranch_execz .LBB40_2156
; %bb.1817:
	v_bfe_u32 v3, v2, 20, 1
	s_mov_b32 s16, 0x487ffff
	v_add3_u32 v3, v2, v3, s16
	s_mov_b64 s[10:11], exec
	v_lshrrev_b32_e32 v3, 20, v3
	s_andn2_saveexec_b64 s[12:13], s[12:13]
	s_cbranch_execnz .LBB40_2157
.LBB40_1818:
	s_or_b64 exec, exec, s[12:13]
	v_mov_b32_e32 v6, 0
	s_and_saveexec_b64 s[12:13], s[10:11]
.LBB40_1819:
	v_lshrrev_b32_e32 v2, 24, v2
	s_movk_i32 s10, 0x80
	v_and_or_b32 v6, v2, s10, v3
.LBB40_1820:
	s_or_b64 exec, exec, s[12:13]
.LBB40_1821:
	s_or_b64 exec, exec, s[6:7]
	global_store_byte v[0:1], v6, off
.LBB40_1822:
	s_mov_b64 s[6:7], -1
.LBB40_1823:
	s_mov_b64 s[10:11], 0
.LBB40_1824:
	s_and_b64 vcc, exec, s[10:11]
	s_cbranch_vccz .LBB40_1864
; %bb.1825:
	s_cmp_gt_i32 s15, 22
	s_mov_b64 s[4:5], -1
	s_cbranch_scc0 .LBB40_1857
; %bb.1826:
	s_cmp_lt_i32 s15, 24
	s_cbranch_scc1 .LBB40_1846
; %bb.1827:
	s_cmp_gt_i32 s15, 24
	s_cbranch_scc0 .LBB40_1835
; %bb.1828:
	v_cvt_f32_f64_e32 v2, v[4:5]
	s_mov_b32 s4, 0x47800000
	v_mov_b32_e32 v6, 0x80
	v_and_b32_e32 v3, 0x7fffffff, v2
	v_cmp_gt_u32_e32 vcc, s4, v3
	s_and_saveexec_b64 s[4:5], vcc
	s_cbranch_execz .LBB40_1834
; %bb.1829:
	s_mov_b32 s6, 0x37ffffff
	v_cmp_lt_u32_e32 vcc, s6, v3
	s_mov_b64 s[6:7], 0
                                        ; implicit-def: $vgpr3
	s_and_saveexec_b64 s[10:11], vcc
	s_xor_b64 s[10:11], exec, s[10:11]
	s_cbranch_execz .LBB40_2159
; %bb.1830:
	v_bfe_u32 v3, v2, 21, 1
	s_mov_b32 s12, 0x88fffff
	v_add3_u32 v3, v2, v3, s12
	s_mov_b64 s[6:7], exec
	v_lshrrev_b32_e32 v3, 21, v3
	s_andn2_saveexec_b64 s[10:11], s[10:11]
	s_cbranch_execnz .LBB40_2160
.LBB40_1831:
	s_or_b64 exec, exec, s[10:11]
	v_mov_b32_e32 v6, 0
	s_and_saveexec_b64 s[10:11], s[6:7]
.LBB40_1832:
	v_lshrrev_b32_e32 v2, 24, v2
	s_movk_i32 s6, 0x80
	v_and_or_b32 v6, v2, s6, v3
.LBB40_1833:
	s_or_b64 exec, exec, s[10:11]
.LBB40_1834:
	s_or_b64 exec, exec, s[4:5]
	s_mov_b64 s[4:5], 0
	global_store_byte v[0:1], v6, off
.LBB40_1835:
	s_and_b64 vcc, exec, s[4:5]
	s_cbranch_vccz .LBB40_1845
; %bb.1836:
	v_cvt_f32_f64_e32 v2, v[4:5]
	s_mov_b32 s4, 0x43f00000
                                        ; implicit-def: $vgpr3
	v_and_b32_e32 v6, 0x7fffffff, v2
	v_cmp_gt_u32_e32 vcc, s4, v6
	s_and_saveexec_b64 s[4:5], vcc
	s_xor_b64 s[4:5], exec, s[4:5]
	s_cbranch_execz .LBB40_1842
; %bb.1837:
	s_mov_b32 s6, 0x3c7fffff
	v_cmp_lt_u32_e32 vcc, s6, v6
                                        ; implicit-def: $vgpr3
	s_and_saveexec_b64 s[6:7], vcc
	s_xor_b64 s[6:7], exec, s[6:7]
; %bb.1838:
	v_bfe_u32 v3, v2, 20, 1
	s_mov_b32 s10, 0x407ffff
	v_add3_u32 v3, v2, v3, s10
	v_lshrrev_b32_e32 v6, 20, v3
	v_and_b32_e32 v3, 0xff00000, v3
	s_mov_b32 s10, 0x7f00000
	v_mov_b32_e32 v7, 0x7e
	v_cmp_ne_u32_e32 vcc, s10, v3
	v_cndmask_b32_e32 v3, v7, v6, vcc
; %bb.1839:
	s_andn2_saveexec_b64 s[6:7], s[6:7]
; %bb.1840:
	s_mov_b32 s10, 0x46800000
	v_add_f32_e64 v3, |v2|, s10
; %bb.1841:
	s_or_b64 exec, exec, s[6:7]
                                        ; implicit-def: $vgpr6
.LBB40_1842:
	s_andn2_saveexec_b64 s[4:5], s[4:5]
; %bb.1843:
	s_mov_b32 s6, 0x7f800000
	v_mov_b32_e32 v3, 0x7e
	v_mov_b32_e32 v7, 0x7f
	v_cmp_lt_u32_e32 vcc, s6, v6
	v_cndmask_b32_e32 v3, v3, v7, vcc
; %bb.1844:
	s_or_b64 exec, exec, s[4:5]
	v_lshrrev_b32_e32 v2, 24, v2
	s_movk_i32 s4, 0x80
	v_and_or_b32 v2, v2, s4, v3
	global_store_byte v[0:1], v2, off
.LBB40_1845:
	s_mov_b64 s[4:5], 0
.LBB40_1846:
	s_andn2_b64 vcc, exec, s[4:5]
	s_cbranch_vccnz .LBB40_1856
; %bb.1847:
	v_cvt_f32_f64_e32 v2, v[4:5]
	s_mov_b32 s4, 0x47800000
                                        ; implicit-def: $vgpr3
	v_and_b32_e32 v6, 0x7fffffff, v2
	v_cmp_gt_u32_e32 vcc, s4, v6
	s_and_saveexec_b64 s[4:5], vcc
	s_xor_b64 s[4:5], exec, s[4:5]
	s_cbranch_execz .LBB40_1853
; %bb.1848:
	s_mov_b32 s6, 0x387fffff
	v_cmp_lt_u32_e32 vcc, s6, v6
                                        ; implicit-def: $vgpr3
	s_and_saveexec_b64 s[6:7], vcc
	s_xor_b64 s[6:7], exec, s[6:7]
; %bb.1849:
	v_bfe_u32 v3, v2, 21, 1
	s_mov_b32 s10, 0x80fffff
	v_add3_u32 v3, v2, v3, s10
	v_lshrrev_b32_e32 v3, 21, v3
; %bb.1850:
	s_andn2_saveexec_b64 s[6:7], s[6:7]
; %bb.1851:
	s_mov_b32 s10, 0x43000000
	v_add_f32_e64 v3, |v2|, s10
; %bb.1852:
	s_or_b64 exec, exec, s[6:7]
                                        ; implicit-def: $vgpr6
.LBB40_1853:
	s_andn2_saveexec_b64 s[4:5], s[4:5]
; %bb.1854:
	s_mov_b32 s6, 0x7f800000
	v_mov_b32_e32 v3, 0x7c
	v_mov_b32_e32 v7, 0x7f
	v_cmp_lt_u32_e32 vcc, s6, v6
	v_cndmask_b32_e32 v3, v3, v7, vcc
; %bb.1855:
	s_or_b64 exec, exec, s[4:5]
	v_lshrrev_b32_e32 v2, 24, v2
	s_movk_i32 s4, 0x80
	v_and_or_b32 v2, v2, s4, v3
	global_store_byte v[0:1], v2, off
.LBB40_1856:
	s_mov_b64 s[4:5], 0
	s_mov_b64 s[6:7], -1
.LBB40_1857:
	s_andn2_b64 vcc, exec, s[4:5]
	s_mov_b64 s[4:5], 0
	s_cbranch_vccnz .LBB40_1864
; %bb.1858:
	s_cmp_gt_i32 s15, 14
	s_mov_b64 s[10:11], -1
	s_cbranch_scc0 .LBB40_1862
; %bb.1859:
	s_cmp_eq_u32 s15, 15
	s_mov_b64 s[0:1], -1
	s_cbranch_scc0 .LBB40_1861
; %bb.1860:
	v_cvt_f32_f64_e32 v2, v[4:5]
	s_movk_i32 s0, 0x7fff
	v_mov_b32_e32 v3, 0x7fc0
	s_mov_b64 s[6:7], -1
	v_bfe_u32 v6, v2, 16, 1
	v_cmp_o_f32_e32 vcc, v2, v2
	v_add3_u32 v2, v2, v6, s0
	v_cndmask_b32_sdwa v2, v3, v2, vcc dst_sel:DWORD dst_unused:UNUSED_PAD src0_sel:DWORD src1_sel:WORD_1
	global_store_short v[0:1], v2, off
	s_mov_b64 s[0:1], 0
.LBB40_1861:
	s_mov_b64 s[10:11], 0
.LBB40_1862:
	s_and_b64 vcc, exec, s[10:11]
	s_cbranch_vccz .LBB40_1864
; %bb.1863:
	s_cmp_lg_u32 s15, 11
	s_mov_b64 s[4:5], -1
	s_cselect_b64 s[0:1], -1, 0
.LBB40_1864:
	s_and_b64 vcc, exec, s[0:1]
	s_cbranch_vccnz .LBB40_2158
; %bb.1865:
	s_andn2_b64 vcc, exec, s[4:5]
	s_cbranch_vccnz .LBB40_1867
.LBB40_1866:
	v_cmp_neq_f64_e32 vcc, 0, v[4:5]
	s_mov_b64 s[6:7], -1
	v_cndmask_b32_e64 v2, 0, 1, vcc
	global_store_byte v[0:1], v2, off
.LBB40_1867:
	s_mov_b64 s[0:1], 0
	s_branch .LBB40_1869
.LBB40_1868:
	s_mov_b64 s[0:1], -1
	s_mov_b64 s[6:7], 0
.LBB40_1869:
	s_and_b64 vcc, exec, s[0:1]
	s_cbranch_vccz .LBB40_1908
; %bb.1870:
	s_and_b32 s4, 0xffff, s14
	s_cmp_lt_i32 s4, 5
	s_mov_b64 s[0:1], -1
	s_cbranch_scc1 .LBB40_1891
; %bb.1871:
	s_cmp_lt_i32 s4, 8
	s_cbranch_scc1 .LBB40_1881
; %bb.1872:
	s_cmp_lt_i32 s4, 9
	s_cbranch_scc1 .LBB40_1878
; %bb.1873:
	s_cmp_gt_i32 s4, 9
	s_cbranch_scc0 .LBB40_1875
; %bb.1874:
	v_mov_b32_e32 v6, 0
	v_mov_b32_e32 v7, v6
	global_store_dwordx4 v[0:1], v[4:7], off
	s_mov_b64 s[0:1], 0
.LBB40_1875:
	s_andn2_b64 vcc, exec, s[0:1]
	s_cbranch_vccnz .LBB40_1877
; %bb.1876:
	v_cvt_f32_f64_e32 v2, v[4:5]
	v_mov_b32_e32 v3, 0
	global_store_dwordx2 v[0:1], v[2:3], off
.LBB40_1877:
	s_mov_b64 s[0:1], 0
.LBB40_1878:
	s_andn2_b64 vcc, exec, s[0:1]
	s_cbranch_vccnz .LBB40_1880
; %bb.1879:
	s_movk_i32 s0, 0x1ff
	v_and_or_b32 v2, v5, s0, v4
	v_cmp_ne_u32_e32 vcc, 0, v2
	v_cndmask_b32_e64 v2, 0, 1, vcc
	v_lshrrev_b32_e32 v3, 8, v5
	s_movk_i32 s0, 0xffe
	v_bfe_u32 v6, v5, 20, 11
	v_and_or_b32 v2, v3, s0, v2
	v_sub_u32_e32 v7, 0x3f1, v6
	v_or_b32_e32 v3, 0x1000, v2
	v_med3_i32 v7, v7, 0, 13
	v_lshrrev_b32_e32 v13, v7, v3
	v_lshlrev_b32_e32 v7, v7, v13
	v_cmp_ne_u32_e32 vcc, v7, v3
	v_cndmask_b32_e64 v3, 0, 1, vcc
	v_add_u32_e32 v6, 0xfffffc10, v6
	v_or_b32_e32 v3, v13, v3
	v_lshl_or_b32 v7, v6, 12, v2
	v_cmp_gt_i32_e32 vcc, 1, v6
	v_cndmask_b32_e32 v3, v7, v3, vcc
	v_and_b32_e32 v7, 7, v3
	v_cmp_lt_i32_e32 vcc, 5, v7
	v_cndmask_b32_e64 v13, 0, 1, vcc
	v_cmp_eq_u32_e32 vcc, 3, v7
	v_cndmask_b32_e64 v7, 0, 1, vcc
	v_or_b32_e32 v7, v7, v13
	v_lshrrev_b32_e32 v3, 2, v3
	v_add_u32_e32 v3, v3, v7
	v_mov_b32_e32 v7, 0x7c00
	v_cmp_gt_i32_e32 vcc, 31, v6
	v_cndmask_b32_e32 v3, v7, v3, vcc
	v_mov_b32_e32 v13, 0x7e00
	v_cmp_ne_u32_e32 vcc, 0, v2
	s_movk_i32 s0, 0x40f
	v_cndmask_b32_e32 v2, v7, v13, vcc
	v_cmp_eq_u32_e32 vcc, s0, v6
	v_cndmask_b32_e32 v2, v3, v2, vcc
	v_lshrrev_b32_e32 v3, 16, v5
	s_mov_b32 s0, 0x8000
	v_and_or_b32 v2, v3, s0, v2
	v_and_b32_e32 v2, 0xffff, v2
	global_store_dword v[0:1], v2, off
.LBB40_1880:
	s_mov_b64 s[0:1], 0
.LBB40_1881:
	s_andn2_b64 vcc, exec, s[0:1]
	s_cbranch_vccnz .LBB40_1890
; %bb.1882:
	s_cmp_lt_i32 s4, 6
	s_mov_b64 s[0:1], -1
	s_cbranch_scc1 .LBB40_1888
; %bb.1883:
	s_cmp_gt_i32 s4, 6
	s_cbranch_scc0 .LBB40_1885
; %bb.1884:
	global_store_dwordx2 v[0:1], v[4:5], off
	s_mov_b64 s[0:1], 0
.LBB40_1885:
	s_andn2_b64 vcc, exec, s[0:1]
	s_cbranch_vccnz .LBB40_1887
; %bb.1886:
	v_cvt_f32_f64_e32 v2, v[4:5]
	global_store_dword v[0:1], v2, off
.LBB40_1887:
	s_mov_b64 s[0:1], 0
.LBB40_1888:
	s_andn2_b64 vcc, exec, s[0:1]
	s_cbranch_vccnz .LBB40_1890
; %bb.1889:
	s_movk_i32 s0, 0x1ff
	v_and_or_b32 v2, v5, s0, v4
	v_cmp_ne_u32_e32 vcc, 0, v2
	v_cndmask_b32_e64 v2, 0, 1, vcc
	v_lshrrev_b32_e32 v3, 8, v5
	s_movk_i32 s0, 0xffe
	v_bfe_u32 v6, v5, 20, 11
	v_and_or_b32 v2, v3, s0, v2
	v_sub_u32_e32 v7, 0x3f1, v6
	v_or_b32_e32 v3, 0x1000, v2
	v_med3_i32 v7, v7, 0, 13
	v_lshrrev_b32_e32 v13, v7, v3
	v_lshlrev_b32_e32 v7, v7, v13
	v_cmp_ne_u32_e32 vcc, v7, v3
	v_cndmask_b32_e64 v3, 0, 1, vcc
	v_add_u32_e32 v6, 0xfffffc10, v6
	v_or_b32_e32 v3, v13, v3
	v_lshl_or_b32 v7, v6, 12, v2
	v_cmp_gt_i32_e32 vcc, 1, v6
	v_cndmask_b32_e32 v3, v7, v3, vcc
	v_and_b32_e32 v7, 7, v3
	v_cmp_lt_i32_e32 vcc, 5, v7
	v_cndmask_b32_e64 v13, 0, 1, vcc
	v_cmp_eq_u32_e32 vcc, 3, v7
	v_cndmask_b32_e64 v7, 0, 1, vcc
	v_or_b32_e32 v7, v7, v13
	v_lshrrev_b32_e32 v3, 2, v3
	v_add_u32_e32 v3, v3, v7
	v_mov_b32_e32 v7, 0x7c00
	v_cmp_gt_i32_e32 vcc, 31, v6
	v_cndmask_b32_e32 v3, v7, v3, vcc
	v_mov_b32_e32 v13, 0x7e00
	v_cmp_ne_u32_e32 vcc, 0, v2
	s_movk_i32 s0, 0x40f
	v_cndmask_b32_e32 v2, v7, v13, vcc
	v_cmp_eq_u32_e32 vcc, s0, v6
	v_cndmask_b32_e32 v2, v3, v2, vcc
	v_lshrrev_b32_e32 v3, 16, v5
	s_mov_b32 s0, 0x8000
	v_and_or_b32 v2, v3, s0, v2
	global_store_short v[0:1], v2, off
.LBB40_1890:
	s_mov_b64 s[0:1], 0
.LBB40_1891:
	s_andn2_b64 vcc, exec, s[0:1]
	s_cbranch_vccnz .LBB40_1907
; %bb.1892:
	s_cmp_lt_i32 s4, 2
	s_mov_b64 s[0:1], -1
	s_cbranch_scc1 .LBB40_1902
; %bb.1893:
	s_cmp_lt_i32 s4, 3
	s_cbranch_scc1 .LBB40_1899
; %bb.1894:
	s_cmp_gt_i32 s4, 3
	s_cbranch_scc0 .LBB40_1896
; %bb.1895:
	v_trunc_f64_e32 v[2:3], v[4:5]
	s_movk_i32 s0, 0xffe0
	v_ldexp_f64 v[6:7], v[2:3], s0
	s_mov_b32 s0, 0
	s_mov_b32 s1, 0xc1f00000
	v_floor_f64_e32 v[6:7], v[6:7]
	v_fma_f64 v[2:3], v[6:7], s[0:1], v[2:3]
	v_cvt_i32_f64_e32 v7, v[6:7]
	s_mov_b64 s[0:1], 0
	v_cvt_u32_f64_e32 v6, v[2:3]
	global_store_dwordx2 v[0:1], v[6:7], off
.LBB40_1896:
	s_andn2_b64 vcc, exec, s[0:1]
	s_cbranch_vccnz .LBB40_1898
; %bb.1897:
	v_cvt_i32_f64_e32 v2, v[4:5]
	global_store_dword v[0:1], v2, off
.LBB40_1898:
	s_mov_b64 s[0:1], 0
.LBB40_1899:
	s_andn2_b64 vcc, exec, s[0:1]
	s_cbranch_vccnz .LBB40_1901
; %bb.1900:
	v_cvt_i32_f64_e32 v2, v[4:5]
	global_store_short v[0:1], v2, off
.LBB40_1901:
	s_mov_b64 s[0:1], 0
.LBB40_1902:
	s_andn2_b64 vcc, exec, s[0:1]
	s_cbranch_vccnz .LBB40_1907
; %bb.1903:
	s_cmp_gt_i32 s4, 0
	s_mov_b64 s[0:1], -1
	s_cbranch_scc0 .LBB40_1905
; %bb.1904:
	v_cvt_i32_f64_e32 v2, v[4:5]
	s_mov_b64 s[0:1], 0
	global_store_byte v[0:1], v2, off
.LBB40_1905:
	s_andn2_b64 vcc, exec, s[0:1]
	s_cbranch_vccnz .LBB40_1907
; %bb.1906:
	v_trunc_f64_e32 v[2:3], v[4:5]
	s_movk_i32 s0, 0xffe0
	v_ldexp_f64 v[4:5], v[2:3], s0
	s_mov_b32 s0, 0
	s_mov_b32 s1, 0xc1f00000
	v_floor_f64_e32 v[4:5], v[4:5]
	v_fma_f64 v[2:3], v[4:5], s[0:1], v[2:3]
	v_cvt_u32_f64_e32 v2, v[2:3]
	global_store_byte v[0:1], v2, off
.LBB40_1907:
	s_mov_b64 s[6:7], -1
.LBB40_1908:
	s_andn2_b64 vcc, exec, s[6:7]
	s_cbranch_vccnz .LBB40_2104
; %bb.1909:
	s_brev_b32 s0, -2
	v_mov_b32_e32 v1, s9
	v_add_co_u32_e32 v0, vcc, s8, v12
	v_bfi_b32 v11, s0, v11, v20
	s_cmp_lt_i32 s14, 11
	v_addc_co_u32_e32 v1, vcc, 0, v1, vcc
	s_cbranch_scc1 .LBB40_1987
; %bb.1910:
	s_and_b32 s15, 0xffff, s14
	s_mov_b64 s[10:11], -1
	s_mov_b64 s[4:5], 0
	s_cmp_gt_i32 s15, 25
	s_mov_b64 s[6:7], 0
	s_mov_b64 s[0:1], 0
	s_cbranch_scc0 .LBB40_1943
; %bb.1911:
	s_cmp_gt_i32 s15, 28
	s_cbranch_scc0 .LBB40_1926
; %bb.1912:
	s_cmp_gt_i32 s15, 43
	;; [unrolled: 3-line block ×3, first 2 shown]
	s_cbranch_scc0 .LBB40_1916
; %bb.1914:
	s_mov_b64 s[0:1], -1
	s_mov_b64 s[10:11], 0
	s_cmp_eq_u32 s15, 46
	s_cbranch_scc0 .LBB40_1916
; %bb.1915:
	v_cvt_f32_f64_e32 v2, v[10:11]
	s_movk_i32 s0, 0x7fff
	v_mov_b32_e32 v3, 0x7fc0
	s_mov_b64 s[6:7], -1
	v_bfe_u32 v4, v2, 16, 1
	v_cmp_o_f32_e32 vcc, v2, v2
	v_add3_u32 v2, v2, v4, s0
	v_cndmask_b32_sdwa v2, v3, v2, vcc dst_sel:DWORD dst_unused:UNUSED_PAD src0_sel:DWORD src1_sel:WORD_1
	global_store_dword v[0:1], v2, off
	s_mov_b64 s[0:1], 0
.LBB40_1916:
	s_and_b64 vcc, exec, s[10:11]
	s_cbranch_vccz .LBB40_1921
; %bb.1917:
	s_cmp_eq_u32 s15, 44
	s_mov_b64 s[0:1], -1
	s_cbranch_scc0 .LBB40_1921
; %bb.1918:
	v_cvt_f32_f64_e32 v2, v[10:11]
	s_movk_i32 s0, 0xff
	v_mov_b32_e32 v4, 0xff
	v_bfe_u32 v3, v2, 23, 8
	v_cmp_ne_u32_e32 vcc, s0, v3
	s_and_saveexec_b64 s[6:7], vcc
; %bb.1919:
	s_mov_b32 s0, 0x3fffff
	v_lshrrev_b32_e32 v4, 23, v2
	v_and_b32_e32 v5, 0x400000, v2
	v_and_or_b32 v2, v2, s0, v3
	v_cmp_ne_u32_e32 vcc, 0, v5
	v_cmp_ne_u32_e64 s[0:1], 0, v2
	s_and_b64 s[0:1], vcc, s[0:1]
	v_cndmask_b32_e64 v2, 0, 1, s[0:1]
	v_add_u32_e32 v4, v4, v2
; %bb.1920:
	s_or_b64 exec, exec, s[6:7]
	s_mov_b64 s[0:1], 0
	s_mov_b64 s[6:7], -1
	global_store_byte v[0:1], v4, off
.LBB40_1921:
	s_mov_b64 s[10:11], 0
.LBB40_1922:
	s_and_b64 vcc, exec, s[10:11]
	s_cbranch_vccz .LBB40_1925
; %bb.1923:
	s_cmp_eq_u32 s15, 29
	s_mov_b64 s[0:1], -1
	s_cbranch_scc0 .LBB40_1925
; %bb.1924:
	v_trunc_f64_e32 v[2:3], v[10:11]
	s_movk_i32 s0, 0xffe0
	s_mov_b64 s[6:7], -1
	v_ldexp_f64 v[4:5], v[2:3], s0
	s_mov_b32 s0, 0
	s_mov_b32 s1, 0xc1f00000
	v_floor_f64_e32 v[4:5], v[4:5]
	v_fma_f64 v[2:3], v[4:5], s[0:1], v[2:3]
	v_cvt_u32_f64_e32 v4, v[4:5]
	s_mov_b64 s[0:1], 0
	v_cvt_u32_f64_e32 v3, v[2:3]
	global_store_dwordx2 v[0:1], v[3:4], off
.LBB40_1925:
	s_mov_b64 s[10:11], 0
.LBB40_1926:
	s_and_b64 vcc, exec, s[10:11]
	s_cbranch_vccz .LBB40_1942
; %bb.1927:
	s_cmp_lt_i32 s15, 27
	s_mov_b64 s[6:7], -1
	s_cbranch_scc1 .LBB40_1933
; %bb.1928:
	v_cvt_u32_f64_e32 v2, v[10:11]
	s_cmp_gt_i32 s15, 27
	s_cbranch_scc0 .LBB40_1930
; %bb.1929:
	s_mov_b64 s[6:7], 0
	global_store_dword v[0:1], v2, off
.LBB40_1930:
	s_andn2_b64 vcc, exec, s[6:7]
	s_cbranch_vccnz .LBB40_1932
; %bb.1931:
	global_store_short v[0:1], v2, off
.LBB40_1932:
	s_mov_b64 s[6:7], 0
.LBB40_1933:
	s_andn2_b64 vcc, exec, s[6:7]
	s_cbranch_vccnz .LBB40_1941
; %bb.1934:
	v_cvt_f32_f64_e32 v2, v[10:11]
	s_mov_b32 s6, 0x43800000
	v_mov_b32_e32 v4, 0x80
	v_and_b32_e32 v3, 0x7fffffff, v2
	v_cmp_gt_u32_e32 vcc, s6, v3
	s_and_saveexec_b64 s[6:7], vcc
	s_cbranch_execz .LBB40_1940
; %bb.1935:
	s_mov_b32 s10, 0x3bffffff
	v_cmp_lt_u32_e32 vcc, s10, v3
	s_mov_b64 s[10:11], 0
                                        ; implicit-def: $vgpr3
	s_and_saveexec_b64 s[12:13], vcc
	s_xor_b64 s[12:13], exec, s[12:13]
	s_cbranch_execz .LBB40_2161
; %bb.1936:
	v_bfe_u32 v3, v2, 20, 1
	s_mov_b32 s16, 0x487ffff
	v_add3_u32 v3, v2, v3, s16
	s_mov_b64 s[10:11], exec
	v_lshrrev_b32_e32 v3, 20, v3
	s_andn2_saveexec_b64 s[12:13], s[12:13]
	s_cbranch_execnz .LBB40_2162
.LBB40_1937:
	s_or_b64 exec, exec, s[12:13]
	v_mov_b32_e32 v4, 0
	s_and_saveexec_b64 s[12:13], s[10:11]
.LBB40_1938:
	v_lshrrev_b32_e32 v2, 24, v2
	s_movk_i32 s10, 0x80
	v_and_or_b32 v4, v2, s10, v3
.LBB40_1939:
	s_or_b64 exec, exec, s[12:13]
.LBB40_1940:
	s_or_b64 exec, exec, s[6:7]
	global_store_byte v[0:1], v4, off
.LBB40_1941:
	s_mov_b64 s[6:7], -1
.LBB40_1942:
	s_mov_b64 s[10:11], 0
.LBB40_1943:
	s_and_b64 vcc, exec, s[10:11]
	s_cbranch_vccz .LBB40_1983
; %bb.1944:
	s_cmp_gt_i32 s15, 22
	s_mov_b64 s[4:5], -1
	s_cbranch_scc0 .LBB40_1976
; %bb.1945:
	s_cmp_lt_i32 s15, 24
	s_cbranch_scc1 .LBB40_1965
; %bb.1946:
	s_cmp_gt_i32 s15, 24
	s_cbranch_scc0 .LBB40_1954
; %bb.1947:
	v_cvt_f32_f64_e32 v2, v[10:11]
	s_mov_b32 s4, 0x47800000
	v_mov_b32_e32 v4, 0x80
	v_and_b32_e32 v3, 0x7fffffff, v2
	v_cmp_gt_u32_e32 vcc, s4, v3
	s_and_saveexec_b64 s[4:5], vcc
	s_cbranch_execz .LBB40_1953
; %bb.1948:
	s_mov_b32 s6, 0x37ffffff
	v_cmp_lt_u32_e32 vcc, s6, v3
	s_mov_b64 s[6:7], 0
                                        ; implicit-def: $vgpr3
	s_and_saveexec_b64 s[10:11], vcc
	s_xor_b64 s[10:11], exec, s[10:11]
	s_cbranch_execz .LBB40_2164
; %bb.1949:
	v_bfe_u32 v3, v2, 21, 1
	s_mov_b32 s12, 0x88fffff
	v_add3_u32 v3, v2, v3, s12
	s_mov_b64 s[6:7], exec
	v_lshrrev_b32_e32 v3, 21, v3
	s_andn2_saveexec_b64 s[10:11], s[10:11]
	s_cbranch_execnz .LBB40_2165
.LBB40_1950:
	s_or_b64 exec, exec, s[10:11]
	v_mov_b32_e32 v4, 0
	s_and_saveexec_b64 s[10:11], s[6:7]
.LBB40_1951:
	v_lshrrev_b32_e32 v2, 24, v2
	s_movk_i32 s6, 0x80
	v_and_or_b32 v4, v2, s6, v3
.LBB40_1952:
	s_or_b64 exec, exec, s[10:11]
.LBB40_1953:
	s_or_b64 exec, exec, s[4:5]
	s_mov_b64 s[4:5], 0
	global_store_byte v[0:1], v4, off
.LBB40_1954:
	s_and_b64 vcc, exec, s[4:5]
	s_cbranch_vccz .LBB40_1964
; %bb.1955:
	v_cvt_f32_f64_e32 v2, v[10:11]
	s_mov_b32 s4, 0x43f00000
                                        ; implicit-def: $vgpr3
	v_and_b32_e32 v4, 0x7fffffff, v2
	v_cmp_gt_u32_e32 vcc, s4, v4
	s_and_saveexec_b64 s[4:5], vcc
	s_xor_b64 s[4:5], exec, s[4:5]
	s_cbranch_execz .LBB40_1961
; %bb.1956:
	s_mov_b32 s6, 0x3c7fffff
	v_cmp_lt_u32_e32 vcc, s6, v4
                                        ; implicit-def: $vgpr3
	s_and_saveexec_b64 s[6:7], vcc
	s_xor_b64 s[6:7], exec, s[6:7]
; %bb.1957:
	v_bfe_u32 v3, v2, 20, 1
	s_mov_b32 s10, 0x407ffff
	v_add3_u32 v3, v2, v3, s10
	v_lshrrev_b32_e32 v4, 20, v3
	v_and_b32_e32 v3, 0xff00000, v3
	s_mov_b32 s10, 0x7f00000
	v_mov_b32_e32 v5, 0x7e
	v_cmp_ne_u32_e32 vcc, s10, v3
	v_cndmask_b32_e32 v3, v5, v4, vcc
; %bb.1958:
	s_andn2_saveexec_b64 s[6:7], s[6:7]
; %bb.1959:
	s_mov_b32 s10, 0x46800000
	v_add_f32_e64 v3, |v2|, s10
; %bb.1960:
	s_or_b64 exec, exec, s[6:7]
                                        ; implicit-def: $vgpr4
.LBB40_1961:
	s_andn2_saveexec_b64 s[4:5], s[4:5]
; %bb.1962:
	s_mov_b32 s6, 0x7f800000
	v_mov_b32_e32 v3, 0x7e
	v_mov_b32_e32 v5, 0x7f
	v_cmp_lt_u32_e32 vcc, s6, v4
	v_cndmask_b32_e32 v3, v3, v5, vcc
; %bb.1963:
	s_or_b64 exec, exec, s[4:5]
	v_lshrrev_b32_e32 v2, 24, v2
	s_movk_i32 s4, 0x80
	v_and_or_b32 v2, v2, s4, v3
	global_store_byte v[0:1], v2, off
.LBB40_1964:
	s_mov_b64 s[4:5], 0
.LBB40_1965:
	s_andn2_b64 vcc, exec, s[4:5]
	s_cbranch_vccnz .LBB40_1975
; %bb.1966:
	v_cvt_f32_f64_e32 v2, v[10:11]
	s_mov_b32 s4, 0x47800000
                                        ; implicit-def: $vgpr3
	v_and_b32_e32 v4, 0x7fffffff, v2
	v_cmp_gt_u32_e32 vcc, s4, v4
	s_and_saveexec_b64 s[4:5], vcc
	s_xor_b64 s[4:5], exec, s[4:5]
	s_cbranch_execz .LBB40_1972
; %bb.1967:
	s_mov_b32 s6, 0x387fffff
	v_cmp_lt_u32_e32 vcc, s6, v4
                                        ; implicit-def: $vgpr3
	s_and_saveexec_b64 s[6:7], vcc
	s_xor_b64 s[6:7], exec, s[6:7]
; %bb.1968:
	v_bfe_u32 v3, v2, 21, 1
	s_mov_b32 s10, 0x80fffff
	v_add3_u32 v3, v2, v3, s10
	v_lshrrev_b32_e32 v3, 21, v3
; %bb.1969:
	s_andn2_saveexec_b64 s[6:7], s[6:7]
; %bb.1970:
	s_mov_b32 s10, 0x43000000
	v_add_f32_e64 v3, |v2|, s10
; %bb.1971:
	s_or_b64 exec, exec, s[6:7]
                                        ; implicit-def: $vgpr4
.LBB40_1972:
	s_andn2_saveexec_b64 s[4:5], s[4:5]
; %bb.1973:
	s_mov_b32 s6, 0x7f800000
	v_mov_b32_e32 v3, 0x7c
	v_mov_b32_e32 v5, 0x7f
	v_cmp_lt_u32_e32 vcc, s6, v4
	v_cndmask_b32_e32 v3, v3, v5, vcc
; %bb.1974:
	s_or_b64 exec, exec, s[4:5]
	v_lshrrev_b32_e32 v2, 24, v2
	s_movk_i32 s4, 0x80
	v_and_or_b32 v2, v2, s4, v3
	global_store_byte v[0:1], v2, off
.LBB40_1975:
	s_mov_b64 s[4:5], 0
	s_mov_b64 s[6:7], -1
.LBB40_1976:
	s_andn2_b64 vcc, exec, s[4:5]
	s_mov_b64 s[4:5], 0
	s_cbranch_vccnz .LBB40_1983
; %bb.1977:
	s_cmp_gt_i32 s15, 14
	s_mov_b64 s[10:11], -1
	s_cbranch_scc0 .LBB40_1981
; %bb.1978:
	s_cmp_eq_u32 s15, 15
	s_mov_b64 s[0:1], -1
	s_cbranch_scc0 .LBB40_1980
; %bb.1979:
	v_cvt_f32_f64_e32 v2, v[10:11]
	s_movk_i32 s0, 0x7fff
	v_mov_b32_e32 v3, 0x7fc0
	s_mov_b64 s[6:7], -1
	v_bfe_u32 v4, v2, 16, 1
	v_cmp_o_f32_e32 vcc, v2, v2
	v_add3_u32 v2, v2, v4, s0
	v_cndmask_b32_sdwa v2, v3, v2, vcc dst_sel:DWORD dst_unused:UNUSED_PAD src0_sel:DWORD src1_sel:WORD_1
	global_store_short v[0:1], v2, off
	s_mov_b64 s[0:1], 0
.LBB40_1980:
	s_mov_b64 s[10:11], 0
.LBB40_1981:
	s_and_b64 vcc, exec, s[10:11]
	s_cbranch_vccz .LBB40_1983
; %bb.1982:
	s_cmp_lg_u32 s15, 11
	s_mov_b64 s[4:5], -1
	s_cselect_b64 s[0:1], -1, 0
.LBB40_1983:
	s_and_b64 vcc, exec, s[0:1]
	s_cbranch_vccnz .LBB40_2163
; %bb.1984:
	s_andn2_b64 vcc, exec, s[4:5]
	s_cbranch_vccnz .LBB40_1986
.LBB40_1985:
	v_cmp_neq_f64_e32 vcc, 0, v[10:11]
	s_mov_b64 s[6:7], -1
	v_cndmask_b32_e64 v2, 0, 1, vcc
	global_store_byte v[0:1], v2, off
.LBB40_1986:
	s_mov_b64 s[0:1], 0
	s_branch .LBB40_1988
.LBB40_1987:
	s_mov_b64 s[0:1], -1
	s_mov_b64 s[6:7], 0
.LBB40_1988:
	s_and_b64 vcc, exec, s[0:1]
	s_cbranch_vccz .LBB40_2027
; %bb.1989:
	s_and_b32 s4, 0xffff, s14
	s_cmp_lt_i32 s4, 5
	s_mov_b64 s[0:1], -1
	s_cbranch_scc1 .LBB40_2010
; %bb.1990:
	s_cmp_lt_i32 s4, 8
	s_cbranch_scc1 .LBB40_2000
; %bb.1991:
	s_cmp_lt_i32 s4, 9
	s_cbranch_scc1 .LBB40_1997
; %bb.1992:
	s_cmp_gt_i32 s4, 9
	s_cbranch_scc0 .LBB40_1994
; %bb.1993:
	v_mov_b32_e32 v12, 0
	v_mov_b32_e32 v13, v12
	global_store_dwordx4 v[0:1], v[10:13], off
	s_mov_b64 s[0:1], 0
.LBB40_1994:
	s_andn2_b64 vcc, exec, s[0:1]
	s_cbranch_vccnz .LBB40_1996
; %bb.1995:
	v_cvt_f32_f64_e32 v2, v[10:11]
	v_mov_b32_e32 v3, 0
	global_store_dwordx2 v[0:1], v[2:3], off
.LBB40_1996:
	s_mov_b64 s[0:1], 0
.LBB40_1997:
	s_andn2_b64 vcc, exec, s[0:1]
	s_cbranch_vccnz .LBB40_1999
; %bb.1998:
	s_movk_i32 s0, 0x1ff
	v_and_or_b32 v2, v11, s0, v10
	v_cmp_ne_u32_e32 vcc, 0, v2
	v_cndmask_b32_e64 v2, 0, 1, vcc
	v_lshrrev_b32_e32 v3, 8, v11
	s_movk_i32 s0, 0xffe
	v_bfe_u32 v4, v11, 20, 11
	v_and_or_b32 v2, v3, s0, v2
	v_sub_u32_e32 v5, 0x3f1, v4
	v_or_b32_e32 v3, 0x1000, v2
	v_med3_i32 v5, v5, 0, 13
	v_lshrrev_b32_e32 v6, v5, v3
	v_lshlrev_b32_e32 v5, v5, v6
	v_cmp_ne_u32_e32 vcc, v5, v3
	v_cndmask_b32_e64 v3, 0, 1, vcc
	v_add_u32_e32 v4, 0xfffffc10, v4
	v_or_b32_e32 v3, v6, v3
	v_lshl_or_b32 v5, v4, 12, v2
	v_cmp_gt_i32_e32 vcc, 1, v4
	v_cndmask_b32_e32 v3, v5, v3, vcc
	v_and_b32_e32 v5, 7, v3
	v_cmp_lt_i32_e32 vcc, 5, v5
	v_cndmask_b32_e64 v6, 0, 1, vcc
	v_cmp_eq_u32_e32 vcc, 3, v5
	v_cndmask_b32_e64 v5, 0, 1, vcc
	v_or_b32_e32 v5, v5, v6
	v_lshrrev_b32_e32 v3, 2, v3
	v_add_u32_e32 v3, v3, v5
	v_mov_b32_e32 v5, 0x7c00
	v_cmp_gt_i32_e32 vcc, 31, v4
	v_cndmask_b32_e32 v3, v5, v3, vcc
	v_mov_b32_e32 v6, 0x7e00
	v_cmp_ne_u32_e32 vcc, 0, v2
	s_movk_i32 s0, 0x40f
	v_cndmask_b32_e32 v2, v5, v6, vcc
	v_cmp_eq_u32_e32 vcc, s0, v4
	v_cndmask_b32_e32 v2, v3, v2, vcc
	v_lshrrev_b32_e32 v3, 16, v11
	s_mov_b32 s0, 0x8000
	v_and_or_b32 v2, v3, s0, v2
	v_and_b32_e32 v2, 0xffff, v2
	global_store_dword v[0:1], v2, off
.LBB40_1999:
	s_mov_b64 s[0:1], 0
.LBB40_2000:
	s_andn2_b64 vcc, exec, s[0:1]
	s_cbranch_vccnz .LBB40_2009
; %bb.2001:
	s_cmp_lt_i32 s4, 6
	s_mov_b64 s[0:1], -1
	s_cbranch_scc1 .LBB40_2007
; %bb.2002:
	s_cmp_gt_i32 s4, 6
	s_cbranch_scc0 .LBB40_2004
; %bb.2003:
	global_store_dwordx2 v[0:1], v[10:11], off
	s_mov_b64 s[0:1], 0
.LBB40_2004:
	s_andn2_b64 vcc, exec, s[0:1]
	s_cbranch_vccnz .LBB40_2006
; %bb.2005:
	v_cvt_f32_f64_e32 v2, v[10:11]
	global_store_dword v[0:1], v2, off
.LBB40_2006:
	s_mov_b64 s[0:1], 0
.LBB40_2007:
	s_andn2_b64 vcc, exec, s[0:1]
	s_cbranch_vccnz .LBB40_2009
; %bb.2008:
	s_movk_i32 s0, 0x1ff
	v_and_or_b32 v2, v11, s0, v10
	v_cmp_ne_u32_e32 vcc, 0, v2
	v_cndmask_b32_e64 v2, 0, 1, vcc
	v_lshrrev_b32_e32 v3, 8, v11
	s_movk_i32 s0, 0xffe
	v_bfe_u32 v4, v11, 20, 11
	v_and_or_b32 v2, v3, s0, v2
	v_sub_u32_e32 v5, 0x3f1, v4
	v_or_b32_e32 v3, 0x1000, v2
	v_med3_i32 v5, v5, 0, 13
	v_lshrrev_b32_e32 v6, v5, v3
	v_lshlrev_b32_e32 v5, v5, v6
	v_cmp_ne_u32_e32 vcc, v5, v3
	v_cndmask_b32_e64 v3, 0, 1, vcc
	v_add_u32_e32 v4, 0xfffffc10, v4
	v_or_b32_e32 v3, v6, v3
	v_lshl_or_b32 v5, v4, 12, v2
	v_cmp_gt_i32_e32 vcc, 1, v4
	v_cndmask_b32_e32 v3, v5, v3, vcc
	v_and_b32_e32 v5, 7, v3
	v_cmp_lt_i32_e32 vcc, 5, v5
	v_cndmask_b32_e64 v6, 0, 1, vcc
	v_cmp_eq_u32_e32 vcc, 3, v5
	v_cndmask_b32_e64 v5, 0, 1, vcc
	v_or_b32_e32 v5, v5, v6
	v_lshrrev_b32_e32 v3, 2, v3
	v_add_u32_e32 v3, v3, v5
	v_mov_b32_e32 v5, 0x7c00
	v_cmp_gt_i32_e32 vcc, 31, v4
	v_cndmask_b32_e32 v3, v5, v3, vcc
	v_mov_b32_e32 v6, 0x7e00
	v_cmp_ne_u32_e32 vcc, 0, v2
	s_movk_i32 s0, 0x40f
	v_cndmask_b32_e32 v2, v5, v6, vcc
	v_cmp_eq_u32_e32 vcc, s0, v4
	v_cndmask_b32_e32 v2, v3, v2, vcc
	v_lshrrev_b32_e32 v3, 16, v11
	s_mov_b32 s0, 0x8000
	v_and_or_b32 v2, v3, s0, v2
	global_store_short v[0:1], v2, off
.LBB40_2009:
	s_mov_b64 s[0:1], 0
.LBB40_2010:
	s_andn2_b64 vcc, exec, s[0:1]
	s_cbranch_vccnz .LBB40_2026
; %bb.2011:
	s_cmp_lt_i32 s4, 2
	s_mov_b64 s[0:1], -1
	s_cbranch_scc1 .LBB40_2021
; %bb.2012:
	s_cmp_lt_i32 s4, 3
	s_cbranch_scc1 .LBB40_2018
; %bb.2013:
	s_cmp_gt_i32 s4, 3
	s_cbranch_scc0 .LBB40_2015
; %bb.2014:
	v_trunc_f64_e32 v[2:3], v[10:11]
	s_movk_i32 s0, 0xffe0
	v_ldexp_f64 v[4:5], v[2:3], s0
	s_mov_b32 s0, 0
	s_mov_b32 s1, 0xc1f00000
	v_floor_f64_e32 v[4:5], v[4:5]
	v_fma_f64 v[2:3], v[4:5], s[0:1], v[2:3]
	v_cvt_i32_f64_e32 v4, v[4:5]
	s_mov_b64 s[0:1], 0
	v_cvt_u32_f64_e32 v3, v[2:3]
	global_store_dwordx2 v[0:1], v[3:4], off
.LBB40_2015:
	s_andn2_b64 vcc, exec, s[0:1]
	s_cbranch_vccnz .LBB40_2017
; %bb.2016:
	v_cvt_i32_f64_e32 v2, v[10:11]
	global_store_dword v[0:1], v2, off
.LBB40_2017:
	s_mov_b64 s[0:1], 0
.LBB40_2018:
	s_andn2_b64 vcc, exec, s[0:1]
	s_cbranch_vccnz .LBB40_2020
; %bb.2019:
	v_cvt_i32_f64_e32 v2, v[10:11]
	global_store_short v[0:1], v2, off
.LBB40_2020:
	s_mov_b64 s[0:1], 0
.LBB40_2021:
	s_andn2_b64 vcc, exec, s[0:1]
	s_cbranch_vccnz .LBB40_2026
; %bb.2022:
	s_cmp_gt_i32 s4, 0
	s_mov_b64 s[0:1], -1
	s_cbranch_scc0 .LBB40_2024
; %bb.2023:
	v_cvt_i32_f64_e32 v2, v[10:11]
	s_mov_b64 s[0:1], 0
	global_store_byte v[0:1], v2, off
.LBB40_2024:
	s_andn2_b64 vcc, exec, s[0:1]
	s_cbranch_vccnz .LBB40_2026
; %bb.2025:
	v_trunc_f64_e32 v[2:3], v[10:11]
	s_movk_i32 s0, 0xffe0
	v_ldexp_f64 v[4:5], v[2:3], s0
	s_mov_b32 s0, 0
	s_mov_b32 s1, 0xc1f00000
	v_floor_f64_e32 v[4:5], v[4:5]
	v_fma_f64 v[2:3], v[4:5], s[0:1], v[2:3]
	v_cvt_u32_f64_e32 v2, v[2:3]
	global_store_byte v[0:1], v2, off
.LBB40_2026:
	s_mov_b64 s[6:7], -1
.LBB40_2027:
	s_andn2_b64 vcc, exec, s[6:7]
	s_cbranch_vccnz .LBB40_2104
; %bb.2028:
	s_brev_b32 s0, -2
	v_mov_b32_e32 v1, s9
	v_add_co_u32_e32 v0, vcc, s8, v14
	v_bfi_b32 v9, s0, v9, v22
	s_cmp_lt_i32 s14, 11
	v_addc_co_u32_e32 v1, vcc, 0, v1, vcc
	s_cbranch_scc1 .LBB40_2149
; %bb.2029:
	s_and_b32 s12, 0xffff, s14
	s_mov_b64 s[6:7], -1
	s_mov_b64 s[4:5], 0
	s_cmp_gt_i32 s12, 25
	s_mov_b64 s[0:1], 0
	s_cbranch_scc0 .LBB40_2062
; %bb.2030:
	s_cmp_gt_i32 s12, 28
	s_cbranch_scc0 .LBB40_2046
; %bb.2031:
	s_cmp_gt_i32 s12, 43
	;; [unrolled: 3-line block ×3, first 2 shown]
	s_cbranch_scc0 .LBB40_2036
; %bb.2033:
	s_cmp_eq_u32 s12, 46
	s_mov_b64 s[0:1], -1
	s_cbranch_scc0 .LBB40_2035
; %bb.2034:
	v_cvt_f32_f64_e32 v2, v[8:9]
	s_movk_i32 s0, 0x7fff
	v_mov_b32_e32 v3, 0x7fc0
	v_bfe_u32 v4, v2, 16, 1
	v_cmp_o_f32_e32 vcc, v2, v2
	v_add3_u32 v2, v2, v4, s0
	v_cndmask_b32_sdwa v2, v3, v2, vcc dst_sel:DWORD dst_unused:UNUSED_PAD src0_sel:DWORD src1_sel:WORD_1
	global_store_dword v[0:1], v2, off
	s_mov_b64 s[0:1], 0
.LBB40_2035:
	s_mov_b64 s[6:7], 0
.LBB40_2036:
	s_and_b64 vcc, exec, s[6:7]
	s_cbranch_vccz .LBB40_2041
; %bb.2037:
	s_cmp_eq_u32 s12, 44
	s_mov_b64 s[0:1], -1
	s_cbranch_scc0 .LBB40_2041
; %bb.2038:
	v_cvt_f32_f64_e32 v2, v[8:9]
	s_movk_i32 s0, 0xff
	v_mov_b32_e32 v4, 0xff
	v_bfe_u32 v3, v2, 23, 8
	v_cmp_ne_u32_e32 vcc, s0, v3
	s_and_saveexec_b64 s[6:7], vcc
; %bb.2039:
	s_mov_b32 s0, 0x3fffff
	v_lshrrev_b32_e32 v4, 23, v2
	v_and_b32_e32 v5, 0x400000, v2
	v_and_or_b32 v2, v2, s0, v3
	v_cmp_ne_u32_e32 vcc, 0, v5
	v_cmp_ne_u32_e64 s[0:1], 0, v2
	s_and_b64 s[0:1], vcc, s[0:1]
	v_cndmask_b32_e64 v2, 0, 1, s[0:1]
	v_add_u32_e32 v4, v4, v2
; %bb.2040:
	s_or_b64 exec, exec, s[6:7]
	s_mov_b64 s[0:1], 0
	global_store_byte v[0:1], v4, off
.LBB40_2041:
	s_mov_b64 s[6:7], 0
.LBB40_2042:
	s_and_b64 vcc, exec, s[6:7]
	s_cbranch_vccz .LBB40_2045
; %bb.2043:
	s_cmp_eq_u32 s12, 29
	s_mov_b64 s[0:1], -1
	s_cbranch_scc0 .LBB40_2045
; %bb.2044:
	v_trunc_f64_e32 v[2:3], v[8:9]
	s_movk_i32 s0, 0xffe0
	v_ldexp_f64 v[4:5], v[2:3], s0
	s_mov_b32 s0, 0
	s_mov_b32 s1, 0xc1f00000
	v_floor_f64_e32 v[4:5], v[4:5]
	v_fma_f64 v[2:3], v[4:5], s[0:1], v[2:3]
	v_cvt_u32_f64_e32 v4, v[4:5]
	s_mov_b64 s[0:1], 0
	v_cvt_u32_f64_e32 v3, v[2:3]
	global_store_dwordx2 v[0:1], v[3:4], off
.LBB40_2045:
	s_mov_b64 s[6:7], 0
.LBB40_2046:
	s_and_b64 vcc, exec, s[6:7]
	s_cbranch_vccz .LBB40_2061
; %bb.2047:
	s_cmp_lt_i32 s12, 27
	s_mov_b64 s[6:7], -1
	s_cbranch_scc1 .LBB40_2053
; %bb.2048:
	s_cmp_gt_i32 s12, 27
	s_cbranch_scc0 .LBB40_2050
; %bb.2049:
	v_cvt_u32_f64_e32 v2, v[8:9]
	s_mov_b64 s[6:7], 0
	global_store_dword v[0:1], v2, off
.LBB40_2050:
	s_andn2_b64 vcc, exec, s[6:7]
	s_cbranch_vccnz .LBB40_2052
; %bb.2051:
	v_cvt_u32_f64_e32 v2, v[8:9]
	global_store_short v[0:1], v2, off
.LBB40_2052:
	s_mov_b64 s[6:7], 0
.LBB40_2053:
	s_andn2_b64 vcc, exec, s[6:7]
	s_cbranch_vccnz .LBB40_2061
; %bb.2054:
	v_cvt_f32_f64_e32 v2, v[8:9]
	s_mov_b32 s6, 0x43800000
	v_mov_b32_e32 v4, 0x80
	v_and_b32_e32 v3, 0x7fffffff, v2
	v_cmp_gt_u32_e32 vcc, s6, v3
	s_and_saveexec_b64 s[6:7], vcc
	s_cbranch_execz .LBB40_2060
; %bb.2055:
	s_mov_b32 s8, 0x3bffffff
	v_cmp_lt_u32_e32 vcc, s8, v3
	s_mov_b64 s[8:9], 0
                                        ; implicit-def: $vgpr3
	s_and_saveexec_b64 s[10:11], vcc
	s_xor_b64 s[10:11], exec, s[10:11]
	s_cbranch_execz .LBB40_2166
; %bb.2056:
	v_bfe_u32 v3, v2, 20, 1
	s_mov_b32 s13, 0x487ffff
	v_add3_u32 v3, v2, v3, s13
	s_mov_b64 s[8:9], exec
	v_lshrrev_b32_e32 v3, 20, v3
	s_andn2_saveexec_b64 s[10:11], s[10:11]
	s_cbranch_execnz .LBB40_2167
.LBB40_2057:
	s_or_b64 exec, exec, s[10:11]
	v_mov_b32_e32 v4, 0
	s_and_saveexec_b64 s[10:11], s[8:9]
.LBB40_2058:
	v_lshrrev_b32_e32 v2, 24, v2
	s_movk_i32 s8, 0x80
	v_and_or_b32 v4, v2, s8, v3
.LBB40_2059:
	s_or_b64 exec, exec, s[10:11]
.LBB40_2060:
	s_or_b64 exec, exec, s[6:7]
	global_store_byte v[0:1], v4, off
.LBB40_2061:
	s_mov_b64 s[6:7], 0
.LBB40_2062:
	s_and_b64 vcc, exec, s[6:7]
	s_cbranch_vccz .LBB40_2102
; %bb.2063:
	s_cmp_gt_i32 s12, 22
	s_mov_b64 s[4:5], -1
	s_cbranch_scc0 .LBB40_2095
; %bb.2064:
	s_cmp_lt_i32 s12, 24
	s_cbranch_scc1 .LBB40_2084
; %bb.2065:
	s_cmp_gt_i32 s12, 24
	s_cbranch_scc0 .LBB40_2073
; %bb.2066:
	v_cvt_f32_f64_e32 v2, v[8:9]
	s_mov_b32 s4, 0x47800000
	v_mov_b32_e32 v4, 0x80
	v_and_b32_e32 v3, 0x7fffffff, v2
	v_cmp_gt_u32_e32 vcc, s4, v3
	s_and_saveexec_b64 s[4:5], vcc
	s_cbranch_execz .LBB40_2072
; %bb.2067:
	s_mov_b32 s6, 0x37ffffff
	v_cmp_lt_u32_e32 vcc, s6, v3
	s_mov_b64 s[6:7], 0
                                        ; implicit-def: $vgpr3
	s_and_saveexec_b64 s[8:9], vcc
	s_xor_b64 s[8:9], exec, s[8:9]
	s_cbranch_execz .LBB40_2169
; %bb.2068:
	v_bfe_u32 v3, v2, 21, 1
	s_mov_b32 s10, 0x88fffff
	v_add3_u32 v3, v2, v3, s10
	s_mov_b64 s[6:7], exec
	v_lshrrev_b32_e32 v3, 21, v3
	s_andn2_saveexec_b64 s[8:9], s[8:9]
	s_cbranch_execnz .LBB40_2170
.LBB40_2069:
	s_or_b64 exec, exec, s[8:9]
	v_mov_b32_e32 v4, 0
	s_and_saveexec_b64 s[8:9], s[6:7]
.LBB40_2070:
	v_lshrrev_b32_e32 v2, 24, v2
	s_movk_i32 s6, 0x80
	v_and_or_b32 v4, v2, s6, v3
.LBB40_2071:
	s_or_b64 exec, exec, s[8:9]
.LBB40_2072:
	s_or_b64 exec, exec, s[4:5]
	s_mov_b64 s[4:5], 0
	global_store_byte v[0:1], v4, off
.LBB40_2073:
	s_and_b64 vcc, exec, s[4:5]
	s_cbranch_vccz .LBB40_2083
; %bb.2074:
	v_cvt_f32_f64_e32 v2, v[8:9]
	s_mov_b32 s4, 0x43f00000
                                        ; implicit-def: $vgpr3
	v_and_b32_e32 v4, 0x7fffffff, v2
	v_cmp_gt_u32_e32 vcc, s4, v4
	s_and_saveexec_b64 s[4:5], vcc
	s_xor_b64 s[4:5], exec, s[4:5]
	s_cbranch_execz .LBB40_2080
; %bb.2075:
	s_mov_b32 s6, 0x3c7fffff
	v_cmp_lt_u32_e32 vcc, s6, v4
                                        ; implicit-def: $vgpr3
	s_and_saveexec_b64 s[6:7], vcc
	s_xor_b64 s[6:7], exec, s[6:7]
; %bb.2076:
	v_bfe_u32 v3, v2, 20, 1
	s_mov_b32 s8, 0x407ffff
	v_add3_u32 v3, v2, v3, s8
	v_lshrrev_b32_e32 v4, 20, v3
	v_and_b32_e32 v3, 0xff00000, v3
	s_mov_b32 s8, 0x7f00000
	v_mov_b32_e32 v5, 0x7e
	v_cmp_ne_u32_e32 vcc, s8, v3
	v_cndmask_b32_e32 v3, v5, v4, vcc
; %bb.2077:
	s_andn2_saveexec_b64 s[6:7], s[6:7]
; %bb.2078:
	s_mov_b32 s8, 0x46800000
	v_add_f32_e64 v3, |v2|, s8
; %bb.2079:
	s_or_b64 exec, exec, s[6:7]
                                        ; implicit-def: $vgpr4
.LBB40_2080:
	s_andn2_saveexec_b64 s[4:5], s[4:5]
; %bb.2081:
	s_mov_b32 s6, 0x7f800000
	v_mov_b32_e32 v3, 0x7e
	v_mov_b32_e32 v5, 0x7f
	v_cmp_lt_u32_e32 vcc, s6, v4
	v_cndmask_b32_e32 v3, v3, v5, vcc
; %bb.2082:
	s_or_b64 exec, exec, s[4:5]
	v_lshrrev_b32_e32 v2, 24, v2
	s_movk_i32 s4, 0x80
	v_and_or_b32 v2, v2, s4, v3
	global_store_byte v[0:1], v2, off
.LBB40_2083:
	s_mov_b64 s[4:5], 0
.LBB40_2084:
	s_andn2_b64 vcc, exec, s[4:5]
	s_cbranch_vccnz .LBB40_2094
; %bb.2085:
	v_cvt_f32_f64_e32 v2, v[8:9]
	s_mov_b32 s4, 0x47800000
                                        ; implicit-def: $vgpr3
	v_and_b32_e32 v4, 0x7fffffff, v2
	v_cmp_gt_u32_e32 vcc, s4, v4
	s_and_saveexec_b64 s[4:5], vcc
	s_xor_b64 s[4:5], exec, s[4:5]
	s_cbranch_execz .LBB40_2091
; %bb.2086:
	s_mov_b32 s6, 0x387fffff
	v_cmp_lt_u32_e32 vcc, s6, v4
                                        ; implicit-def: $vgpr3
	s_and_saveexec_b64 s[6:7], vcc
	s_xor_b64 s[6:7], exec, s[6:7]
; %bb.2087:
	v_bfe_u32 v3, v2, 21, 1
	s_mov_b32 s8, 0x80fffff
	v_add3_u32 v3, v2, v3, s8
	v_lshrrev_b32_e32 v3, 21, v3
; %bb.2088:
	s_andn2_saveexec_b64 s[6:7], s[6:7]
; %bb.2089:
	s_mov_b32 s8, 0x43000000
	v_add_f32_e64 v3, |v2|, s8
; %bb.2090:
	s_or_b64 exec, exec, s[6:7]
                                        ; implicit-def: $vgpr4
.LBB40_2091:
	s_andn2_saveexec_b64 s[4:5], s[4:5]
; %bb.2092:
	s_mov_b32 s6, 0x7f800000
	v_mov_b32_e32 v3, 0x7c
	v_mov_b32_e32 v5, 0x7f
	v_cmp_lt_u32_e32 vcc, s6, v4
	v_cndmask_b32_e32 v3, v3, v5, vcc
; %bb.2093:
	s_or_b64 exec, exec, s[4:5]
	v_lshrrev_b32_e32 v2, 24, v2
	s_movk_i32 s4, 0x80
	v_and_or_b32 v2, v2, s4, v3
	global_store_byte v[0:1], v2, off
.LBB40_2094:
	s_mov_b64 s[4:5], 0
.LBB40_2095:
	s_andn2_b64 vcc, exec, s[4:5]
	s_mov_b64 s[4:5], 0
	s_cbranch_vccnz .LBB40_2102
; %bb.2096:
	s_cmp_gt_i32 s12, 14
	s_mov_b64 s[6:7], -1
	s_cbranch_scc0 .LBB40_2100
; %bb.2097:
	s_cmp_eq_u32 s12, 15
	s_mov_b64 s[0:1], -1
	s_cbranch_scc0 .LBB40_2099
; %bb.2098:
	v_cvt_f32_f64_e32 v2, v[8:9]
	s_movk_i32 s0, 0x7fff
	v_mov_b32_e32 v3, 0x7fc0
	v_bfe_u32 v4, v2, 16, 1
	v_cmp_o_f32_e32 vcc, v2, v2
	v_add3_u32 v2, v2, v4, s0
	v_cndmask_b32_sdwa v2, v3, v2, vcc dst_sel:DWORD dst_unused:UNUSED_PAD src0_sel:DWORD src1_sel:WORD_1
	global_store_short v[0:1], v2, off
	s_mov_b64 s[0:1], 0
.LBB40_2099:
	s_mov_b64 s[6:7], 0
.LBB40_2100:
	s_and_b64 vcc, exec, s[6:7]
	s_cbranch_vccz .LBB40_2102
; %bb.2101:
	s_cmp_lg_u32 s12, 11
	s_mov_b64 s[4:5], -1
	s_cselect_b64 s[0:1], -1, 0
.LBB40_2102:
	s_and_b64 vcc, exec, s[0:1]
	s_cbranch_vccnz .LBB40_2168
.LBB40_2103:
	s_mov_b64 s[0:1], 0
	s_branch .LBB40_2105
.LBB40_2104:
	s_mov_b64 s[0:1], 0
	s_mov_b64 s[4:5], 0
                                        ; implicit-def: $vgpr0_vgpr1
                                        ; implicit-def: $sgpr14
                                        ; implicit-def: $vgpr8_vgpr9
.LBB40_2105:
	s_and_b64 s[6:7], s[4:5], exec
	s_andn2_b64 s[4:5], s[28:29], exec
	s_and_b64 s[2:3], s[2:3], exec
	s_and_b64 s[0:1], s[0:1], exec
	s_or_b64 s[28:29], s[4:5], s[2:3]
.LBB40_2106:
	s_or_b64 exec, exec, s[30:31]
	s_and_saveexec_b64 s[2:3], s[28:29]
	s_cbranch_execz .LBB40_2109
; %bb.2107:
	; divergent unreachable
	s_or_b64 exec, exec, s[2:3]
	s_and_saveexec_b64 s[2:3], s[6:7]
	s_xor_b64 s[2:3], exec, s[2:3]
	s_cbranch_execnz .LBB40_2110
.LBB40_2108:
	s_or_b64 exec, exec, s[2:3]
	s_and_saveexec_b64 s[2:3], s[0:1]
	s_cbranch_execnz .LBB40_2111
	s_branch .LBB40_2148
.LBB40_2109:
	s_or_b64 exec, exec, s[2:3]
	s_and_saveexec_b64 s[2:3], s[6:7]
	s_xor_b64 s[2:3], exec, s[2:3]
	s_cbranch_execz .LBB40_2108
.LBB40_2110:
	v_cmp_neq_f64_e32 vcc, 0, v[8:9]
	v_cndmask_b32_e64 v2, 0, 1, vcc
	global_store_byte v[0:1], v2, off
	s_or_b64 exec, exec, s[2:3]
	s_and_saveexec_b64 s[2:3], s[0:1]
	s_cbranch_execz .LBB40_2148
.LBB40_2111:
	s_sext_i32_i16 s2, s14
	s_cmp_lt_i32 s2, 5
	s_mov_b64 s[0:1], -1
	s_cbranch_scc1 .LBB40_2132
; %bb.2112:
	s_cmp_lt_i32 s2, 8
	s_cbranch_scc1 .LBB40_2122
; %bb.2113:
	s_cmp_lt_i32 s2, 9
	s_cbranch_scc1 .LBB40_2119
; %bb.2114:
	s_cmp_gt_i32 s2, 9
	s_cbranch_scc0 .LBB40_2116
; %bb.2115:
	v_mov_b32_e32 v10, 0
	v_mov_b32_e32 v11, v10
	global_store_dwordx4 v[0:1], v[8:11], off
	s_mov_b64 s[0:1], 0
.LBB40_2116:
	s_andn2_b64 vcc, exec, s[0:1]
	s_cbranch_vccnz .LBB40_2118
; %bb.2117:
	v_cvt_f32_f64_e32 v2, v[8:9]
	s_waitcnt vmcnt(0)
	v_mov_b32_e32 v3, 0
	global_store_dwordx2 v[0:1], v[2:3], off
.LBB40_2118:
	s_mov_b64 s[0:1], 0
.LBB40_2119:
	s_andn2_b64 vcc, exec, s[0:1]
	s_cbranch_vccnz .LBB40_2121
; %bb.2120:
	s_movk_i32 s0, 0x1ff
	v_and_or_b32 v2, v9, s0, v8
	v_cmp_ne_u32_e32 vcc, 0, v2
	v_cndmask_b32_e64 v2, 0, 1, vcc
	s_waitcnt vmcnt(0)
	v_lshrrev_b32_e32 v3, 8, v9
	s_movk_i32 s0, 0xffe
	v_bfe_u32 v4, v9, 20, 11
	v_and_or_b32 v2, v3, s0, v2
	v_sub_u32_e32 v5, 0x3f1, v4
	v_or_b32_e32 v3, 0x1000, v2
	v_med3_i32 v5, v5, 0, 13
	v_lshrrev_b32_e32 v6, v5, v3
	v_lshlrev_b32_e32 v5, v5, v6
	v_cmp_ne_u32_e32 vcc, v5, v3
	v_cndmask_b32_e64 v3, 0, 1, vcc
	v_add_u32_e32 v4, 0xfffffc10, v4
	v_or_b32_e32 v3, v6, v3
	v_lshl_or_b32 v5, v4, 12, v2
	v_cmp_gt_i32_e32 vcc, 1, v4
	v_cndmask_b32_e32 v3, v5, v3, vcc
	v_and_b32_e32 v5, 7, v3
	v_cmp_lt_i32_e32 vcc, 5, v5
	v_cndmask_b32_e64 v6, 0, 1, vcc
	v_cmp_eq_u32_e32 vcc, 3, v5
	v_cndmask_b32_e64 v5, 0, 1, vcc
	v_or_b32_e32 v5, v5, v6
	v_lshrrev_b32_e32 v3, 2, v3
	v_add_u32_e32 v3, v3, v5
	v_mov_b32_e32 v5, 0x7c00
	v_cmp_gt_i32_e32 vcc, 31, v4
	v_cndmask_b32_e32 v3, v5, v3, vcc
	v_mov_b32_e32 v6, 0x7e00
	v_cmp_ne_u32_e32 vcc, 0, v2
	s_movk_i32 s0, 0x40f
	v_cndmask_b32_e32 v2, v5, v6, vcc
	v_cmp_eq_u32_e32 vcc, s0, v4
	v_cndmask_b32_e32 v2, v3, v2, vcc
	v_lshrrev_b32_e32 v3, 16, v9
	s_mov_b32 s0, 0x8000
	v_and_or_b32 v2, v3, s0, v2
	v_and_b32_e32 v2, 0xffff, v2
	global_store_dword v[0:1], v2, off
.LBB40_2121:
	s_mov_b64 s[0:1], 0
.LBB40_2122:
	s_andn2_b64 vcc, exec, s[0:1]
	s_cbranch_vccnz .LBB40_2131
; %bb.2123:
	s_sext_i32_i16 s2, s14
	s_cmp_lt_i32 s2, 6
	s_mov_b64 s[0:1], -1
	s_cbranch_scc1 .LBB40_2129
; %bb.2124:
	s_cmp_gt_i32 s2, 6
	s_cbranch_scc0 .LBB40_2126
; %bb.2125:
	global_store_dwordx2 v[0:1], v[8:9], off
	s_mov_b64 s[0:1], 0
.LBB40_2126:
	s_andn2_b64 vcc, exec, s[0:1]
	s_cbranch_vccnz .LBB40_2128
; %bb.2127:
	v_cvt_f32_f64_e32 v2, v[8:9]
	global_store_dword v[0:1], v2, off
.LBB40_2128:
	s_mov_b64 s[0:1], 0
.LBB40_2129:
	s_andn2_b64 vcc, exec, s[0:1]
	s_cbranch_vccnz .LBB40_2131
; %bb.2130:
	s_movk_i32 s0, 0x1ff
	v_and_or_b32 v2, v9, s0, v8
	v_cmp_ne_u32_e32 vcc, 0, v2
	v_cndmask_b32_e64 v2, 0, 1, vcc
	s_waitcnt vmcnt(0)
	v_lshrrev_b32_e32 v3, 8, v9
	s_movk_i32 s0, 0xffe
	v_bfe_u32 v4, v9, 20, 11
	v_and_or_b32 v2, v3, s0, v2
	v_sub_u32_e32 v5, 0x3f1, v4
	v_or_b32_e32 v3, 0x1000, v2
	v_med3_i32 v5, v5, 0, 13
	v_lshrrev_b32_e32 v6, v5, v3
	v_lshlrev_b32_e32 v5, v5, v6
	v_cmp_ne_u32_e32 vcc, v5, v3
	v_cndmask_b32_e64 v3, 0, 1, vcc
	v_add_u32_e32 v4, 0xfffffc10, v4
	v_or_b32_e32 v3, v6, v3
	v_lshl_or_b32 v5, v4, 12, v2
	v_cmp_gt_i32_e32 vcc, 1, v4
	v_cndmask_b32_e32 v3, v5, v3, vcc
	v_and_b32_e32 v5, 7, v3
	v_cmp_lt_i32_e32 vcc, 5, v5
	v_cndmask_b32_e64 v6, 0, 1, vcc
	v_cmp_eq_u32_e32 vcc, 3, v5
	v_cndmask_b32_e64 v5, 0, 1, vcc
	v_or_b32_e32 v5, v5, v6
	v_lshrrev_b32_e32 v3, 2, v3
	v_add_u32_e32 v3, v3, v5
	v_mov_b32_e32 v5, 0x7c00
	v_cmp_gt_i32_e32 vcc, 31, v4
	v_cndmask_b32_e32 v3, v5, v3, vcc
	v_mov_b32_e32 v6, 0x7e00
	v_cmp_ne_u32_e32 vcc, 0, v2
	s_movk_i32 s0, 0x40f
	v_cndmask_b32_e32 v2, v5, v6, vcc
	v_cmp_eq_u32_e32 vcc, s0, v4
	v_cndmask_b32_e32 v2, v3, v2, vcc
	v_lshrrev_b32_e32 v3, 16, v9
	s_mov_b32 s0, 0x8000
	v_and_or_b32 v2, v3, s0, v2
	global_store_short v[0:1], v2, off
.LBB40_2131:
	s_mov_b64 s[0:1], 0
.LBB40_2132:
	s_andn2_b64 vcc, exec, s[0:1]
	s_cbranch_vccnz .LBB40_2148
; %bb.2133:
	s_sext_i32_i16 s2, s14
	s_cmp_lt_i32 s2, 2
	s_mov_b64 s[0:1], -1
	s_cbranch_scc1 .LBB40_2143
; %bb.2134:
	s_cmp_lt_i32 s2, 3
	s_cbranch_scc1 .LBB40_2140
; %bb.2135:
	s_cmp_gt_i32 s2, 3
	s_cbranch_scc0 .LBB40_2137
; %bb.2136:
	s_waitcnt vmcnt(0)
	v_trunc_f64_e32 v[2:3], v[8:9]
	s_movk_i32 s0, 0xffe0
	v_ldexp_f64 v[4:5], v[2:3], s0
	s_mov_b32 s0, 0
	s_mov_b32 s1, 0xc1f00000
	v_floor_f64_e32 v[4:5], v[4:5]
	v_fma_f64 v[2:3], v[4:5], s[0:1], v[2:3]
	v_cvt_i32_f64_e32 v4, v[4:5]
	s_mov_b64 s[0:1], 0
	v_cvt_u32_f64_e32 v3, v[2:3]
	global_store_dwordx2 v[0:1], v[3:4], off
.LBB40_2137:
	s_andn2_b64 vcc, exec, s[0:1]
	s_cbranch_vccnz .LBB40_2139
; %bb.2138:
	v_cvt_i32_f64_e32 v2, v[8:9]
	global_store_dword v[0:1], v2, off
.LBB40_2139:
	s_mov_b64 s[0:1], 0
.LBB40_2140:
	s_andn2_b64 vcc, exec, s[0:1]
	s_cbranch_vccnz .LBB40_2142
; %bb.2141:
	v_cvt_i32_f64_e32 v2, v[8:9]
	global_store_short v[0:1], v2, off
.LBB40_2142:
	s_mov_b64 s[0:1], 0
.LBB40_2143:
	s_andn2_b64 vcc, exec, s[0:1]
	s_cbranch_vccnz .LBB40_2148
; %bb.2144:
	s_sext_i32_i16 s0, s14
	s_cmp_gt_i32 s0, 0
	s_mov_b64 s[0:1], -1
	s_cbranch_scc0 .LBB40_2146
; %bb.2145:
	v_cvt_i32_f64_e32 v2, v[8:9]
	s_mov_b64 s[0:1], 0
	global_store_byte v[0:1], v2, off
.LBB40_2146:
	s_andn2_b64 vcc, exec, s[0:1]
	s_cbranch_vccnz .LBB40_2148
; %bb.2147:
	s_waitcnt vmcnt(0)
	v_trunc_f64_e32 v[2:3], v[8:9]
	s_movk_i32 s0, 0xffe0
	v_ldexp_f64 v[4:5], v[2:3], s0
	s_mov_b32 s0, 0
	s_mov_b32 s1, 0xc1f00000
	v_floor_f64_e32 v[4:5], v[4:5]
	v_fma_f64 v[2:3], v[4:5], s[0:1], v[2:3]
	v_cvt_u32_f64_e32 v2, v[2:3]
	global_store_byte v[0:1], v2, off
	s_endpgm
.LBB40_2148:
	s_endpgm
.LBB40_2149:
	s_mov_b64 s[4:5], 0
	s_mov_b64 s[0:1], -1
	s_branch .LBB40_2105
.LBB40_2150:
	s_trap 2
	s_or_b64 s[2:3], s[2:3], exec
	s_cbranch_execz .LBB40_1617
	s_branch .LBB40_1618
.LBB40_2151:
	s_andn2_saveexec_b64 s[12:13], s[12:13]
	s_cbranch_execz .LBB40_1699
.LBB40_2152:
	s_mov_b32 s17, 0x46000000
	v_add_f32_e64 v3, |v2|, s17
	v_and_b32_e32 v3, 0xff, v3
	v_cmp_ne_u32_e32 vcc, 0, v3
	s_andn2_b64 s[10:11], s[10:11], exec
	s_and_b64 s[18:19], vcc, exec
	s_or_b64 s[10:11], s[10:11], s[18:19]
	s_or_b64 exec, exec, s[12:13]
	v_mov_b32_e32 v7, 0
	s_and_saveexec_b64 s[12:13], s[10:11]
	s_cbranch_execnz .LBB40_1700
	s_branch .LBB40_1701
.LBB40_2153:
	s_trap 2
	s_or_b64 s[2:3], s[2:3], exec
	s_cbranch_execz .LBB40_1747
	s_branch .LBB40_1748
.LBB40_2154:
	s_andn2_saveexec_b64 s[10:11], s[10:11]
	s_cbranch_execz .LBB40_1712
.LBB40_2155:
	s_mov_b32 s12, 0x42800000
	v_add_f32_e64 v3, |v2|, s12
	v_and_b32_e32 v3, 0xff, v3
	v_cmp_ne_u32_e32 vcc, 0, v3
	s_andn2_b64 s[6:7], s[6:7], exec
	s_and_b64 s[12:13], vcc, exec
	s_or_b64 s[6:7], s[6:7], s[12:13]
	s_or_b64 exec, exec, s[10:11]
	v_mov_b32_e32 v7, 0
	s_and_saveexec_b64 s[10:11], s[6:7]
	s_cbranch_execnz .LBB40_1713
	s_branch .LBB40_1714
.LBB40_2156:
	s_andn2_saveexec_b64 s[12:13], s[12:13]
	s_cbranch_execz .LBB40_1818
.LBB40_2157:
	s_mov_b32 s16, 0x46000000
	v_add_f32_e64 v3, |v2|, s16
	v_and_b32_e32 v3, 0xff, v3
	v_cmp_ne_u32_e32 vcc, 0, v3
	s_andn2_b64 s[10:11], s[10:11], exec
	s_and_b64 s[16:17], vcc, exec
	s_or_b64 s[10:11], s[10:11], s[16:17]
	s_or_b64 exec, exec, s[12:13]
	v_mov_b32_e32 v6, 0
	s_and_saveexec_b64 s[12:13], s[10:11]
	s_cbranch_execnz .LBB40_1819
	s_branch .LBB40_1820
.LBB40_2158:
	s_trap 2
	s_or_b64 s[2:3], s[2:3], exec
	s_cbranch_execz .LBB40_1866
	s_branch .LBB40_1867
.LBB40_2159:
	s_andn2_saveexec_b64 s[10:11], s[10:11]
	s_cbranch_execz .LBB40_1831
.LBB40_2160:
	s_mov_b32 s12, 0x42800000
	v_add_f32_e64 v3, |v2|, s12
	v_and_b32_e32 v3, 0xff, v3
	v_cmp_ne_u32_e32 vcc, 0, v3
	s_andn2_b64 s[6:7], s[6:7], exec
	s_and_b64 s[12:13], vcc, exec
	s_or_b64 s[6:7], s[6:7], s[12:13]
	s_or_b64 exec, exec, s[10:11]
	v_mov_b32_e32 v6, 0
	s_and_saveexec_b64 s[10:11], s[6:7]
	s_cbranch_execnz .LBB40_1832
	s_branch .LBB40_1833
.LBB40_2161:
	s_andn2_saveexec_b64 s[12:13], s[12:13]
	s_cbranch_execz .LBB40_1937
.LBB40_2162:
	s_mov_b32 s16, 0x46000000
	v_add_f32_e64 v3, |v2|, s16
	v_and_b32_e32 v3, 0xff, v3
	v_cmp_ne_u32_e32 vcc, 0, v3
	s_andn2_b64 s[10:11], s[10:11], exec
	s_and_b64 s[16:17], vcc, exec
	s_or_b64 s[10:11], s[10:11], s[16:17]
	s_or_b64 exec, exec, s[12:13]
	v_mov_b32_e32 v4, 0
	s_and_saveexec_b64 s[12:13], s[10:11]
	s_cbranch_execnz .LBB40_1938
	s_branch .LBB40_1939
.LBB40_2163:
	s_trap 2
	s_or_b64 s[2:3], s[2:3], exec
	s_cbranch_execz .LBB40_1985
	s_branch .LBB40_1986
.LBB40_2164:
	s_andn2_saveexec_b64 s[10:11], s[10:11]
	s_cbranch_execz .LBB40_1950
.LBB40_2165:
	s_mov_b32 s12, 0x42800000
	v_add_f32_e64 v3, |v2|, s12
	v_and_b32_e32 v3, 0xff, v3
	v_cmp_ne_u32_e32 vcc, 0, v3
	s_andn2_b64 s[6:7], s[6:7], exec
	s_and_b64 s[12:13], vcc, exec
	s_or_b64 s[6:7], s[6:7], s[12:13]
	s_or_b64 exec, exec, s[10:11]
	v_mov_b32_e32 v4, 0
	s_and_saveexec_b64 s[10:11], s[6:7]
	s_cbranch_execnz .LBB40_1951
	s_branch .LBB40_1952
.LBB40_2166:
	s_andn2_saveexec_b64 s[10:11], s[10:11]
	s_cbranch_execz .LBB40_2057
.LBB40_2167:
	s_mov_b32 s13, 0x46000000
	v_add_f32_e64 v3, |v2|, s13
	v_and_b32_e32 v3, 0xff, v3
	v_cmp_ne_u32_e32 vcc, 0, v3
	s_andn2_b64 s[8:9], s[8:9], exec
	s_and_b64 s[16:17], vcc, exec
	s_or_b64 s[8:9], s[8:9], s[16:17]
	s_or_b64 exec, exec, s[10:11]
	v_mov_b32_e32 v4, 0
	s_and_saveexec_b64 s[10:11], s[8:9]
	s_cbranch_execnz .LBB40_2058
	s_branch .LBB40_2059
.LBB40_2168:
	s_mov_b64 s[4:5], 0
	s_or_b64 s[2:3], s[2:3], exec
	s_trap 2
	s_branch .LBB40_2103
.LBB40_2169:
	s_andn2_saveexec_b64 s[8:9], s[8:9]
	s_cbranch_execz .LBB40_2069
.LBB40_2170:
	s_mov_b32 s10, 0x42800000
	v_add_f32_e64 v3, |v2|, s10
	v_and_b32_e32 v3, 0xff, v3
	v_cmp_ne_u32_e32 vcc, 0, v3
	s_andn2_b64 s[6:7], s[6:7], exec
	s_and_b64 s[10:11], vcc, exec
	s_or_b64 s[6:7], s[6:7], s[10:11]
	s_or_b64 exec, exec, s[8:9]
	v_mov_b32_e32 v4, 0
	s_and_saveexec_b64 s[8:9], s[6:7]
	s_cbranch_execnz .LBB40_2070
	s_branch .LBB40_2071
	.section	.rodata,"a",@progbits
	.p2align	6, 0x0
	.amdhsa_kernel _ZN2at6native32elementwise_kernel_manual_unrollILi128ELi4EZNS0_15gpu_kernel_implIZZZNS0_16asin_kernel_cudaERNS_18TensorIteratorBaseEENKUlvE0_clEvENKUlvE_clEvEUldE_EEvS4_RKT_EUlibE0_EEviT1_
		.amdhsa_group_segment_fixed_size 0
		.amdhsa_private_segment_fixed_size 0
		.amdhsa_kernarg_size 360
		.amdhsa_user_sgpr_count 6
		.amdhsa_user_sgpr_private_segment_buffer 1
		.amdhsa_user_sgpr_dispatch_ptr 0
		.amdhsa_user_sgpr_queue_ptr 0
		.amdhsa_user_sgpr_kernarg_segment_ptr 1
		.amdhsa_user_sgpr_dispatch_id 0
		.amdhsa_user_sgpr_flat_scratch_init 0
		.amdhsa_user_sgpr_private_segment_size 0
		.amdhsa_uses_dynamic_stack 0
		.amdhsa_system_sgpr_private_segment_wavefront_offset 0
		.amdhsa_system_sgpr_workgroup_id_x 1
		.amdhsa_system_sgpr_workgroup_id_y 0
		.amdhsa_system_sgpr_workgroup_id_z 0
		.amdhsa_system_sgpr_workgroup_info 0
		.amdhsa_system_vgpr_workitem_id 0
		.amdhsa_next_free_vgpr 39
		.amdhsa_next_free_sgpr 78
		.amdhsa_reserve_vcc 1
		.amdhsa_reserve_flat_scratch 0
		.amdhsa_float_round_mode_32 0
		.amdhsa_float_round_mode_16_64 0
		.amdhsa_float_denorm_mode_32 3
		.amdhsa_float_denorm_mode_16_64 3
		.amdhsa_dx10_clamp 1
		.amdhsa_ieee_mode 1
		.amdhsa_fp16_overflow 0
		.amdhsa_exception_fp_ieee_invalid_op 0
		.amdhsa_exception_fp_denorm_src 0
		.amdhsa_exception_fp_ieee_div_zero 0
		.amdhsa_exception_fp_ieee_overflow 0
		.amdhsa_exception_fp_ieee_underflow 0
		.amdhsa_exception_fp_ieee_inexact 0
		.amdhsa_exception_int_div_zero 0
	.end_amdhsa_kernel
	.section	.text._ZN2at6native32elementwise_kernel_manual_unrollILi128ELi4EZNS0_15gpu_kernel_implIZZZNS0_16asin_kernel_cudaERNS_18TensorIteratorBaseEENKUlvE0_clEvENKUlvE_clEvEUldE_EEvS4_RKT_EUlibE0_EEviT1_,"axG",@progbits,_ZN2at6native32elementwise_kernel_manual_unrollILi128ELi4EZNS0_15gpu_kernel_implIZZZNS0_16asin_kernel_cudaERNS_18TensorIteratorBaseEENKUlvE0_clEvENKUlvE_clEvEUldE_EEvS4_RKT_EUlibE0_EEviT1_,comdat
.Lfunc_end40:
	.size	_ZN2at6native32elementwise_kernel_manual_unrollILi128ELi4EZNS0_15gpu_kernel_implIZZZNS0_16asin_kernel_cudaERNS_18TensorIteratorBaseEENKUlvE0_clEvENKUlvE_clEvEUldE_EEvS4_RKT_EUlibE0_EEviT1_, .Lfunc_end40-_ZN2at6native32elementwise_kernel_manual_unrollILi128ELi4EZNS0_15gpu_kernel_implIZZZNS0_16asin_kernel_cudaERNS_18TensorIteratorBaseEENKUlvE0_clEvENKUlvE_clEvEUldE_EEvS4_RKT_EUlibE0_EEviT1_
                                        ; -- End function
	.set _ZN2at6native32elementwise_kernel_manual_unrollILi128ELi4EZNS0_15gpu_kernel_implIZZZNS0_16asin_kernel_cudaERNS_18TensorIteratorBaseEENKUlvE0_clEvENKUlvE_clEvEUldE_EEvS4_RKT_EUlibE0_EEviT1_.num_vgpr, 39
	.set _ZN2at6native32elementwise_kernel_manual_unrollILi128ELi4EZNS0_15gpu_kernel_implIZZZNS0_16asin_kernel_cudaERNS_18TensorIteratorBaseEENKUlvE0_clEvENKUlvE_clEvEUldE_EEvS4_RKT_EUlibE0_EEviT1_.num_agpr, 0
	.set _ZN2at6native32elementwise_kernel_manual_unrollILi128ELi4EZNS0_15gpu_kernel_implIZZZNS0_16asin_kernel_cudaERNS_18TensorIteratorBaseEENKUlvE0_clEvENKUlvE_clEvEUldE_EEvS4_RKT_EUlibE0_EEviT1_.numbered_sgpr, 78
	.set _ZN2at6native32elementwise_kernel_manual_unrollILi128ELi4EZNS0_15gpu_kernel_implIZZZNS0_16asin_kernel_cudaERNS_18TensorIteratorBaseEENKUlvE0_clEvENKUlvE_clEvEUldE_EEvS4_RKT_EUlibE0_EEviT1_.num_named_barrier, 0
	.set _ZN2at6native32elementwise_kernel_manual_unrollILi128ELi4EZNS0_15gpu_kernel_implIZZZNS0_16asin_kernel_cudaERNS_18TensorIteratorBaseEENKUlvE0_clEvENKUlvE_clEvEUldE_EEvS4_RKT_EUlibE0_EEviT1_.private_seg_size, 0
	.set _ZN2at6native32elementwise_kernel_manual_unrollILi128ELi4EZNS0_15gpu_kernel_implIZZZNS0_16asin_kernel_cudaERNS_18TensorIteratorBaseEENKUlvE0_clEvENKUlvE_clEvEUldE_EEvS4_RKT_EUlibE0_EEviT1_.uses_vcc, 1
	.set _ZN2at6native32elementwise_kernel_manual_unrollILi128ELi4EZNS0_15gpu_kernel_implIZZZNS0_16asin_kernel_cudaERNS_18TensorIteratorBaseEENKUlvE0_clEvENKUlvE_clEvEUldE_EEvS4_RKT_EUlibE0_EEviT1_.uses_flat_scratch, 0
	.set _ZN2at6native32elementwise_kernel_manual_unrollILi128ELi4EZNS0_15gpu_kernel_implIZZZNS0_16asin_kernel_cudaERNS_18TensorIteratorBaseEENKUlvE0_clEvENKUlvE_clEvEUldE_EEvS4_RKT_EUlibE0_EEviT1_.has_dyn_sized_stack, 0
	.set _ZN2at6native32elementwise_kernel_manual_unrollILi128ELi4EZNS0_15gpu_kernel_implIZZZNS0_16asin_kernel_cudaERNS_18TensorIteratorBaseEENKUlvE0_clEvENKUlvE_clEvEUldE_EEvS4_RKT_EUlibE0_EEviT1_.has_recursion, 0
	.set _ZN2at6native32elementwise_kernel_manual_unrollILi128ELi4EZNS0_15gpu_kernel_implIZZZNS0_16asin_kernel_cudaERNS_18TensorIteratorBaseEENKUlvE0_clEvENKUlvE_clEvEUldE_EEvS4_RKT_EUlibE0_EEviT1_.has_indirect_call, 0
	.section	.AMDGPU.csdata,"",@progbits
; Kernel info:
; codeLenInByte = 47316
; TotalNumSgprs: 82
; NumVgprs: 39
; ScratchSize: 0
; MemoryBound: 1
; FloatMode: 240
; IeeeMode: 1
; LDSByteSize: 0 bytes/workgroup (compile time only)
; SGPRBlocks: 10
; VGPRBlocks: 9
; NumSGPRsForWavesPerEU: 82
; NumVGPRsForWavesPerEU: 39
; Occupancy: 6
; WaveLimiterHint : 1
; COMPUTE_PGM_RSRC2:SCRATCH_EN: 0
; COMPUTE_PGM_RSRC2:USER_SGPR: 6
; COMPUTE_PGM_RSRC2:TRAP_HANDLER: 0
; COMPUTE_PGM_RSRC2:TGID_X_EN: 1
; COMPUTE_PGM_RSRC2:TGID_Y_EN: 0
; COMPUTE_PGM_RSRC2:TGID_Z_EN: 0
; COMPUTE_PGM_RSRC2:TIDIG_COMP_CNT: 0
	.section	.text._ZN2at6native29vectorized_elementwise_kernelILi16EZZZNS0_16asin_kernel_cudaERNS_18TensorIteratorBaseEENKUlvE0_clEvENKUlvE0_clEvEUlfE_St5arrayIPcLm2EEEEviT0_T1_,"axG",@progbits,_ZN2at6native29vectorized_elementwise_kernelILi16EZZZNS0_16asin_kernel_cudaERNS_18TensorIteratorBaseEENKUlvE0_clEvENKUlvE0_clEvEUlfE_St5arrayIPcLm2EEEEviT0_T1_,comdat
	.globl	_ZN2at6native29vectorized_elementwise_kernelILi16EZZZNS0_16asin_kernel_cudaERNS_18TensorIteratorBaseEENKUlvE0_clEvENKUlvE0_clEvEUlfE_St5arrayIPcLm2EEEEviT0_T1_ ; -- Begin function _ZN2at6native29vectorized_elementwise_kernelILi16EZZZNS0_16asin_kernel_cudaERNS_18TensorIteratorBaseEENKUlvE0_clEvENKUlvE0_clEvEUlfE_St5arrayIPcLm2EEEEviT0_T1_
	.p2align	8
	.type	_ZN2at6native29vectorized_elementwise_kernelILi16EZZZNS0_16asin_kernel_cudaERNS_18TensorIteratorBaseEENKUlvE0_clEvENKUlvE0_clEvEUlfE_St5arrayIPcLm2EEEEviT0_T1_,@function
_ZN2at6native29vectorized_elementwise_kernelILi16EZZZNS0_16asin_kernel_cudaERNS_18TensorIteratorBaseEENKUlvE0_clEvENKUlvE0_clEvEUlfE_St5arrayIPcLm2EEEEviT0_T1_: ; @_ZN2at6native29vectorized_elementwise_kernelILi16EZZZNS0_16asin_kernel_cudaERNS_18TensorIteratorBaseEENKUlvE0_clEvENKUlvE0_clEvEUlfE_St5arrayIPcLm2EEEEviT0_T1_
; %bb.0:
	s_load_dword s0, s[4:5], 0x0
	s_load_dwordx4 s[8:11], s[4:5], 0x8
	s_lshl_b32 s2, s6, 10
	s_waitcnt lgkmcnt(0)
	s_sub_i32 s6, s0, s2
	s_cmpk_gt_i32 s6, 0x3ff
	s_mov_b64 s[0:1], -1
	s_cbranch_scc0 .LBB41_2
; %bb.1:
	s_ashr_i32 s3, s2, 31
	s_lshl_b64 s[0:1], s[2:3], 2
	s_add_u32 s4, s10, s0
	s_addc_u32 s5, s11, s1
	v_lshlrev_b32_e32 v5, 4, v0
	global_load_dwordx4 v[1:4], v5, s[4:5]
	v_mov_b32_e32 v7, 0x3c5fc5da
	v_mov_b32_e32 v8, 0x3d034c3c
	;; [unrolled: 1-line block ×8, first 2 shown]
	s_brev_b32 s3, -2
	s_add_u32 s0, s8, s0
	s_addc_u32 s1, s9, s1
	s_waitcnt vmcnt(0)
	v_fma_f32 v14, |v1|, -0.5, 0.5
	v_mul_f32_e32 v15, v1, v1
	v_cmp_ge_f32_e64 vcc, |v1|, 0.5
	v_fma_f32 v16, |v2|, -0.5, 0.5
	v_mul_f32_e32 v17, v2, v2
	v_cndmask_b32_e32 v14, v15, v14, vcc
	v_cmp_ge_f32_e64 vcc, |v2|, 0.5
	v_fma_f32 v18, |v3|, -0.5, 0.5
	v_mul_f32_e32 v19, v3, v3
	v_cndmask_b32_e32 v16, v17, v16, vcc
	;; [unrolled: 4-line block ×3, first 2 shown]
	v_cmp_ge_f32_e64 vcc, |v4|, 0.5
	v_fmac_f32_e32 v7, 0x3d1c21a7, v14
	v_cndmask_b32_e32 v15, v17, v15, vcc
	v_fmac_f32_e32 v12, 0x3d1c21a7, v16
	v_fma_f32 v7, v14, v7, v8
	v_sqrt_f32_e32 v17, v14
	v_fmac_f32_e32 v13, 0x3d1c21a7, v18
	v_fmac_f32_e32 v6, 0x3d1c21a7, v15
	v_fma_f32 v12, v16, v12, v8
	v_fma_f32 v7, v14, v7, v9
	v_sqrt_f32_e32 v19, v16
	v_fma_f32 v13, v18, v13, v8
	v_fmac_f32_e32 v8, v15, v6
	v_fma_f32 v12, v16, v12, v9
	v_fma_f32 v7, v14, v7, v10
	v_sqrt_f32_e32 v6, v18
	v_fma_f32 v13, v18, v13, v9
	v_fmac_f32_e32 v9, v15, v8
	v_fma_f32 v12, v16, v12, v10
	v_fma_f32 v7, v14, v7, v11
	v_sqrt_f32_e32 v8, v15
	v_fma_f32 v13, v18, v13, v10
	v_fmac_f32_e32 v10, v15, v9
	v_fma_f32 v9, v16, v12, v11
	v_mul_f32_e32 v7, v14, v7
	v_fma_f32 v12, v18, v13, v11
	v_mul_f32_e32 v9, v16, v9
	v_fmac_f32_e32 v17, v17, v7
	v_fmac_f32_e32 v11, v15, v10
	v_mul_f32_e32 v10, v18, v12
	v_fmac_f32_e32 v19, v19, v9
	v_add_f32_e32 v12, v17, v17
	v_mul_f32_e32 v11, v15, v11
	v_fma_f32 v7, |v1|, v7, |v1|
	v_fmac_f32_e32 v6, v6, v10
	v_add_f32_e32 v13, v19, v19
	v_sub_f32_e32 v12, 0x3fc90fdb, v12
	v_cmp_lt_f32_e64 vcc, |v1|, 0.5
	v_fma_f32 v9, |v2|, v9, |v2|
	v_fmac_f32_e32 v8, v8, v11
	v_add_f32_e32 v6, v6, v6
	v_sub_f32_e32 v13, 0x3fc90fdb, v13
	v_cndmask_b32_e32 v7, v12, v7, vcc
	v_cmp_lt_f32_e64 vcc, |v2|, 0.5
	v_fma_f32 v10, |v3|, v10, |v3|
	v_add_f32_e32 v8, v8, v8
	v_sub_f32_e32 v6, 0x3fc90fdb, v6
	v_cndmask_b32_e32 v9, v13, v9, vcc
	v_cmp_lt_f32_e64 vcc, |v3|, 0.5
	v_fma_f32 v11, |v4|, v11, |v4|
	v_sub_f32_e32 v8, 0x3fc90fdb, v8
	v_cndmask_b32_e32 v6, v6, v10, vcc
	v_cmp_lt_f32_e64 vcc, |v4|, 0.5
	v_cndmask_b32_e32 v8, v8, v11, vcc
	v_bfi_b32 v1, s3, v7, v1
	v_bfi_b32 v2, s3, v9, v2
	;; [unrolled: 1-line block ×4, first 2 shown]
	global_store_dwordx4 v5, v[1:4], s[0:1]
	s_mov_b64 s[0:1], 0
.LBB41_2:
	s_andn2_b64 vcc, exec, s[0:1]
	s_cbranch_vccnz .LBB41_23
; %bb.3:
	v_cmp_gt_i32_e32 vcc, s6, v0
	v_mov_b32_e32 v7, 0
	v_or_b32_e32 v5, s2, v0
	v_mov_b32_e32 v9, 0
	v_mov_b32_e32 v1, v0
	s_and_saveexec_b64 s[4:5], vcc
	s_cbranch_execz .LBB41_5
; %bb.4:
	v_mov_b32_e32 v6, 0
	v_lshlrev_b64 v[1:2], 2, v[5:6]
	v_mov_b32_e32 v3, s11
	v_add_co_u32_e64 v1, s[0:1], s10, v1
	v_addc_co_u32_e64 v2, s[0:1], v3, v2, s[0:1]
	global_load_dword v9, v[1:2], off
	v_or_b32_e32 v1, 0x100, v0
.LBB41_5:
	s_or_b64 exec, exec, s[4:5]
	v_cmp_gt_i32_e64 s[0:1], s6, v1
	s_and_saveexec_b64 s[4:5], s[0:1]
	s_cbranch_execz .LBB41_7
; %bb.6:
	v_add_u32_e32 v2, s2, v1
	v_mov_b32_e32 v3, 0
	v_lshlrev_b64 v[2:3], 2, v[2:3]
	v_mov_b32_e32 v4, s11
	v_add_co_u32_e64 v2, s[0:1], s10, v2
	v_addc_co_u32_e64 v3, s[0:1], v4, v3, s[0:1]
	global_load_dword v7, v[2:3], off
	v_add_u32_e32 v1, 0x100, v1
.LBB41_7:
	s_or_b64 exec, exec, s[4:5]
	v_cmp_gt_i32_e64 s[0:1], s6, v1
	v_mov_b32_e32 v6, 0
	v_mov_b32_e32 v8, 0
	s_and_saveexec_b64 s[4:5], s[0:1]
	s_cbranch_execz .LBB41_9
; %bb.8:
	v_add_u32_e32 v2, s2, v1
	v_mov_b32_e32 v3, 0
	v_lshlrev_b64 v[2:3], 2, v[2:3]
	v_mov_b32_e32 v4, s11
	v_add_co_u32_e64 v2, s[0:1], s10, v2
	v_addc_co_u32_e64 v3, s[0:1], v4, v3, s[0:1]
	global_load_dword v8, v[2:3], off
	v_add_u32_e32 v1, 0x100, v1
.LBB41_9:
	s_or_b64 exec, exec, s[4:5]
	v_cmp_gt_i32_e64 s[0:1], s6, v1
	s_and_saveexec_b64 s[4:5], s[0:1]
	s_cbranch_execz .LBB41_11
; %bb.10:
	v_add_u32_e32 v1, s2, v1
	v_mov_b32_e32 v2, 0
	v_lshlrev_b64 v[1:2], 2, v[1:2]
	v_mov_b32_e32 v3, s11
	v_add_co_u32_e64 v1, s[0:1], s10, v1
	v_addc_co_u32_e64 v2, s[0:1], v3, v2, s[0:1]
	global_load_dword v6, v[1:2], off
.LBB41_11:
	s_or_b64 exec, exec, s[4:5]
	v_mov_b32_e32 v1, 0
	v_mov_b32_e32 v2, v1
	;; [unrolled: 1-line block ×4, first 2 shown]
	s_and_saveexec_b64 s[4:5], vcc
	s_cbranch_execz .LBB41_13
; %bb.12:
	s_waitcnt vmcnt(0)
	v_fma_f32 v2, |v9|, -0.5, 0.5
	v_mul_f32_e32 v3, v9, v9
	v_cmp_ge_f32_e64 s[0:1], |v9|, 0.5
	v_cndmask_b32_e64 v2, v3, v2, s[0:1]
	v_mov_b32_e32 v3, 0x3c5fc5da
	v_fmac_f32_e32 v3, 0x3d1c21a7, v2
	v_mov_b32_e32 v4, 0x3d034c3c
	v_fmac_f32_e32 v4, v2, v3
	;; [unrolled: 2-line block ×4, first 2 shown]
	v_sqrt_f32_e32 v3, v2
	v_mov_b32_e32 v10, 0x3e2aaaac
	v_fmac_f32_e32 v10, v2, v4
	v_mul_f32_e32 v2, v2, v10
	v_fmac_f32_e32 v3, v3, v2
	v_add_f32_e32 v3, v3, v3
	v_sub_f32_e32 v3, 0x3fc90fdb, v3
	v_fma_f32 v2, |v9|, v2, |v9|
	v_cmp_lt_f32_e64 s[0:1], |v9|, 0.5
	v_cndmask_b32_e64 v2, v3, v2, s[0:1]
	s_brev_b32 s0, -2
	v_bfi_b32 v9, s0, v2, v9
	v_mov_b32_e32 v10, v1
	v_mov_b32_e32 v11, v1
	;; [unrolled: 1-line block ×7, first 2 shown]
.LBB41_13:
	s_or_b64 exec, exec, s[4:5]
	s_waitcnt vmcnt(0)
	v_or_b32_e32 v9, 0x100, v0
	v_cmp_gt_i32_e64 s[0:1], s6, v9
	s_and_saveexec_b64 s[4:5], s[0:1]
	s_cbranch_execz .LBB41_15
; %bb.14:
	v_fma_f32 v2, |v7|, -0.5, 0.5
	v_mul_f32_e32 v10, v7, v7
	v_cmp_ge_f32_e64 s[0:1], |v7|, 0.5
	v_cndmask_b32_e64 v2, v10, v2, s[0:1]
	v_mov_b32_e32 v10, 0x3c5fc5da
	v_fmac_f32_e32 v10, 0x3d1c21a7, v2
	v_mov_b32_e32 v11, 0x3d034c3c
	v_fmac_f32_e32 v11, v2, v10
	;; [unrolled: 2-line block ×4, first 2 shown]
	v_sqrt_f32_e32 v10, v2
	v_mov_b32_e32 v12, 0x3e2aaaac
	v_fmac_f32_e32 v12, v2, v11
	v_mul_f32_e32 v2, v2, v12
	v_fmac_f32_e32 v10, v10, v2
	v_add_f32_e32 v10, v10, v10
	v_sub_f32_e32 v10, 0x3fc90fdb, v10
	v_fma_f32 v2, |v7|, v2, |v7|
	v_cmp_lt_f32_e64 s[0:1], |v7|, 0.5
	v_cndmask_b32_e64 v2, v10, v2, s[0:1]
	s_brev_b32 s0, -2
	v_bfi_b32 v2, s0, v2, v7
.LBB41_15:
	s_or_b64 exec, exec, s[4:5]
	v_or_b32_e32 v7, 0x200, v0
	v_cmp_gt_i32_e64 s[0:1], s6, v7
	s_and_saveexec_b64 s[4:5], s[0:1]
	s_cbranch_execz .LBB41_17
; %bb.16:
	v_fma_f32 v3, |v8|, -0.5, 0.5
	v_mul_f32_e32 v7, v8, v8
	v_cmp_ge_f32_e64 s[0:1], |v8|, 0.5
	v_cndmask_b32_e64 v3, v7, v3, s[0:1]
	v_mov_b32_e32 v7, 0x3c5fc5da
	v_fmac_f32_e32 v7, 0x3d1c21a7, v3
	v_mov_b32_e32 v10, 0x3d034c3c
	v_fmac_f32_e32 v10, v3, v7
	;; [unrolled: 2-line block ×4, first 2 shown]
	v_sqrt_f32_e32 v7, v3
	v_mov_b32_e32 v11, 0x3e2aaaac
	v_fmac_f32_e32 v11, v3, v10
	v_mul_f32_e32 v3, v3, v11
	v_fmac_f32_e32 v7, v7, v3
	v_add_f32_e32 v7, v7, v7
	v_sub_f32_e32 v7, 0x3fc90fdb, v7
	v_fma_f32 v3, |v8|, v3, |v8|
	v_cmp_lt_f32_e64 s[0:1], |v8|, 0.5
	v_cndmask_b32_e64 v3, v7, v3, s[0:1]
	s_brev_b32 s0, -2
	v_bfi_b32 v3, s0, v3, v8
.LBB41_17:
	s_or_b64 exec, exec, s[4:5]
	v_or_b32_e32 v7, 0x300, v0
	v_cmp_gt_i32_e64 s[0:1], s6, v7
	s_and_saveexec_b64 s[4:5], s[0:1]
	s_cbranch_execnz .LBB41_24
; %bb.18:
	s_or_b64 exec, exec, s[4:5]
	s_and_saveexec_b64 s[0:1], vcc
	s_xor_b64 s[0:1], exec, s[0:1]
	s_cbranch_execnz .LBB41_25
.LBB41_19:
	s_or_b64 exec, exec, s[0:1]
	v_cmp_gt_i32_e32 vcc, s6, v0
	s_and_saveexec_b64 s[0:1], vcc
	s_cbranch_execnz .LBB41_26
.LBB41_20:
	s_or_b64 exec, exec, s[0:1]
	v_cmp_gt_i32_e32 vcc, s6, v0
	s_and_saveexec_b64 s[0:1], vcc
	s_cbranch_execnz .LBB41_27
.LBB41_21:
	s_or_b64 exec, exec, s[0:1]
	v_cmp_gt_i32_e32 vcc, s6, v0
	s_and_saveexec_b64 s[0:1], vcc
	s_cbranch_execz .LBB41_23
.LBB41_22:
	v_add_u32_e32 v0, s2, v0
	v_mov_b32_e32 v1, 0
	v_lshlrev_b64 v[0:1], 2, v[0:1]
	v_mov_b32_e32 v2, s9
	v_add_co_u32_e32 v0, vcc, s8, v0
	v_addc_co_u32_e32 v1, vcc, v2, v1, vcc
	global_store_dword v[0:1], v4, off
.LBB41_23:
	s_endpgm
.LBB41_24:
	v_fma_f32 v4, |v6|, -0.5, 0.5
	v_mul_f32_e32 v7, v6, v6
	v_cmp_ge_f32_e64 s[0:1], |v6|, 0.5
	v_cndmask_b32_e64 v4, v7, v4, s[0:1]
	v_mov_b32_e32 v7, 0x3c5fc5da
	v_fmac_f32_e32 v7, 0x3d1c21a7, v4
	v_mov_b32_e32 v8, 0x3d034c3c
	v_fmac_f32_e32 v8, v4, v7
	v_mov_b32_e32 v7, 0x3d3641b1
	v_fmac_f32_e32 v7, v4, v8
	v_mov_b32_e32 v8, 0x3d999bc8
	v_fmac_f32_e32 v8, v4, v7
	v_sqrt_f32_e32 v7, v4
	v_mov_b32_e32 v10, 0x3e2aaaac
	v_fmac_f32_e32 v10, v4, v8
	v_mul_f32_e32 v4, v4, v10
	v_fmac_f32_e32 v7, v7, v4
	v_add_f32_e32 v7, v7, v7
	v_sub_f32_e32 v7, 0x3fc90fdb, v7
	v_fma_f32 v4, |v6|, v4, |v6|
	v_cmp_lt_f32_e64 s[0:1], |v6|, 0.5
	v_cndmask_b32_e64 v4, v7, v4, s[0:1]
	s_brev_b32 s0, -2
	v_bfi_b32 v4, s0, v4, v6
	s_or_b64 exec, exec, s[4:5]
	s_and_saveexec_b64 s[0:1], vcc
	s_xor_b64 s[0:1], exec, s[0:1]
	s_cbranch_execz .LBB41_19
.LBB41_25:
	v_mov_b32_e32 v6, 0
	v_lshlrev_b64 v[5:6], 2, v[5:6]
	v_mov_b32_e32 v0, s9
	v_add_co_u32_e32 v5, vcc, s8, v5
	v_addc_co_u32_e32 v6, vcc, v0, v6, vcc
	v_mov_b32_e32 v0, v9
	global_store_dword v[5:6], v1, off
	s_or_b64 exec, exec, s[0:1]
	v_cmp_gt_i32_e32 vcc, s6, v0
	s_and_saveexec_b64 s[0:1], vcc
	s_cbranch_execz .LBB41_20
.LBB41_26:
	v_add_u32_e32 v5, s2, v0
	v_mov_b32_e32 v6, 0
	v_lshlrev_b64 v[5:6], 2, v[5:6]
	v_mov_b32_e32 v1, s9
	v_add_co_u32_e32 v5, vcc, s8, v5
	v_addc_co_u32_e32 v6, vcc, v1, v6, vcc
	v_add_u32_e32 v0, 0x100, v0
	global_store_dword v[5:6], v2, off
	s_or_b64 exec, exec, s[0:1]
	v_cmp_gt_i32_e32 vcc, s6, v0
	s_and_saveexec_b64 s[0:1], vcc
	s_cbranch_execz .LBB41_21
.LBB41_27:
	v_add_u32_e32 v1, s2, v0
	v_mov_b32_e32 v2, 0
	v_lshlrev_b64 v[1:2], 2, v[1:2]
	v_mov_b32_e32 v5, s9
	v_add_co_u32_e32 v1, vcc, s8, v1
	v_addc_co_u32_e32 v2, vcc, v5, v2, vcc
	v_add_u32_e32 v0, 0x100, v0
	global_store_dword v[1:2], v3, off
	s_or_b64 exec, exec, s[0:1]
	v_cmp_gt_i32_e32 vcc, s6, v0
	s_and_saveexec_b64 s[0:1], vcc
	s_cbranch_execnz .LBB41_22
	s_branch .LBB41_23
	.section	.rodata,"a",@progbits
	.p2align	6, 0x0
	.amdhsa_kernel _ZN2at6native29vectorized_elementwise_kernelILi16EZZZNS0_16asin_kernel_cudaERNS_18TensorIteratorBaseEENKUlvE0_clEvENKUlvE0_clEvEUlfE_St5arrayIPcLm2EEEEviT0_T1_
		.amdhsa_group_segment_fixed_size 0
		.amdhsa_private_segment_fixed_size 0
		.amdhsa_kernarg_size 24
		.amdhsa_user_sgpr_count 6
		.amdhsa_user_sgpr_private_segment_buffer 1
		.amdhsa_user_sgpr_dispatch_ptr 0
		.amdhsa_user_sgpr_queue_ptr 0
		.amdhsa_user_sgpr_kernarg_segment_ptr 1
		.amdhsa_user_sgpr_dispatch_id 0
		.amdhsa_user_sgpr_flat_scratch_init 0
		.amdhsa_user_sgpr_private_segment_size 0
		.amdhsa_uses_dynamic_stack 0
		.amdhsa_system_sgpr_private_segment_wavefront_offset 0
		.amdhsa_system_sgpr_workgroup_id_x 1
		.amdhsa_system_sgpr_workgroup_id_y 0
		.amdhsa_system_sgpr_workgroup_id_z 0
		.amdhsa_system_sgpr_workgroup_info 0
		.amdhsa_system_vgpr_workitem_id 0
		.amdhsa_next_free_vgpr 20
		.amdhsa_next_free_sgpr 12
		.amdhsa_reserve_vcc 1
		.amdhsa_reserve_flat_scratch 0
		.amdhsa_float_round_mode_32 0
		.amdhsa_float_round_mode_16_64 0
		.amdhsa_float_denorm_mode_32 3
		.amdhsa_float_denorm_mode_16_64 3
		.amdhsa_dx10_clamp 1
		.amdhsa_ieee_mode 1
		.amdhsa_fp16_overflow 0
		.amdhsa_exception_fp_ieee_invalid_op 0
		.amdhsa_exception_fp_denorm_src 0
		.amdhsa_exception_fp_ieee_div_zero 0
		.amdhsa_exception_fp_ieee_overflow 0
		.amdhsa_exception_fp_ieee_underflow 0
		.amdhsa_exception_fp_ieee_inexact 0
		.amdhsa_exception_int_div_zero 0
	.end_amdhsa_kernel
	.section	.text._ZN2at6native29vectorized_elementwise_kernelILi16EZZZNS0_16asin_kernel_cudaERNS_18TensorIteratorBaseEENKUlvE0_clEvENKUlvE0_clEvEUlfE_St5arrayIPcLm2EEEEviT0_T1_,"axG",@progbits,_ZN2at6native29vectorized_elementwise_kernelILi16EZZZNS0_16asin_kernel_cudaERNS_18TensorIteratorBaseEENKUlvE0_clEvENKUlvE0_clEvEUlfE_St5arrayIPcLm2EEEEviT0_T1_,comdat
.Lfunc_end41:
	.size	_ZN2at6native29vectorized_elementwise_kernelILi16EZZZNS0_16asin_kernel_cudaERNS_18TensorIteratorBaseEENKUlvE0_clEvENKUlvE0_clEvEUlfE_St5arrayIPcLm2EEEEviT0_T1_, .Lfunc_end41-_ZN2at6native29vectorized_elementwise_kernelILi16EZZZNS0_16asin_kernel_cudaERNS_18TensorIteratorBaseEENKUlvE0_clEvENKUlvE0_clEvEUlfE_St5arrayIPcLm2EEEEviT0_T1_
                                        ; -- End function
	.set _ZN2at6native29vectorized_elementwise_kernelILi16EZZZNS0_16asin_kernel_cudaERNS_18TensorIteratorBaseEENKUlvE0_clEvENKUlvE0_clEvEUlfE_St5arrayIPcLm2EEEEviT0_T1_.num_vgpr, 20
	.set _ZN2at6native29vectorized_elementwise_kernelILi16EZZZNS0_16asin_kernel_cudaERNS_18TensorIteratorBaseEENKUlvE0_clEvENKUlvE0_clEvEUlfE_St5arrayIPcLm2EEEEviT0_T1_.num_agpr, 0
	.set _ZN2at6native29vectorized_elementwise_kernelILi16EZZZNS0_16asin_kernel_cudaERNS_18TensorIteratorBaseEENKUlvE0_clEvENKUlvE0_clEvEUlfE_St5arrayIPcLm2EEEEviT0_T1_.numbered_sgpr, 12
	.set _ZN2at6native29vectorized_elementwise_kernelILi16EZZZNS0_16asin_kernel_cudaERNS_18TensorIteratorBaseEENKUlvE0_clEvENKUlvE0_clEvEUlfE_St5arrayIPcLm2EEEEviT0_T1_.num_named_barrier, 0
	.set _ZN2at6native29vectorized_elementwise_kernelILi16EZZZNS0_16asin_kernel_cudaERNS_18TensorIteratorBaseEENKUlvE0_clEvENKUlvE0_clEvEUlfE_St5arrayIPcLm2EEEEviT0_T1_.private_seg_size, 0
	.set _ZN2at6native29vectorized_elementwise_kernelILi16EZZZNS0_16asin_kernel_cudaERNS_18TensorIteratorBaseEENKUlvE0_clEvENKUlvE0_clEvEUlfE_St5arrayIPcLm2EEEEviT0_T1_.uses_vcc, 1
	.set _ZN2at6native29vectorized_elementwise_kernelILi16EZZZNS0_16asin_kernel_cudaERNS_18TensorIteratorBaseEENKUlvE0_clEvENKUlvE0_clEvEUlfE_St5arrayIPcLm2EEEEviT0_T1_.uses_flat_scratch, 0
	.set _ZN2at6native29vectorized_elementwise_kernelILi16EZZZNS0_16asin_kernel_cudaERNS_18TensorIteratorBaseEENKUlvE0_clEvENKUlvE0_clEvEUlfE_St5arrayIPcLm2EEEEviT0_T1_.has_dyn_sized_stack, 0
	.set _ZN2at6native29vectorized_elementwise_kernelILi16EZZZNS0_16asin_kernel_cudaERNS_18TensorIteratorBaseEENKUlvE0_clEvENKUlvE0_clEvEUlfE_St5arrayIPcLm2EEEEviT0_T1_.has_recursion, 0
	.set _ZN2at6native29vectorized_elementwise_kernelILi16EZZZNS0_16asin_kernel_cudaERNS_18TensorIteratorBaseEENKUlvE0_clEvENKUlvE0_clEvEUlfE_St5arrayIPcLm2EEEEviT0_T1_.has_indirect_call, 0
	.section	.AMDGPU.csdata,"",@progbits
; Kernel info:
; codeLenInByte = 1960
; TotalNumSgprs: 16
; NumVgprs: 20
; ScratchSize: 0
; MemoryBound: 0
; FloatMode: 240
; IeeeMode: 1
; LDSByteSize: 0 bytes/workgroup (compile time only)
; SGPRBlocks: 1
; VGPRBlocks: 4
; NumSGPRsForWavesPerEU: 16
; NumVGPRsForWavesPerEU: 20
; Occupancy: 10
; WaveLimiterHint : 0
; COMPUTE_PGM_RSRC2:SCRATCH_EN: 0
; COMPUTE_PGM_RSRC2:USER_SGPR: 6
; COMPUTE_PGM_RSRC2:TRAP_HANDLER: 0
; COMPUTE_PGM_RSRC2:TGID_X_EN: 1
; COMPUTE_PGM_RSRC2:TGID_Y_EN: 0
; COMPUTE_PGM_RSRC2:TGID_Z_EN: 0
; COMPUTE_PGM_RSRC2:TIDIG_COMP_CNT: 0
	.section	.text._ZN2at6native29vectorized_elementwise_kernelILi8EZZZNS0_16asin_kernel_cudaERNS_18TensorIteratorBaseEENKUlvE0_clEvENKUlvE0_clEvEUlfE_St5arrayIPcLm2EEEEviT0_T1_,"axG",@progbits,_ZN2at6native29vectorized_elementwise_kernelILi8EZZZNS0_16asin_kernel_cudaERNS_18TensorIteratorBaseEENKUlvE0_clEvENKUlvE0_clEvEUlfE_St5arrayIPcLm2EEEEviT0_T1_,comdat
	.globl	_ZN2at6native29vectorized_elementwise_kernelILi8EZZZNS0_16asin_kernel_cudaERNS_18TensorIteratorBaseEENKUlvE0_clEvENKUlvE0_clEvEUlfE_St5arrayIPcLm2EEEEviT0_T1_ ; -- Begin function _ZN2at6native29vectorized_elementwise_kernelILi8EZZZNS0_16asin_kernel_cudaERNS_18TensorIteratorBaseEENKUlvE0_clEvENKUlvE0_clEvEUlfE_St5arrayIPcLm2EEEEviT0_T1_
	.p2align	8
	.type	_ZN2at6native29vectorized_elementwise_kernelILi8EZZZNS0_16asin_kernel_cudaERNS_18TensorIteratorBaseEENKUlvE0_clEvENKUlvE0_clEvEUlfE_St5arrayIPcLm2EEEEviT0_T1_,@function
_ZN2at6native29vectorized_elementwise_kernelILi8EZZZNS0_16asin_kernel_cudaERNS_18TensorIteratorBaseEENKUlvE0_clEvENKUlvE0_clEvEUlfE_St5arrayIPcLm2EEEEviT0_T1_: ; @_ZN2at6native29vectorized_elementwise_kernelILi8EZZZNS0_16asin_kernel_cudaERNS_18TensorIteratorBaseEENKUlvE0_clEvENKUlvE0_clEvEUlfE_St5arrayIPcLm2EEEEviT0_T1_
; %bb.0:
	s_load_dword s0, s[4:5], 0x0
	s_load_dwordx4 s[8:11], s[4:5], 0x8
	s_lshl_b32 s2, s6, 10
	s_waitcnt lgkmcnt(0)
	s_sub_i32 s6, s0, s2
	s_cmpk_gt_i32 s6, 0x3ff
	s_mov_b64 s[0:1], -1
	s_cbranch_scc0 .LBB42_2
; %bb.1:
	s_ashr_i32 s3, s2, 31
	s_lshl_b64 s[0:1], s[2:3], 2
	s_add_u32 s4, s10, s0
	s_addc_u32 s5, s11, s1
	v_lshlrev_b32_e32 v5, 4, v0
	global_load_dwordx4 v[1:4], v5, s[4:5]
	v_mov_b32_e32 v7, 0x3c5fc5da
	v_mov_b32_e32 v8, 0x3d034c3c
	;; [unrolled: 1-line block ×8, first 2 shown]
	s_brev_b32 s3, -2
	s_add_u32 s0, s8, s0
	s_addc_u32 s1, s9, s1
	s_waitcnt vmcnt(0)
	v_fma_f32 v14, |v1|, -0.5, 0.5
	v_mul_f32_e32 v15, v1, v1
	v_cmp_ge_f32_e64 vcc, |v1|, 0.5
	v_fma_f32 v16, |v2|, -0.5, 0.5
	v_mul_f32_e32 v17, v2, v2
	v_cndmask_b32_e32 v14, v15, v14, vcc
	v_cmp_ge_f32_e64 vcc, |v2|, 0.5
	v_fma_f32 v18, |v3|, -0.5, 0.5
	v_mul_f32_e32 v19, v3, v3
	v_cndmask_b32_e32 v16, v17, v16, vcc
	;; [unrolled: 4-line block ×3, first 2 shown]
	v_cmp_ge_f32_e64 vcc, |v4|, 0.5
	v_fmac_f32_e32 v7, 0x3d1c21a7, v14
	v_cndmask_b32_e32 v15, v17, v15, vcc
	v_fmac_f32_e32 v12, 0x3d1c21a7, v16
	v_fma_f32 v7, v14, v7, v8
	v_sqrt_f32_e32 v17, v14
	v_fmac_f32_e32 v13, 0x3d1c21a7, v18
	v_fmac_f32_e32 v6, 0x3d1c21a7, v15
	v_fma_f32 v12, v16, v12, v8
	v_fma_f32 v7, v14, v7, v9
	v_sqrt_f32_e32 v19, v16
	v_fma_f32 v13, v18, v13, v8
	v_fmac_f32_e32 v8, v15, v6
	v_fma_f32 v12, v16, v12, v9
	v_fma_f32 v7, v14, v7, v10
	v_sqrt_f32_e32 v6, v18
	v_fma_f32 v13, v18, v13, v9
	;; [unrolled: 5-line block ×3, first 2 shown]
	v_fmac_f32_e32 v10, v15, v9
	v_fma_f32 v9, v16, v12, v11
	v_mul_f32_e32 v7, v14, v7
	v_fma_f32 v12, v18, v13, v11
	v_mul_f32_e32 v9, v16, v9
	v_fmac_f32_e32 v17, v17, v7
	v_fmac_f32_e32 v11, v15, v10
	v_mul_f32_e32 v10, v18, v12
	v_fmac_f32_e32 v19, v19, v9
	v_add_f32_e32 v12, v17, v17
	v_mul_f32_e32 v11, v15, v11
	v_fma_f32 v7, |v1|, v7, |v1|
	v_fmac_f32_e32 v6, v6, v10
	v_add_f32_e32 v13, v19, v19
	v_sub_f32_e32 v12, 0x3fc90fdb, v12
	v_cmp_lt_f32_e64 vcc, |v1|, 0.5
	v_fma_f32 v9, |v2|, v9, |v2|
	v_fmac_f32_e32 v8, v8, v11
	v_add_f32_e32 v6, v6, v6
	v_sub_f32_e32 v13, 0x3fc90fdb, v13
	v_cndmask_b32_e32 v7, v12, v7, vcc
	v_cmp_lt_f32_e64 vcc, |v2|, 0.5
	v_fma_f32 v10, |v3|, v10, |v3|
	v_add_f32_e32 v8, v8, v8
	v_sub_f32_e32 v6, 0x3fc90fdb, v6
	v_cndmask_b32_e32 v9, v13, v9, vcc
	v_cmp_lt_f32_e64 vcc, |v3|, 0.5
	v_fma_f32 v11, |v4|, v11, |v4|
	v_sub_f32_e32 v8, 0x3fc90fdb, v8
	v_cndmask_b32_e32 v6, v6, v10, vcc
	v_cmp_lt_f32_e64 vcc, |v4|, 0.5
	v_cndmask_b32_e32 v8, v8, v11, vcc
	v_bfi_b32 v1, s3, v7, v1
	v_bfi_b32 v2, s3, v9, v2
	;; [unrolled: 1-line block ×4, first 2 shown]
	global_store_dwordx4 v5, v[1:4], s[0:1]
	s_mov_b64 s[0:1], 0
.LBB42_2:
	s_andn2_b64 vcc, exec, s[0:1]
	s_cbranch_vccnz .LBB42_23
; %bb.3:
	v_cmp_gt_i32_e32 vcc, s6, v0
	v_mov_b32_e32 v7, 0
	v_or_b32_e32 v5, s2, v0
	v_mov_b32_e32 v9, 0
	v_mov_b32_e32 v1, v0
	s_and_saveexec_b64 s[4:5], vcc
	s_cbranch_execz .LBB42_5
; %bb.4:
	v_mov_b32_e32 v6, 0
	v_lshlrev_b64 v[1:2], 2, v[5:6]
	v_mov_b32_e32 v3, s11
	v_add_co_u32_e64 v1, s[0:1], s10, v1
	v_addc_co_u32_e64 v2, s[0:1], v3, v2, s[0:1]
	global_load_dword v9, v[1:2], off
	v_or_b32_e32 v1, 0x100, v0
.LBB42_5:
	s_or_b64 exec, exec, s[4:5]
	v_cmp_gt_i32_e64 s[0:1], s6, v1
	s_and_saveexec_b64 s[4:5], s[0:1]
	s_cbranch_execz .LBB42_7
; %bb.6:
	v_add_u32_e32 v2, s2, v1
	v_mov_b32_e32 v3, 0
	v_lshlrev_b64 v[2:3], 2, v[2:3]
	v_mov_b32_e32 v4, s11
	v_add_co_u32_e64 v2, s[0:1], s10, v2
	v_addc_co_u32_e64 v3, s[0:1], v4, v3, s[0:1]
	global_load_dword v7, v[2:3], off
	v_add_u32_e32 v1, 0x100, v1
.LBB42_7:
	s_or_b64 exec, exec, s[4:5]
	v_cmp_gt_i32_e64 s[0:1], s6, v1
	v_mov_b32_e32 v6, 0
	v_mov_b32_e32 v8, 0
	s_and_saveexec_b64 s[4:5], s[0:1]
	s_cbranch_execz .LBB42_9
; %bb.8:
	v_add_u32_e32 v2, s2, v1
	v_mov_b32_e32 v3, 0
	v_lshlrev_b64 v[2:3], 2, v[2:3]
	v_mov_b32_e32 v4, s11
	v_add_co_u32_e64 v2, s[0:1], s10, v2
	v_addc_co_u32_e64 v3, s[0:1], v4, v3, s[0:1]
	global_load_dword v8, v[2:3], off
	v_add_u32_e32 v1, 0x100, v1
.LBB42_9:
	s_or_b64 exec, exec, s[4:5]
	v_cmp_gt_i32_e64 s[0:1], s6, v1
	s_and_saveexec_b64 s[4:5], s[0:1]
	s_cbranch_execz .LBB42_11
; %bb.10:
	v_add_u32_e32 v1, s2, v1
	v_mov_b32_e32 v2, 0
	v_lshlrev_b64 v[1:2], 2, v[1:2]
	v_mov_b32_e32 v3, s11
	v_add_co_u32_e64 v1, s[0:1], s10, v1
	v_addc_co_u32_e64 v2, s[0:1], v3, v2, s[0:1]
	global_load_dword v6, v[1:2], off
.LBB42_11:
	s_or_b64 exec, exec, s[4:5]
	v_mov_b32_e32 v1, 0
	v_mov_b32_e32 v2, v1
	;; [unrolled: 1-line block ×4, first 2 shown]
	s_and_saveexec_b64 s[4:5], vcc
	s_cbranch_execz .LBB42_13
; %bb.12:
	s_waitcnt vmcnt(0)
	v_fma_f32 v2, |v9|, -0.5, 0.5
	v_mul_f32_e32 v3, v9, v9
	v_cmp_ge_f32_e64 s[0:1], |v9|, 0.5
	v_cndmask_b32_e64 v2, v3, v2, s[0:1]
	v_mov_b32_e32 v3, 0x3c5fc5da
	v_fmac_f32_e32 v3, 0x3d1c21a7, v2
	v_mov_b32_e32 v4, 0x3d034c3c
	v_fmac_f32_e32 v4, v2, v3
	;; [unrolled: 2-line block ×4, first 2 shown]
	v_sqrt_f32_e32 v3, v2
	v_mov_b32_e32 v10, 0x3e2aaaac
	v_fmac_f32_e32 v10, v2, v4
	v_mul_f32_e32 v2, v2, v10
	v_fmac_f32_e32 v3, v3, v2
	v_add_f32_e32 v3, v3, v3
	v_sub_f32_e32 v3, 0x3fc90fdb, v3
	v_fma_f32 v2, |v9|, v2, |v9|
	v_cmp_lt_f32_e64 s[0:1], |v9|, 0.5
	v_cndmask_b32_e64 v2, v3, v2, s[0:1]
	s_brev_b32 s0, -2
	v_bfi_b32 v9, s0, v2, v9
	v_mov_b32_e32 v10, v1
	v_mov_b32_e32 v11, v1
	v_mov_b32_e32 v12, v1
	v_mov_b32_e32 v1, v9
	v_mov_b32_e32 v2, v10
	v_mov_b32_e32 v3, v11
	v_mov_b32_e32 v4, v12
.LBB42_13:
	s_or_b64 exec, exec, s[4:5]
	s_waitcnt vmcnt(0)
	v_or_b32_e32 v9, 0x100, v0
	v_cmp_gt_i32_e64 s[0:1], s6, v9
	s_and_saveexec_b64 s[4:5], s[0:1]
	s_cbranch_execz .LBB42_15
; %bb.14:
	v_fma_f32 v2, |v7|, -0.5, 0.5
	v_mul_f32_e32 v10, v7, v7
	v_cmp_ge_f32_e64 s[0:1], |v7|, 0.5
	v_cndmask_b32_e64 v2, v10, v2, s[0:1]
	v_mov_b32_e32 v10, 0x3c5fc5da
	v_fmac_f32_e32 v10, 0x3d1c21a7, v2
	v_mov_b32_e32 v11, 0x3d034c3c
	v_fmac_f32_e32 v11, v2, v10
	;; [unrolled: 2-line block ×4, first 2 shown]
	v_sqrt_f32_e32 v10, v2
	v_mov_b32_e32 v12, 0x3e2aaaac
	v_fmac_f32_e32 v12, v2, v11
	v_mul_f32_e32 v2, v2, v12
	v_fmac_f32_e32 v10, v10, v2
	v_add_f32_e32 v10, v10, v10
	v_sub_f32_e32 v10, 0x3fc90fdb, v10
	v_fma_f32 v2, |v7|, v2, |v7|
	v_cmp_lt_f32_e64 s[0:1], |v7|, 0.5
	v_cndmask_b32_e64 v2, v10, v2, s[0:1]
	s_brev_b32 s0, -2
	v_bfi_b32 v2, s0, v2, v7
.LBB42_15:
	s_or_b64 exec, exec, s[4:5]
	v_or_b32_e32 v7, 0x200, v0
	v_cmp_gt_i32_e64 s[0:1], s6, v7
	s_and_saveexec_b64 s[4:5], s[0:1]
	s_cbranch_execz .LBB42_17
; %bb.16:
	v_fma_f32 v3, |v8|, -0.5, 0.5
	v_mul_f32_e32 v7, v8, v8
	v_cmp_ge_f32_e64 s[0:1], |v8|, 0.5
	v_cndmask_b32_e64 v3, v7, v3, s[0:1]
	v_mov_b32_e32 v7, 0x3c5fc5da
	v_fmac_f32_e32 v7, 0x3d1c21a7, v3
	v_mov_b32_e32 v10, 0x3d034c3c
	v_fmac_f32_e32 v10, v3, v7
	;; [unrolled: 2-line block ×4, first 2 shown]
	v_sqrt_f32_e32 v7, v3
	v_mov_b32_e32 v11, 0x3e2aaaac
	v_fmac_f32_e32 v11, v3, v10
	v_mul_f32_e32 v3, v3, v11
	v_fmac_f32_e32 v7, v7, v3
	v_add_f32_e32 v7, v7, v7
	v_sub_f32_e32 v7, 0x3fc90fdb, v7
	v_fma_f32 v3, |v8|, v3, |v8|
	v_cmp_lt_f32_e64 s[0:1], |v8|, 0.5
	v_cndmask_b32_e64 v3, v7, v3, s[0:1]
	s_brev_b32 s0, -2
	v_bfi_b32 v3, s0, v3, v8
.LBB42_17:
	s_or_b64 exec, exec, s[4:5]
	v_or_b32_e32 v7, 0x300, v0
	v_cmp_gt_i32_e64 s[0:1], s6, v7
	s_and_saveexec_b64 s[4:5], s[0:1]
	s_cbranch_execnz .LBB42_24
; %bb.18:
	s_or_b64 exec, exec, s[4:5]
	s_and_saveexec_b64 s[0:1], vcc
	s_xor_b64 s[0:1], exec, s[0:1]
	s_cbranch_execnz .LBB42_25
.LBB42_19:
	s_or_b64 exec, exec, s[0:1]
	v_cmp_gt_i32_e32 vcc, s6, v0
	s_and_saveexec_b64 s[0:1], vcc
	s_cbranch_execnz .LBB42_26
.LBB42_20:
	s_or_b64 exec, exec, s[0:1]
	v_cmp_gt_i32_e32 vcc, s6, v0
	s_and_saveexec_b64 s[0:1], vcc
	s_cbranch_execnz .LBB42_27
.LBB42_21:
	s_or_b64 exec, exec, s[0:1]
	v_cmp_gt_i32_e32 vcc, s6, v0
	s_and_saveexec_b64 s[0:1], vcc
	s_cbranch_execz .LBB42_23
.LBB42_22:
	v_add_u32_e32 v0, s2, v0
	v_mov_b32_e32 v1, 0
	v_lshlrev_b64 v[0:1], 2, v[0:1]
	v_mov_b32_e32 v2, s9
	v_add_co_u32_e32 v0, vcc, s8, v0
	v_addc_co_u32_e32 v1, vcc, v2, v1, vcc
	global_store_dword v[0:1], v4, off
.LBB42_23:
	s_endpgm
.LBB42_24:
	v_fma_f32 v4, |v6|, -0.5, 0.5
	v_mul_f32_e32 v7, v6, v6
	v_cmp_ge_f32_e64 s[0:1], |v6|, 0.5
	v_cndmask_b32_e64 v4, v7, v4, s[0:1]
	v_mov_b32_e32 v7, 0x3c5fc5da
	v_fmac_f32_e32 v7, 0x3d1c21a7, v4
	v_mov_b32_e32 v8, 0x3d034c3c
	v_fmac_f32_e32 v8, v4, v7
	;; [unrolled: 2-line block ×4, first 2 shown]
	v_sqrt_f32_e32 v7, v4
	v_mov_b32_e32 v10, 0x3e2aaaac
	v_fmac_f32_e32 v10, v4, v8
	v_mul_f32_e32 v4, v4, v10
	v_fmac_f32_e32 v7, v7, v4
	v_add_f32_e32 v7, v7, v7
	v_sub_f32_e32 v7, 0x3fc90fdb, v7
	v_fma_f32 v4, |v6|, v4, |v6|
	v_cmp_lt_f32_e64 s[0:1], |v6|, 0.5
	v_cndmask_b32_e64 v4, v7, v4, s[0:1]
	s_brev_b32 s0, -2
	v_bfi_b32 v4, s0, v4, v6
	s_or_b64 exec, exec, s[4:5]
	s_and_saveexec_b64 s[0:1], vcc
	s_xor_b64 s[0:1], exec, s[0:1]
	s_cbranch_execz .LBB42_19
.LBB42_25:
	v_mov_b32_e32 v6, 0
	v_lshlrev_b64 v[5:6], 2, v[5:6]
	v_mov_b32_e32 v0, s9
	v_add_co_u32_e32 v5, vcc, s8, v5
	v_addc_co_u32_e32 v6, vcc, v0, v6, vcc
	v_mov_b32_e32 v0, v9
	global_store_dword v[5:6], v1, off
	s_or_b64 exec, exec, s[0:1]
	v_cmp_gt_i32_e32 vcc, s6, v0
	s_and_saveexec_b64 s[0:1], vcc
	s_cbranch_execz .LBB42_20
.LBB42_26:
	v_add_u32_e32 v5, s2, v0
	v_mov_b32_e32 v6, 0
	v_lshlrev_b64 v[5:6], 2, v[5:6]
	v_mov_b32_e32 v1, s9
	v_add_co_u32_e32 v5, vcc, s8, v5
	v_addc_co_u32_e32 v6, vcc, v1, v6, vcc
	v_add_u32_e32 v0, 0x100, v0
	global_store_dword v[5:6], v2, off
	s_or_b64 exec, exec, s[0:1]
	v_cmp_gt_i32_e32 vcc, s6, v0
	s_and_saveexec_b64 s[0:1], vcc
	s_cbranch_execz .LBB42_21
.LBB42_27:
	v_add_u32_e32 v1, s2, v0
	v_mov_b32_e32 v2, 0
	v_lshlrev_b64 v[1:2], 2, v[1:2]
	v_mov_b32_e32 v5, s9
	v_add_co_u32_e32 v1, vcc, s8, v1
	v_addc_co_u32_e32 v2, vcc, v5, v2, vcc
	v_add_u32_e32 v0, 0x100, v0
	global_store_dword v[1:2], v3, off
	s_or_b64 exec, exec, s[0:1]
	v_cmp_gt_i32_e32 vcc, s6, v0
	s_and_saveexec_b64 s[0:1], vcc
	s_cbranch_execnz .LBB42_22
	s_branch .LBB42_23
	.section	.rodata,"a",@progbits
	.p2align	6, 0x0
	.amdhsa_kernel _ZN2at6native29vectorized_elementwise_kernelILi8EZZZNS0_16asin_kernel_cudaERNS_18TensorIteratorBaseEENKUlvE0_clEvENKUlvE0_clEvEUlfE_St5arrayIPcLm2EEEEviT0_T1_
		.amdhsa_group_segment_fixed_size 0
		.amdhsa_private_segment_fixed_size 0
		.amdhsa_kernarg_size 24
		.amdhsa_user_sgpr_count 6
		.amdhsa_user_sgpr_private_segment_buffer 1
		.amdhsa_user_sgpr_dispatch_ptr 0
		.amdhsa_user_sgpr_queue_ptr 0
		.amdhsa_user_sgpr_kernarg_segment_ptr 1
		.amdhsa_user_sgpr_dispatch_id 0
		.amdhsa_user_sgpr_flat_scratch_init 0
		.amdhsa_user_sgpr_private_segment_size 0
		.amdhsa_uses_dynamic_stack 0
		.amdhsa_system_sgpr_private_segment_wavefront_offset 0
		.amdhsa_system_sgpr_workgroup_id_x 1
		.amdhsa_system_sgpr_workgroup_id_y 0
		.amdhsa_system_sgpr_workgroup_id_z 0
		.amdhsa_system_sgpr_workgroup_info 0
		.amdhsa_system_vgpr_workitem_id 0
		.amdhsa_next_free_vgpr 20
		.amdhsa_next_free_sgpr 12
		.amdhsa_reserve_vcc 1
		.amdhsa_reserve_flat_scratch 0
		.amdhsa_float_round_mode_32 0
		.amdhsa_float_round_mode_16_64 0
		.amdhsa_float_denorm_mode_32 3
		.amdhsa_float_denorm_mode_16_64 3
		.amdhsa_dx10_clamp 1
		.amdhsa_ieee_mode 1
		.amdhsa_fp16_overflow 0
		.amdhsa_exception_fp_ieee_invalid_op 0
		.amdhsa_exception_fp_denorm_src 0
		.amdhsa_exception_fp_ieee_div_zero 0
		.amdhsa_exception_fp_ieee_overflow 0
		.amdhsa_exception_fp_ieee_underflow 0
		.amdhsa_exception_fp_ieee_inexact 0
		.amdhsa_exception_int_div_zero 0
	.end_amdhsa_kernel
	.section	.text._ZN2at6native29vectorized_elementwise_kernelILi8EZZZNS0_16asin_kernel_cudaERNS_18TensorIteratorBaseEENKUlvE0_clEvENKUlvE0_clEvEUlfE_St5arrayIPcLm2EEEEviT0_T1_,"axG",@progbits,_ZN2at6native29vectorized_elementwise_kernelILi8EZZZNS0_16asin_kernel_cudaERNS_18TensorIteratorBaseEENKUlvE0_clEvENKUlvE0_clEvEUlfE_St5arrayIPcLm2EEEEviT0_T1_,comdat
.Lfunc_end42:
	.size	_ZN2at6native29vectorized_elementwise_kernelILi8EZZZNS0_16asin_kernel_cudaERNS_18TensorIteratorBaseEENKUlvE0_clEvENKUlvE0_clEvEUlfE_St5arrayIPcLm2EEEEviT0_T1_, .Lfunc_end42-_ZN2at6native29vectorized_elementwise_kernelILi8EZZZNS0_16asin_kernel_cudaERNS_18TensorIteratorBaseEENKUlvE0_clEvENKUlvE0_clEvEUlfE_St5arrayIPcLm2EEEEviT0_T1_
                                        ; -- End function
	.set _ZN2at6native29vectorized_elementwise_kernelILi8EZZZNS0_16asin_kernel_cudaERNS_18TensorIteratorBaseEENKUlvE0_clEvENKUlvE0_clEvEUlfE_St5arrayIPcLm2EEEEviT0_T1_.num_vgpr, 20
	.set _ZN2at6native29vectorized_elementwise_kernelILi8EZZZNS0_16asin_kernel_cudaERNS_18TensorIteratorBaseEENKUlvE0_clEvENKUlvE0_clEvEUlfE_St5arrayIPcLm2EEEEviT0_T1_.num_agpr, 0
	.set _ZN2at6native29vectorized_elementwise_kernelILi8EZZZNS0_16asin_kernel_cudaERNS_18TensorIteratorBaseEENKUlvE0_clEvENKUlvE0_clEvEUlfE_St5arrayIPcLm2EEEEviT0_T1_.numbered_sgpr, 12
	.set _ZN2at6native29vectorized_elementwise_kernelILi8EZZZNS0_16asin_kernel_cudaERNS_18TensorIteratorBaseEENKUlvE0_clEvENKUlvE0_clEvEUlfE_St5arrayIPcLm2EEEEviT0_T1_.num_named_barrier, 0
	.set _ZN2at6native29vectorized_elementwise_kernelILi8EZZZNS0_16asin_kernel_cudaERNS_18TensorIteratorBaseEENKUlvE0_clEvENKUlvE0_clEvEUlfE_St5arrayIPcLm2EEEEviT0_T1_.private_seg_size, 0
	.set _ZN2at6native29vectorized_elementwise_kernelILi8EZZZNS0_16asin_kernel_cudaERNS_18TensorIteratorBaseEENKUlvE0_clEvENKUlvE0_clEvEUlfE_St5arrayIPcLm2EEEEviT0_T1_.uses_vcc, 1
	.set _ZN2at6native29vectorized_elementwise_kernelILi8EZZZNS0_16asin_kernel_cudaERNS_18TensorIteratorBaseEENKUlvE0_clEvENKUlvE0_clEvEUlfE_St5arrayIPcLm2EEEEviT0_T1_.uses_flat_scratch, 0
	.set _ZN2at6native29vectorized_elementwise_kernelILi8EZZZNS0_16asin_kernel_cudaERNS_18TensorIteratorBaseEENKUlvE0_clEvENKUlvE0_clEvEUlfE_St5arrayIPcLm2EEEEviT0_T1_.has_dyn_sized_stack, 0
	.set _ZN2at6native29vectorized_elementwise_kernelILi8EZZZNS0_16asin_kernel_cudaERNS_18TensorIteratorBaseEENKUlvE0_clEvENKUlvE0_clEvEUlfE_St5arrayIPcLm2EEEEviT0_T1_.has_recursion, 0
	.set _ZN2at6native29vectorized_elementwise_kernelILi8EZZZNS0_16asin_kernel_cudaERNS_18TensorIteratorBaseEENKUlvE0_clEvENKUlvE0_clEvEUlfE_St5arrayIPcLm2EEEEviT0_T1_.has_indirect_call, 0
	.section	.AMDGPU.csdata,"",@progbits
; Kernel info:
; codeLenInByte = 1960
; TotalNumSgprs: 16
; NumVgprs: 20
; ScratchSize: 0
; MemoryBound: 0
; FloatMode: 240
; IeeeMode: 1
; LDSByteSize: 0 bytes/workgroup (compile time only)
; SGPRBlocks: 1
; VGPRBlocks: 4
; NumSGPRsForWavesPerEU: 16
; NumVGPRsForWavesPerEU: 20
; Occupancy: 10
; WaveLimiterHint : 0
; COMPUTE_PGM_RSRC2:SCRATCH_EN: 0
; COMPUTE_PGM_RSRC2:USER_SGPR: 6
; COMPUTE_PGM_RSRC2:TRAP_HANDLER: 0
; COMPUTE_PGM_RSRC2:TGID_X_EN: 1
; COMPUTE_PGM_RSRC2:TGID_Y_EN: 0
; COMPUTE_PGM_RSRC2:TGID_Z_EN: 0
; COMPUTE_PGM_RSRC2:TIDIG_COMP_CNT: 0
	.section	.text._ZN2at6native29vectorized_elementwise_kernelILi4EZZZNS0_16asin_kernel_cudaERNS_18TensorIteratorBaseEENKUlvE0_clEvENKUlvE0_clEvEUlfE_St5arrayIPcLm2EEEEviT0_T1_,"axG",@progbits,_ZN2at6native29vectorized_elementwise_kernelILi4EZZZNS0_16asin_kernel_cudaERNS_18TensorIteratorBaseEENKUlvE0_clEvENKUlvE0_clEvEUlfE_St5arrayIPcLm2EEEEviT0_T1_,comdat
	.globl	_ZN2at6native29vectorized_elementwise_kernelILi4EZZZNS0_16asin_kernel_cudaERNS_18TensorIteratorBaseEENKUlvE0_clEvENKUlvE0_clEvEUlfE_St5arrayIPcLm2EEEEviT0_T1_ ; -- Begin function _ZN2at6native29vectorized_elementwise_kernelILi4EZZZNS0_16asin_kernel_cudaERNS_18TensorIteratorBaseEENKUlvE0_clEvENKUlvE0_clEvEUlfE_St5arrayIPcLm2EEEEviT0_T1_
	.p2align	8
	.type	_ZN2at6native29vectorized_elementwise_kernelILi4EZZZNS0_16asin_kernel_cudaERNS_18TensorIteratorBaseEENKUlvE0_clEvENKUlvE0_clEvEUlfE_St5arrayIPcLm2EEEEviT0_T1_,@function
_ZN2at6native29vectorized_elementwise_kernelILi4EZZZNS0_16asin_kernel_cudaERNS_18TensorIteratorBaseEENKUlvE0_clEvENKUlvE0_clEvEUlfE_St5arrayIPcLm2EEEEviT0_T1_: ; @_ZN2at6native29vectorized_elementwise_kernelILi4EZZZNS0_16asin_kernel_cudaERNS_18TensorIteratorBaseEENKUlvE0_clEvENKUlvE0_clEvEUlfE_St5arrayIPcLm2EEEEviT0_T1_
; %bb.0:
	s_load_dword s0, s[4:5], 0x0
	s_load_dwordx4 s[8:11], s[4:5], 0x8
	s_lshl_b32 s2, s6, 10
	s_waitcnt lgkmcnt(0)
	s_sub_i32 s6, s0, s2
	s_cmpk_gt_i32 s6, 0x3ff
	s_mov_b64 s[0:1], -1
	s_cbranch_scc0 .LBB43_2
; %bb.1:
	s_ashr_i32 s3, s2, 31
	s_lshl_b64 s[0:1], s[2:3], 2
	s_add_u32 s4, s10, s0
	s_addc_u32 s5, s11, s1
	v_lshlrev_b32_e32 v5, 4, v0
	global_load_dwordx4 v[1:4], v5, s[4:5]
	v_mov_b32_e32 v7, 0x3c5fc5da
	v_mov_b32_e32 v8, 0x3d034c3c
	;; [unrolled: 1-line block ×8, first 2 shown]
	s_brev_b32 s3, -2
	s_add_u32 s0, s8, s0
	s_addc_u32 s1, s9, s1
	s_waitcnt vmcnt(0)
	v_fma_f32 v14, |v1|, -0.5, 0.5
	v_mul_f32_e32 v15, v1, v1
	v_cmp_ge_f32_e64 vcc, |v1|, 0.5
	v_fma_f32 v16, |v2|, -0.5, 0.5
	v_mul_f32_e32 v17, v2, v2
	v_cndmask_b32_e32 v14, v15, v14, vcc
	v_cmp_ge_f32_e64 vcc, |v2|, 0.5
	v_fma_f32 v18, |v3|, -0.5, 0.5
	v_mul_f32_e32 v19, v3, v3
	v_cndmask_b32_e32 v16, v17, v16, vcc
	;; [unrolled: 4-line block ×3, first 2 shown]
	v_cmp_ge_f32_e64 vcc, |v4|, 0.5
	v_fmac_f32_e32 v7, 0x3d1c21a7, v14
	v_cndmask_b32_e32 v15, v17, v15, vcc
	v_fmac_f32_e32 v12, 0x3d1c21a7, v16
	v_fma_f32 v7, v14, v7, v8
	v_sqrt_f32_e32 v17, v14
	v_fmac_f32_e32 v13, 0x3d1c21a7, v18
	v_fmac_f32_e32 v6, 0x3d1c21a7, v15
	v_fma_f32 v12, v16, v12, v8
	v_fma_f32 v7, v14, v7, v9
	v_sqrt_f32_e32 v19, v16
	v_fma_f32 v13, v18, v13, v8
	v_fmac_f32_e32 v8, v15, v6
	v_fma_f32 v12, v16, v12, v9
	v_fma_f32 v7, v14, v7, v10
	v_sqrt_f32_e32 v6, v18
	v_fma_f32 v13, v18, v13, v9
	;; [unrolled: 5-line block ×3, first 2 shown]
	v_fmac_f32_e32 v10, v15, v9
	v_fma_f32 v9, v16, v12, v11
	v_mul_f32_e32 v7, v14, v7
	v_fma_f32 v12, v18, v13, v11
	v_mul_f32_e32 v9, v16, v9
	v_fmac_f32_e32 v17, v17, v7
	v_fmac_f32_e32 v11, v15, v10
	v_mul_f32_e32 v10, v18, v12
	v_fmac_f32_e32 v19, v19, v9
	v_add_f32_e32 v12, v17, v17
	v_mul_f32_e32 v11, v15, v11
	v_fma_f32 v7, |v1|, v7, |v1|
	v_fmac_f32_e32 v6, v6, v10
	v_add_f32_e32 v13, v19, v19
	v_sub_f32_e32 v12, 0x3fc90fdb, v12
	v_cmp_lt_f32_e64 vcc, |v1|, 0.5
	v_fma_f32 v9, |v2|, v9, |v2|
	v_fmac_f32_e32 v8, v8, v11
	v_add_f32_e32 v6, v6, v6
	v_sub_f32_e32 v13, 0x3fc90fdb, v13
	v_cndmask_b32_e32 v7, v12, v7, vcc
	v_cmp_lt_f32_e64 vcc, |v2|, 0.5
	v_fma_f32 v10, |v3|, v10, |v3|
	v_add_f32_e32 v8, v8, v8
	v_sub_f32_e32 v6, 0x3fc90fdb, v6
	v_cndmask_b32_e32 v9, v13, v9, vcc
	v_cmp_lt_f32_e64 vcc, |v3|, 0.5
	v_fma_f32 v11, |v4|, v11, |v4|
	v_sub_f32_e32 v8, 0x3fc90fdb, v8
	v_cndmask_b32_e32 v6, v6, v10, vcc
	v_cmp_lt_f32_e64 vcc, |v4|, 0.5
	v_cndmask_b32_e32 v8, v8, v11, vcc
	v_bfi_b32 v1, s3, v7, v1
	v_bfi_b32 v2, s3, v9, v2
	;; [unrolled: 1-line block ×4, first 2 shown]
	global_store_dwordx4 v5, v[1:4], s[0:1]
	s_mov_b64 s[0:1], 0
.LBB43_2:
	s_andn2_b64 vcc, exec, s[0:1]
	s_cbranch_vccnz .LBB43_23
; %bb.3:
	v_cmp_gt_i32_e32 vcc, s6, v0
	v_mov_b32_e32 v7, 0
	v_or_b32_e32 v5, s2, v0
	v_mov_b32_e32 v9, 0
	v_mov_b32_e32 v1, v0
	s_and_saveexec_b64 s[4:5], vcc
	s_cbranch_execz .LBB43_5
; %bb.4:
	v_mov_b32_e32 v6, 0
	v_lshlrev_b64 v[1:2], 2, v[5:6]
	v_mov_b32_e32 v3, s11
	v_add_co_u32_e64 v1, s[0:1], s10, v1
	v_addc_co_u32_e64 v2, s[0:1], v3, v2, s[0:1]
	global_load_dword v9, v[1:2], off
	v_or_b32_e32 v1, 0x100, v0
.LBB43_5:
	s_or_b64 exec, exec, s[4:5]
	v_cmp_gt_i32_e64 s[0:1], s6, v1
	s_and_saveexec_b64 s[4:5], s[0:1]
	s_cbranch_execz .LBB43_7
; %bb.6:
	v_add_u32_e32 v2, s2, v1
	v_mov_b32_e32 v3, 0
	v_lshlrev_b64 v[2:3], 2, v[2:3]
	v_mov_b32_e32 v4, s11
	v_add_co_u32_e64 v2, s[0:1], s10, v2
	v_addc_co_u32_e64 v3, s[0:1], v4, v3, s[0:1]
	global_load_dword v7, v[2:3], off
	v_add_u32_e32 v1, 0x100, v1
.LBB43_7:
	s_or_b64 exec, exec, s[4:5]
	v_cmp_gt_i32_e64 s[0:1], s6, v1
	v_mov_b32_e32 v6, 0
	v_mov_b32_e32 v8, 0
	s_and_saveexec_b64 s[4:5], s[0:1]
	s_cbranch_execz .LBB43_9
; %bb.8:
	v_add_u32_e32 v2, s2, v1
	v_mov_b32_e32 v3, 0
	v_lshlrev_b64 v[2:3], 2, v[2:3]
	v_mov_b32_e32 v4, s11
	v_add_co_u32_e64 v2, s[0:1], s10, v2
	v_addc_co_u32_e64 v3, s[0:1], v4, v3, s[0:1]
	global_load_dword v8, v[2:3], off
	v_add_u32_e32 v1, 0x100, v1
.LBB43_9:
	s_or_b64 exec, exec, s[4:5]
	v_cmp_gt_i32_e64 s[0:1], s6, v1
	s_and_saveexec_b64 s[4:5], s[0:1]
	s_cbranch_execz .LBB43_11
; %bb.10:
	v_add_u32_e32 v1, s2, v1
	v_mov_b32_e32 v2, 0
	v_lshlrev_b64 v[1:2], 2, v[1:2]
	v_mov_b32_e32 v3, s11
	v_add_co_u32_e64 v1, s[0:1], s10, v1
	v_addc_co_u32_e64 v2, s[0:1], v3, v2, s[0:1]
	global_load_dword v6, v[1:2], off
.LBB43_11:
	s_or_b64 exec, exec, s[4:5]
	v_mov_b32_e32 v1, 0
	v_mov_b32_e32 v2, v1
	;; [unrolled: 1-line block ×4, first 2 shown]
	s_and_saveexec_b64 s[4:5], vcc
	s_cbranch_execz .LBB43_13
; %bb.12:
	s_waitcnt vmcnt(0)
	v_fma_f32 v2, |v9|, -0.5, 0.5
	v_mul_f32_e32 v3, v9, v9
	v_cmp_ge_f32_e64 s[0:1], |v9|, 0.5
	v_cndmask_b32_e64 v2, v3, v2, s[0:1]
	v_mov_b32_e32 v3, 0x3c5fc5da
	v_fmac_f32_e32 v3, 0x3d1c21a7, v2
	v_mov_b32_e32 v4, 0x3d034c3c
	v_fmac_f32_e32 v4, v2, v3
	;; [unrolled: 2-line block ×4, first 2 shown]
	v_sqrt_f32_e32 v3, v2
	v_mov_b32_e32 v10, 0x3e2aaaac
	v_fmac_f32_e32 v10, v2, v4
	v_mul_f32_e32 v2, v2, v10
	v_fmac_f32_e32 v3, v3, v2
	v_add_f32_e32 v3, v3, v3
	v_sub_f32_e32 v3, 0x3fc90fdb, v3
	v_fma_f32 v2, |v9|, v2, |v9|
	v_cmp_lt_f32_e64 s[0:1], |v9|, 0.5
	v_cndmask_b32_e64 v2, v3, v2, s[0:1]
	s_brev_b32 s0, -2
	v_bfi_b32 v9, s0, v2, v9
	v_mov_b32_e32 v10, v1
	v_mov_b32_e32 v11, v1
	;; [unrolled: 1-line block ×7, first 2 shown]
.LBB43_13:
	s_or_b64 exec, exec, s[4:5]
	s_waitcnt vmcnt(0)
	v_or_b32_e32 v9, 0x100, v0
	v_cmp_gt_i32_e64 s[0:1], s6, v9
	s_and_saveexec_b64 s[4:5], s[0:1]
	s_cbranch_execz .LBB43_15
; %bb.14:
	v_fma_f32 v2, |v7|, -0.5, 0.5
	v_mul_f32_e32 v10, v7, v7
	v_cmp_ge_f32_e64 s[0:1], |v7|, 0.5
	v_cndmask_b32_e64 v2, v10, v2, s[0:1]
	v_mov_b32_e32 v10, 0x3c5fc5da
	v_fmac_f32_e32 v10, 0x3d1c21a7, v2
	v_mov_b32_e32 v11, 0x3d034c3c
	v_fmac_f32_e32 v11, v2, v10
	v_mov_b32_e32 v10, 0x3d3641b1
	v_fmac_f32_e32 v10, v2, v11
	v_mov_b32_e32 v11, 0x3d999bc8
	v_fmac_f32_e32 v11, v2, v10
	v_sqrt_f32_e32 v10, v2
	v_mov_b32_e32 v12, 0x3e2aaaac
	v_fmac_f32_e32 v12, v2, v11
	v_mul_f32_e32 v2, v2, v12
	v_fmac_f32_e32 v10, v10, v2
	v_add_f32_e32 v10, v10, v10
	v_sub_f32_e32 v10, 0x3fc90fdb, v10
	v_fma_f32 v2, |v7|, v2, |v7|
	v_cmp_lt_f32_e64 s[0:1], |v7|, 0.5
	v_cndmask_b32_e64 v2, v10, v2, s[0:1]
	s_brev_b32 s0, -2
	v_bfi_b32 v2, s0, v2, v7
.LBB43_15:
	s_or_b64 exec, exec, s[4:5]
	v_or_b32_e32 v7, 0x200, v0
	v_cmp_gt_i32_e64 s[0:1], s6, v7
	s_and_saveexec_b64 s[4:5], s[0:1]
	s_cbranch_execz .LBB43_17
; %bb.16:
	v_fma_f32 v3, |v8|, -0.5, 0.5
	v_mul_f32_e32 v7, v8, v8
	v_cmp_ge_f32_e64 s[0:1], |v8|, 0.5
	v_cndmask_b32_e64 v3, v7, v3, s[0:1]
	v_mov_b32_e32 v7, 0x3c5fc5da
	v_fmac_f32_e32 v7, 0x3d1c21a7, v3
	v_mov_b32_e32 v10, 0x3d034c3c
	v_fmac_f32_e32 v10, v3, v7
	;; [unrolled: 2-line block ×4, first 2 shown]
	v_sqrt_f32_e32 v7, v3
	v_mov_b32_e32 v11, 0x3e2aaaac
	v_fmac_f32_e32 v11, v3, v10
	v_mul_f32_e32 v3, v3, v11
	v_fmac_f32_e32 v7, v7, v3
	v_add_f32_e32 v7, v7, v7
	v_sub_f32_e32 v7, 0x3fc90fdb, v7
	v_fma_f32 v3, |v8|, v3, |v8|
	v_cmp_lt_f32_e64 s[0:1], |v8|, 0.5
	v_cndmask_b32_e64 v3, v7, v3, s[0:1]
	s_brev_b32 s0, -2
	v_bfi_b32 v3, s0, v3, v8
.LBB43_17:
	s_or_b64 exec, exec, s[4:5]
	v_or_b32_e32 v7, 0x300, v0
	v_cmp_gt_i32_e64 s[0:1], s6, v7
	s_and_saveexec_b64 s[4:5], s[0:1]
	s_cbranch_execnz .LBB43_24
; %bb.18:
	s_or_b64 exec, exec, s[4:5]
	s_and_saveexec_b64 s[0:1], vcc
	s_xor_b64 s[0:1], exec, s[0:1]
	s_cbranch_execnz .LBB43_25
.LBB43_19:
	s_or_b64 exec, exec, s[0:1]
	v_cmp_gt_i32_e32 vcc, s6, v0
	s_and_saveexec_b64 s[0:1], vcc
	s_cbranch_execnz .LBB43_26
.LBB43_20:
	s_or_b64 exec, exec, s[0:1]
	v_cmp_gt_i32_e32 vcc, s6, v0
	s_and_saveexec_b64 s[0:1], vcc
	s_cbranch_execnz .LBB43_27
.LBB43_21:
	s_or_b64 exec, exec, s[0:1]
	v_cmp_gt_i32_e32 vcc, s6, v0
	s_and_saveexec_b64 s[0:1], vcc
	s_cbranch_execz .LBB43_23
.LBB43_22:
	v_add_u32_e32 v0, s2, v0
	v_mov_b32_e32 v1, 0
	v_lshlrev_b64 v[0:1], 2, v[0:1]
	v_mov_b32_e32 v2, s9
	v_add_co_u32_e32 v0, vcc, s8, v0
	v_addc_co_u32_e32 v1, vcc, v2, v1, vcc
	global_store_dword v[0:1], v4, off
.LBB43_23:
	s_endpgm
.LBB43_24:
	v_fma_f32 v4, |v6|, -0.5, 0.5
	v_mul_f32_e32 v7, v6, v6
	v_cmp_ge_f32_e64 s[0:1], |v6|, 0.5
	v_cndmask_b32_e64 v4, v7, v4, s[0:1]
	v_mov_b32_e32 v7, 0x3c5fc5da
	v_fmac_f32_e32 v7, 0x3d1c21a7, v4
	v_mov_b32_e32 v8, 0x3d034c3c
	v_fmac_f32_e32 v8, v4, v7
	v_mov_b32_e32 v7, 0x3d3641b1
	v_fmac_f32_e32 v7, v4, v8
	v_mov_b32_e32 v8, 0x3d999bc8
	v_fmac_f32_e32 v8, v4, v7
	v_sqrt_f32_e32 v7, v4
	v_mov_b32_e32 v10, 0x3e2aaaac
	v_fmac_f32_e32 v10, v4, v8
	v_mul_f32_e32 v4, v4, v10
	v_fmac_f32_e32 v7, v7, v4
	v_add_f32_e32 v7, v7, v7
	v_sub_f32_e32 v7, 0x3fc90fdb, v7
	v_fma_f32 v4, |v6|, v4, |v6|
	v_cmp_lt_f32_e64 s[0:1], |v6|, 0.5
	v_cndmask_b32_e64 v4, v7, v4, s[0:1]
	s_brev_b32 s0, -2
	v_bfi_b32 v4, s0, v4, v6
	s_or_b64 exec, exec, s[4:5]
	s_and_saveexec_b64 s[0:1], vcc
	s_xor_b64 s[0:1], exec, s[0:1]
	s_cbranch_execz .LBB43_19
.LBB43_25:
	v_mov_b32_e32 v6, 0
	v_lshlrev_b64 v[5:6], 2, v[5:6]
	v_mov_b32_e32 v0, s9
	v_add_co_u32_e32 v5, vcc, s8, v5
	v_addc_co_u32_e32 v6, vcc, v0, v6, vcc
	v_mov_b32_e32 v0, v9
	global_store_dword v[5:6], v1, off
	s_or_b64 exec, exec, s[0:1]
	v_cmp_gt_i32_e32 vcc, s6, v0
	s_and_saveexec_b64 s[0:1], vcc
	s_cbranch_execz .LBB43_20
.LBB43_26:
	v_add_u32_e32 v5, s2, v0
	v_mov_b32_e32 v6, 0
	v_lshlrev_b64 v[5:6], 2, v[5:6]
	v_mov_b32_e32 v1, s9
	v_add_co_u32_e32 v5, vcc, s8, v5
	v_addc_co_u32_e32 v6, vcc, v1, v6, vcc
	v_add_u32_e32 v0, 0x100, v0
	global_store_dword v[5:6], v2, off
	s_or_b64 exec, exec, s[0:1]
	v_cmp_gt_i32_e32 vcc, s6, v0
	s_and_saveexec_b64 s[0:1], vcc
	s_cbranch_execz .LBB43_21
.LBB43_27:
	v_add_u32_e32 v1, s2, v0
	v_mov_b32_e32 v2, 0
	v_lshlrev_b64 v[1:2], 2, v[1:2]
	v_mov_b32_e32 v5, s9
	v_add_co_u32_e32 v1, vcc, s8, v1
	v_addc_co_u32_e32 v2, vcc, v5, v2, vcc
	v_add_u32_e32 v0, 0x100, v0
	global_store_dword v[1:2], v3, off
	s_or_b64 exec, exec, s[0:1]
	v_cmp_gt_i32_e32 vcc, s6, v0
	s_and_saveexec_b64 s[0:1], vcc
	s_cbranch_execnz .LBB43_22
	s_branch .LBB43_23
	.section	.rodata,"a",@progbits
	.p2align	6, 0x0
	.amdhsa_kernel _ZN2at6native29vectorized_elementwise_kernelILi4EZZZNS0_16asin_kernel_cudaERNS_18TensorIteratorBaseEENKUlvE0_clEvENKUlvE0_clEvEUlfE_St5arrayIPcLm2EEEEviT0_T1_
		.amdhsa_group_segment_fixed_size 0
		.amdhsa_private_segment_fixed_size 0
		.amdhsa_kernarg_size 24
		.amdhsa_user_sgpr_count 6
		.amdhsa_user_sgpr_private_segment_buffer 1
		.amdhsa_user_sgpr_dispatch_ptr 0
		.amdhsa_user_sgpr_queue_ptr 0
		.amdhsa_user_sgpr_kernarg_segment_ptr 1
		.amdhsa_user_sgpr_dispatch_id 0
		.amdhsa_user_sgpr_flat_scratch_init 0
		.amdhsa_user_sgpr_private_segment_size 0
		.amdhsa_uses_dynamic_stack 0
		.amdhsa_system_sgpr_private_segment_wavefront_offset 0
		.amdhsa_system_sgpr_workgroup_id_x 1
		.amdhsa_system_sgpr_workgroup_id_y 0
		.amdhsa_system_sgpr_workgroup_id_z 0
		.amdhsa_system_sgpr_workgroup_info 0
		.amdhsa_system_vgpr_workitem_id 0
		.amdhsa_next_free_vgpr 20
		.amdhsa_next_free_sgpr 12
		.amdhsa_reserve_vcc 1
		.amdhsa_reserve_flat_scratch 0
		.amdhsa_float_round_mode_32 0
		.amdhsa_float_round_mode_16_64 0
		.amdhsa_float_denorm_mode_32 3
		.amdhsa_float_denorm_mode_16_64 3
		.amdhsa_dx10_clamp 1
		.amdhsa_ieee_mode 1
		.amdhsa_fp16_overflow 0
		.amdhsa_exception_fp_ieee_invalid_op 0
		.amdhsa_exception_fp_denorm_src 0
		.amdhsa_exception_fp_ieee_div_zero 0
		.amdhsa_exception_fp_ieee_overflow 0
		.amdhsa_exception_fp_ieee_underflow 0
		.amdhsa_exception_fp_ieee_inexact 0
		.amdhsa_exception_int_div_zero 0
	.end_amdhsa_kernel
	.section	.text._ZN2at6native29vectorized_elementwise_kernelILi4EZZZNS0_16asin_kernel_cudaERNS_18TensorIteratorBaseEENKUlvE0_clEvENKUlvE0_clEvEUlfE_St5arrayIPcLm2EEEEviT0_T1_,"axG",@progbits,_ZN2at6native29vectorized_elementwise_kernelILi4EZZZNS0_16asin_kernel_cudaERNS_18TensorIteratorBaseEENKUlvE0_clEvENKUlvE0_clEvEUlfE_St5arrayIPcLm2EEEEviT0_T1_,comdat
.Lfunc_end43:
	.size	_ZN2at6native29vectorized_elementwise_kernelILi4EZZZNS0_16asin_kernel_cudaERNS_18TensorIteratorBaseEENKUlvE0_clEvENKUlvE0_clEvEUlfE_St5arrayIPcLm2EEEEviT0_T1_, .Lfunc_end43-_ZN2at6native29vectorized_elementwise_kernelILi4EZZZNS0_16asin_kernel_cudaERNS_18TensorIteratorBaseEENKUlvE0_clEvENKUlvE0_clEvEUlfE_St5arrayIPcLm2EEEEviT0_T1_
                                        ; -- End function
	.set _ZN2at6native29vectorized_elementwise_kernelILi4EZZZNS0_16asin_kernel_cudaERNS_18TensorIteratorBaseEENKUlvE0_clEvENKUlvE0_clEvEUlfE_St5arrayIPcLm2EEEEviT0_T1_.num_vgpr, 20
	.set _ZN2at6native29vectorized_elementwise_kernelILi4EZZZNS0_16asin_kernel_cudaERNS_18TensorIteratorBaseEENKUlvE0_clEvENKUlvE0_clEvEUlfE_St5arrayIPcLm2EEEEviT0_T1_.num_agpr, 0
	.set _ZN2at6native29vectorized_elementwise_kernelILi4EZZZNS0_16asin_kernel_cudaERNS_18TensorIteratorBaseEENKUlvE0_clEvENKUlvE0_clEvEUlfE_St5arrayIPcLm2EEEEviT0_T1_.numbered_sgpr, 12
	.set _ZN2at6native29vectorized_elementwise_kernelILi4EZZZNS0_16asin_kernel_cudaERNS_18TensorIteratorBaseEENKUlvE0_clEvENKUlvE0_clEvEUlfE_St5arrayIPcLm2EEEEviT0_T1_.num_named_barrier, 0
	.set _ZN2at6native29vectorized_elementwise_kernelILi4EZZZNS0_16asin_kernel_cudaERNS_18TensorIteratorBaseEENKUlvE0_clEvENKUlvE0_clEvEUlfE_St5arrayIPcLm2EEEEviT0_T1_.private_seg_size, 0
	.set _ZN2at6native29vectorized_elementwise_kernelILi4EZZZNS0_16asin_kernel_cudaERNS_18TensorIteratorBaseEENKUlvE0_clEvENKUlvE0_clEvEUlfE_St5arrayIPcLm2EEEEviT0_T1_.uses_vcc, 1
	.set _ZN2at6native29vectorized_elementwise_kernelILi4EZZZNS0_16asin_kernel_cudaERNS_18TensorIteratorBaseEENKUlvE0_clEvENKUlvE0_clEvEUlfE_St5arrayIPcLm2EEEEviT0_T1_.uses_flat_scratch, 0
	.set _ZN2at6native29vectorized_elementwise_kernelILi4EZZZNS0_16asin_kernel_cudaERNS_18TensorIteratorBaseEENKUlvE0_clEvENKUlvE0_clEvEUlfE_St5arrayIPcLm2EEEEviT0_T1_.has_dyn_sized_stack, 0
	.set _ZN2at6native29vectorized_elementwise_kernelILi4EZZZNS0_16asin_kernel_cudaERNS_18TensorIteratorBaseEENKUlvE0_clEvENKUlvE0_clEvEUlfE_St5arrayIPcLm2EEEEviT0_T1_.has_recursion, 0
	.set _ZN2at6native29vectorized_elementwise_kernelILi4EZZZNS0_16asin_kernel_cudaERNS_18TensorIteratorBaseEENKUlvE0_clEvENKUlvE0_clEvEUlfE_St5arrayIPcLm2EEEEviT0_T1_.has_indirect_call, 0
	.section	.AMDGPU.csdata,"",@progbits
; Kernel info:
; codeLenInByte = 1960
; TotalNumSgprs: 16
; NumVgprs: 20
; ScratchSize: 0
; MemoryBound: 0
; FloatMode: 240
; IeeeMode: 1
; LDSByteSize: 0 bytes/workgroup (compile time only)
; SGPRBlocks: 1
; VGPRBlocks: 4
; NumSGPRsForWavesPerEU: 16
; NumVGPRsForWavesPerEU: 20
; Occupancy: 10
; WaveLimiterHint : 0
; COMPUTE_PGM_RSRC2:SCRATCH_EN: 0
; COMPUTE_PGM_RSRC2:USER_SGPR: 6
; COMPUTE_PGM_RSRC2:TRAP_HANDLER: 0
; COMPUTE_PGM_RSRC2:TGID_X_EN: 1
; COMPUTE_PGM_RSRC2:TGID_Y_EN: 0
; COMPUTE_PGM_RSRC2:TGID_Z_EN: 0
; COMPUTE_PGM_RSRC2:TIDIG_COMP_CNT: 0
	.section	.text._ZN2at6native29vectorized_elementwise_kernelILi2EZZZNS0_16asin_kernel_cudaERNS_18TensorIteratorBaseEENKUlvE0_clEvENKUlvE0_clEvEUlfE_St5arrayIPcLm2EEEEviT0_T1_,"axG",@progbits,_ZN2at6native29vectorized_elementwise_kernelILi2EZZZNS0_16asin_kernel_cudaERNS_18TensorIteratorBaseEENKUlvE0_clEvENKUlvE0_clEvEUlfE_St5arrayIPcLm2EEEEviT0_T1_,comdat
	.globl	_ZN2at6native29vectorized_elementwise_kernelILi2EZZZNS0_16asin_kernel_cudaERNS_18TensorIteratorBaseEENKUlvE0_clEvENKUlvE0_clEvEUlfE_St5arrayIPcLm2EEEEviT0_T1_ ; -- Begin function _ZN2at6native29vectorized_elementwise_kernelILi2EZZZNS0_16asin_kernel_cudaERNS_18TensorIteratorBaseEENKUlvE0_clEvENKUlvE0_clEvEUlfE_St5arrayIPcLm2EEEEviT0_T1_
	.p2align	8
	.type	_ZN2at6native29vectorized_elementwise_kernelILi2EZZZNS0_16asin_kernel_cudaERNS_18TensorIteratorBaseEENKUlvE0_clEvENKUlvE0_clEvEUlfE_St5arrayIPcLm2EEEEviT0_T1_,@function
_ZN2at6native29vectorized_elementwise_kernelILi2EZZZNS0_16asin_kernel_cudaERNS_18TensorIteratorBaseEENKUlvE0_clEvENKUlvE0_clEvEUlfE_St5arrayIPcLm2EEEEviT0_T1_: ; @_ZN2at6native29vectorized_elementwise_kernelILi2EZZZNS0_16asin_kernel_cudaERNS_18TensorIteratorBaseEENKUlvE0_clEvENKUlvE0_clEvEUlfE_St5arrayIPcLm2EEEEviT0_T1_
; %bb.0:
	s_load_dword s0, s[4:5], 0x0
	s_load_dwordx4 s[8:11], s[4:5], 0x8
	s_lshl_b32 s2, s6, 10
	s_waitcnt lgkmcnt(0)
	s_sub_i32 s6, s0, s2
	s_cmpk_gt_i32 s6, 0x3ff
	s_mov_b64 s[0:1], -1
	s_cbranch_scc0 .LBB44_2
; %bb.1:
	s_ashr_i32 s3, s2, 31
	s_lshl_b64 s[0:1], s[2:3], 2
	s_add_u32 s4, s10, s0
	s_addc_u32 s5, s11, s1
	v_lshlrev_b32_e32 v5, 3, v0
	global_load_dwordx2 v[1:2], v5, s[4:5]
	global_load_dwordx2 v[3:4], v5, s[4:5] offset:2048
	v_mov_b32_e32 v7, 0x3c5fc5da
	v_mov_b32_e32 v8, 0x3d034c3c
	;; [unrolled: 1-line block ×8, first 2 shown]
	s_brev_b32 s3, -2
	s_add_u32 s0, s8, s0
	s_addc_u32 s1, s9, s1
	s_waitcnt vmcnt(1)
	v_fma_f32 v14, |v1|, -0.5, 0.5
	v_mul_f32_e32 v15, v1, v1
	v_cmp_ge_f32_e64 vcc, |v1|, 0.5
	v_fma_f32 v16, |v2|, -0.5, 0.5
	v_mul_f32_e32 v17, v2, v2
	v_cndmask_b32_e32 v14, v15, v14, vcc
	v_cmp_ge_f32_e64 vcc, |v2|, 0.5
	s_waitcnt vmcnt(0)
	v_fma_f32 v18, |v3|, -0.5, 0.5
	v_mul_f32_e32 v19, v3, v3
	v_cndmask_b32_e32 v16, v17, v16, vcc
	v_cmp_ge_f32_e64 vcc, |v3|, 0.5
	v_fma_f32 v15, |v4|, -0.5, 0.5
	v_mul_f32_e32 v17, v4, v4
	v_cndmask_b32_e32 v18, v19, v18, vcc
	v_cmp_ge_f32_e64 vcc, |v4|, 0.5
	v_fmac_f32_e32 v7, 0x3d1c21a7, v14
	v_cndmask_b32_e32 v15, v17, v15, vcc
	v_fmac_f32_e32 v12, 0x3d1c21a7, v16
	v_fma_f32 v7, v14, v7, v8
	v_sqrt_f32_e32 v17, v14
	v_fmac_f32_e32 v13, 0x3d1c21a7, v18
	v_fmac_f32_e32 v6, 0x3d1c21a7, v15
	v_fma_f32 v12, v16, v12, v8
	v_fma_f32 v7, v14, v7, v9
	v_sqrt_f32_e32 v19, v16
	v_fma_f32 v13, v18, v13, v8
	v_fmac_f32_e32 v8, v15, v6
	v_fma_f32 v12, v16, v12, v9
	v_fma_f32 v7, v14, v7, v10
	v_sqrt_f32_e32 v6, v18
	v_fma_f32 v13, v18, v13, v9
	;; [unrolled: 5-line block ×3, first 2 shown]
	v_fmac_f32_e32 v10, v15, v9
	v_fma_f32 v9, v16, v12, v11
	v_mul_f32_e32 v7, v14, v7
	v_fma_f32 v12, v18, v13, v11
	v_mul_f32_e32 v9, v16, v9
	v_fmac_f32_e32 v17, v17, v7
	v_fmac_f32_e32 v11, v15, v10
	v_mul_f32_e32 v10, v18, v12
	v_fmac_f32_e32 v19, v19, v9
	v_add_f32_e32 v12, v17, v17
	v_mul_f32_e32 v11, v15, v11
	v_fma_f32 v7, |v1|, v7, |v1|
	v_fmac_f32_e32 v6, v6, v10
	v_add_f32_e32 v13, v19, v19
	v_sub_f32_e32 v12, 0x3fc90fdb, v12
	v_cmp_lt_f32_e64 vcc, |v1|, 0.5
	v_fma_f32 v9, |v2|, v9, |v2|
	v_fmac_f32_e32 v8, v8, v11
	v_add_f32_e32 v6, v6, v6
	v_sub_f32_e32 v13, 0x3fc90fdb, v13
	v_cndmask_b32_e32 v7, v12, v7, vcc
	v_cmp_lt_f32_e64 vcc, |v2|, 0.5
	v_fma_f32 v10, |v3|, v10, |v3|
	v_add_f32_e32 v8, v8, v8
	v_sub_f32_e32 v6, 0x3fc90fdb, v6
	v_cndmask_b32_e32 v9, v13, v9, vcc
	v_cmp_lt_f32_e64 vcc, |v3|, 0.5
	v_fma_f32 v11, |v4|, v11, |v4|
	v_sub_f32_e32 v8, 0x3fc90fdb, v8
	v_cndmask_b32_e32 v6, v6, v10, vcc
	v_cmp_lt_f32_e64 vcc, |v4|, 0.5
	v_cndmask_b32_e32 v8, v8, v11, vcc
	v_bfi_b32 v1, s3, v7, v1
	v_bfi_b32 v2, s3, v9, v2
	;; [unrolled: 1-line block ×4, first 2 shown]
	global_store_dwordx2 v5, v[1:2], s[0:1]
	global_store_dwordx2 v5, v[3:4], s[0:1] offset:2048
	s_mov_b64 s[0:1], 0
.LBB44_2:
	s_andn2_b64 vcc, exec, s[0:1]
	s_cbranch_vccnz .LBB44_23
; %bb.3:
	v_cmp_gt_i32_e32 vcc, s6, v0
	v_mov_b32_e32 v7, 0
	v_or_b32_e32 v5, s2, v0
	v_mov_b32_e32 v9, 0
	v_mov_b32_e32 v1, v0
	s_and_saveexec_b64 s[4:5], vcc
	s_cbranch_execz .LBB44_5
; %bb.4:
	v_mov_b32_e32 v6, 0
	v_lshlrev_b64 v[1:2], 2, v[5:6]
	v_mov_b32_e32 v3, s11
	v_add_co_u32_e64 v1, s[0:1], s10, v1
	v_addc_co_u32_e64 v2, s[0:1], v3, v2, s[0:1]
	global_load_dword v9, v[1:2], off
	v_or_b32_e32 v1, 0x100, v0
.LBB44_5:
	s_or_b64 exec, exec, s[4:5]
	v_cmp_gt_i32_e64 s[0:1], s6, v1
	s_and_saveexec_b64 s[4:5], s[0:1]
	s_cbranch_execz .LBB44_7
; %bb.6:
	v_add_u32_e32 v2, s2, v1
	v_mov_b32_e32 v3, 0
	v_lshlrev_b64 v[2:3], 2, v[2:3]
	v_mov_b32_e32 v4, s11
	v_add_co_u32_e64 v2, s[0:1], s10, v2
	v_addc_co_u32_e64 v3, s[0:1], v4, v3, s[0:1]
	global_load_dword v7, v[2:3], off
	v_add_u32_e32 v1, 0x100, v1
.LBB44_7:
	s_or_b64 exec, exec, s[4:5]
	v_cmp_gt_i32_e64 s[0:1], s6, v1
	v_mov_b32_e32 v6, 0
	v_mov_b32_e32 v8, 0
	s_and_saveexec_b64 s[4:5], s[0:1]
	s_cbranch_execz .LBB44_9
; %bb.8:
	v_add_u32_e32 v2, s2, v1
	v_mov_b32_e32 v3, 0
	v_lshlrev_b64 v[2:3], 2, v[2:3]
	v_mov_b32_e32 v4, s11
	v_add_co_u32_e64 v2, s[0:1], s10, v2
	v_addc_co_u32_e64 v3, s[0:1], v4, v3, s[0:1]
	global_load_dword v8, v[2:3], off
	v_add_u32_e32 v1, 0x100, v1
.LBB44_9:
	s_or_b64 exec, exec, s[4:5]
	v_cmp_gt_i32_e64 s[0:1], s6, v1
	s_and_saveexec_b64 s[4:5], s[0:1]
	s_cbranch_execz .LBB44_11
; %bb.10:
	v_add_u32_e32 v1, s2, v1
	v_mov_b32_e32 v2, 0
	v_lshlrev_b64 v[1:2], 2, v[1:2]
	v_mov_b32_e32 v3, s11
	v_add_co_u32_e64 v1, s[0:1], s10, v1
	v_addc_co_u32_e64 v2, s[0:1], v3, v2, s[0:1]
	global_load_dword v6, v[1:2], off
.LBB44_11:
	s_or_b64 exec, exec, s[4:5]
	v_mov_b32_e32 v1, 0
	v_mov_b32_e32 v2, v1
	;; [unrolled: 1-line block ×4, first 2 shown]
	s_and_saveexec_b64 s[4:5], vcc
	s_cbranch_execz .LBB44_13
; %bb.12:
	s_waitcnt vmcnt(0)
	v_fma_f32 v2, |v9|, -0.5, 0.5
	v_mul_f32_e32 v3, v9, v9
	v_cmp_ge_f32_e64 s[0:1], |v9|, 0.5
	v_cndmask_b32_e64 v2, v3, v2, s[0:1]
	v_mov_b32_e32 v3, 0x3c5fc5da
	v_fmac_f32_e32 v3, 0x3d1c21a7, v2
	v_mov_b32_e32 v4, 0x3d034c3c
	v_fmac_f32_e32 v4, v2, v3
	;; [unrolled: 2-line block ×4, first 2 shown]
	v_sqrt_f32_e32 v3, v2
	v_mov_b32_e32 v10, 0x3e2aaaac
	v_fmac_f32_e32 v10, v2, v4
	v_mul_f32_e32 v2, v2, v10
	v_fmac_f32_e32 v3, v3, v2
	v_add_f32_e32 v3, v3, v3
	v_sub_f32_e32 v3, 0x3fc90fdb, v3
	v_fma_f32 v2, |v9|, v2, |v9|
	v_cmp_lt_f32_e64 s[0:1], |v9|, 0.5
	v_cndmask_b32_e64 v2, v3, v2, s[0:1]
	s_brev_b32 s0, -2
	v_bfi_b32 v9, s0, v2, v9
	v_mov_b32_e32 v10, v1
	v_mov_b32_e32 v11, v1
	;; [unrolled: 1-line block ×7, first 2 shown]
.LBB44_13:
	s_or_b64 exec, exec, s[4:5]
	s_waitcnt vmcnt(0)
	v_or_b32_e32 v9, 0x100, v0
	v_cmp_gt_i32_e64 s[0:1], s6, v9
	s_and_saveexec_b64 s[4:5], s[0:1]
	s_cbranch_execz .LBB44_15
; %bb.14:
	v_fma_f32 v2, |v7|, -0.5, 0.5
	v_mul_f32_e32 v10, v7, v7
	v_cmp_ge_f32_e64 s[0:1], |v7|, 0.5
	v_cndmask_b32_e64 v2, v10, v2, s[0:1]
	v_mov_b32_e32 v10, 0x3c5fc5da
	v_fmac_f32_e32 v10, 0x3d1c21a7, v2
	v_mov_b32_e32 v11, 0x3d034c3c
	v_fmac_f32_e32 v11, v2, v10
	;; [unrolled: 2-line block ×4, first 2 shown]
	v_sqrt_f32_e32 v10, v2
	v_mov_b32_e32 v12, 0x3e2aaaac
	v_fmac_f32_e32 v12, v2, v11
	v_mul_f32_e32 v2, v2, v12
	v_fmac_f32_e32 v10, v10, v2
	v_add_f32_e32 v10, v10, v10
	v_sub_f32_e32 v10, 0x3fc90fdb, v10
	v_fma_f32 v2, |v7|, v2, |v7|
	v_cmp_lt_f32_e64 s[0:1], |v7|, 0.5
	v_cndmask_b32_e64 v2, v10, v2, s[0:1]
	s_brev_b32 s0, -2
	v_bfi_b32 v2, s0, v2, v7
.LBB44_15:
	s_or_b64 exec, exec, s[4:5]
	v_or_b32_e32 v7, 0x200, v0
	v_cmp_gt_i32_e64 s[0:1], s6, v7
	s_and_saveexec_b64 s[4:5], s[0:1]
	s_cbranch_execz .LBB44_17
; %bb.16:
	v_fma_f32 v3, |v8|, -0.5, 0.5
	v_mul_f32_e32 v7, v8, v8
	v_cmp_ge_f32_e64 s[0:1], |v8|, 0.5
	v_cndmask_b32_e64 v3, v7, v3, s[0:1]
	v_mov_b32_e32 v7, 0x3c5fc5da
	v_fmac_f32_e32 v7, 0x3d1c21a7, v3
	v_mov_b32_e32 v10, 0x3d034c3c
	v_fmac_f32_e32 v10, v3, v7
	;; [unrolled: 2-line block ×4, first 2 shown]
	v_sqrt_f32_e32 v7, v3
	v_mov_b32_e32 v11, 0x3e2aaaac
	v_fmac_f32_e32 v11, v3, v10
	v_mul_f32_e32 v3, v3, v11
	v_fmac_f32_e32 v7, v7, v3
	v_add_f32_e32 v7, v7, v7
	v_sub_f32_e32 v7, 0x3fc90fdb, v7
	v_fma_f32 v3, |v8|, v3, |v8|
	v_cmp_lt_f32_e64 s[0:1], |v8|, 0.5
	v_cndmask_b32_e64 v3, v7, v3, s[0:1]
	s_brev_b32 s0, -2
	v_bfi_b32 v3, s0, v3, v8
.LBB44_17:
	s_or_b64 exec, exec, s[4:5]
	v_or_b32_e32 v7, 0x300, v0
	v_cmp_gt_i32_e64 s[0:1], s6, v7
	s_and_saveexec_b64 s[4:5], s[0:1]
	s_cbranch_execnz .LBB44_24
; %bb.18:
	s_or_b64 exec, exec, s[4:5]
	s_and_saveexec_b64 s[0:1], vcc
	s_xor_b64 s[0:1], exec, s[0:1]
	s_cbranch_execnz .LBB44_25
.LBB44_19:
	s_or_b64 exec, exec, s[0:1]
	v_cmp_gt_i32_e32 vcc, s6, v0
	s_and_saveexec_b64 s[0:1], vcc
	s_cbranch_execnz .LBB44_26
.LBB44_20:
	s_or_b64 exec, exec, s[0:1]
	v_cmp_gt_i32_e32 vcc, s6, v0
	s_and_saveexec_b64 s[0:1], vcc
	s_cbranch_execnz .LBB44_27
.LBB44_21:
	s_or_b64 exec, exec, s[0:1]
	v_cmp_gt_i32_e32 vcc, s6, v0
	s_and_saveexec_b64 s[0:1], vcc
	s_cbranch_execz .LBB44_23
.LBB44_22:
	v_add_u32_e32 v0, s2, v0
	v_mov_b32_e32 v1, 0
	v_lshlrev_b64 v[0:1], 2, v[0:1]
	v_mov_b32_e32 v2, s9
	v_add_co_u32_e32 v0, vcc, s8, v0
	v_addc_co_u32_e32 v1, vcc, v2, v1, vcc
	global_store_dword v[0:1], v4, off
.LBB44_23:
	s_endpgm
.LBB44_24:
	v_fma_f32 v4, |v6|, -0.5, 0.5
	v_mul_f32_e32 v7, v6, v6
	v_cmp_ge_f32_e64 s[0:1], |v6|, 0.5
	v_cndmask_b32_e64 v4, v7, v4, s[0:1]
	v_mov_b32_e32 v7, 0x3c5fc5da
	v_fmac_f32_e32 v7, 0x3d1c21a7, v4
	v_mov_b32_e32 v8, 0x3d034c3c
	v_fmac_f32_e32 v8, v4, v7
	;; [unrolled: 2-line block ×4, first 2 shown]
	v_sqrt_f32_e32 v7, v4
	v_mov_b32_e32 v10, 0x3e2aaaac
	v_fmac_f32_e32 v10, v4, v8
	v_mul_f32_e32 v4, v4, v10
	v_fmac_f32_e32 v7, v7, v4
	v_add_f32_e32 v7, v7, v7
	v_sub_f32_e32 v7, 0x3fc90fdb, v7
	v_fma_f32 v4, |v6|, v4, |v6|
	v_cmp_lt_f32_e64 s[0:1], |v6|, 0.5
	v_cndmask_b32_e64 v4, v7, v4, s[0:1]
	s_brev_b32 s0, -2
	v_bfi_b32 v4, s0, v4, v6
	s_or_b64 exec, exec, s[4:5]
	s_and_saveexec_b64 s[0:1], vcc
	s_xor_b64 s[0:1], exec, s[0:1]
	s_cbranch_execz .LBB44_19
.LBB44_25:
	v_mov_b32_e32 v6, 0
	v_lshlrev_b64 v[5:6], 2, v[5:6]
	v_mov_b32_e32 v0, s9
	v_add_co_u32_e32 v5, vcc, s8, v5
	v_addc_co_u32_e32 v6, vcc, v0, v6, vcc
	v_mov_b32_e32 v0, v9
	global_store_dword v[5:6], v1, off
	s_or_b64 exec, exec, s[0:1]
	v_cmp_gt_i32_e32 vcc, s6, v0
	s_and_saveexec_b64 s[0:1], vcc
	s_cbranch_execz .LBB44_20
.LBB44_26:
	v_add_u32_e32 v5, s2, v0
	v_mov_b32_e32 v6, 0
	v_lshlrev_b64 v[5:6], 2, v[5:6]
	v_mov_b32_e32 v1, s9
	v_add_co_u32_e32 v5, vcc, s8, v5
	v_addc_co_u32_e32 v6, vcc, v1, v6, vcc
	v_add_u32_e32 v0, 0x100, v0
	global_store_dword v[5:6], v2, off
	s_or_b64 exec, exec, s[0:1]
	v_cmp_gt_i32_e32 vcc, s6, v0
	s_and_saveexec_b64 s[0:1], vcc
	s_cbranch_execz .LBB44_21
.LBB44_27:
	v_add_u32_e32 v1, s2, v0
	v_mov_b32_e32 v2, 0
	v_lshlrev_b64 v[1:2], 2, v[1:2]
	v_mov_b32_e32 v5, s9
	v_add_co_u32_e32 v1, vcc, s8, v1
	v_addc_co_u32_e32 v2, vcc, v5, v2, vcc
	v_add_u32_e32 v0, 0x100, v0
	global_store_dword v[1:2], v3, off
	s_or_b64 exec, exec, s[0:1]
	v_cmp_gt_i32_e32 vcc, s6, v0
	s_and_saveexec_b64 s[0:1], vcc
	s_cbranch_execnz .LBB44_22
	s_branch .LBB44_23
	.section	.rodata,"a",@progbits
	.p2align	6, 0x0
	.amdhsa_kernel _ZN2at6native29vectorized_elementwise_kernelILi2EZZZNS0_16asin_kernel_cudaERNS_18TensorIteratorBaseEENKUlvE0_clEvENKUlvE0_clEvEUlfE_St5arrayIPcLm2EEEEviT0_T1_
		.amdhsa_group_segment_fixed_size 0
		.amdhsa_private_segment_fixed_size 0
		.amdhsa_kernarg_size 24
		.amdhsa_user_sgpr_count 6
		.amdhsa_user_sgpr_private_segment_buffer 1
		.amdhsa_user_sgpr_dispatch_ptr 0
		.amdhsa_user_sgpr_queue_ptr 0
		.amdhsa_user_sgpr_kernarg_segment_ptr 1
		.amdhsa_user_sgpr_dispatch_id 0
		.amdhsa_user_sgpr_flat_scratch_init 0
		.amdhsa_user_sgpr_private_segment_size 0
		.amdhsa_uses_dynamic_stack 0
		.amdhsa_system_sgpr_private_segment_wavefront_offset 0
		.amdhsa_system_sgpr_workgroup_id_x 1
		.amdhsa_system_sgpr_workgroup_id_y 0
		.amdhsa_system_sgpr_workgroup_id_z 0
		.amdhsa_system_sgpr_workgroup_info 0
		.amdhsa_system_vgpr_workitem_id 0
		.amdhsa_next_free_vgpr 20
		.amdhsa_next_free_sgpr 12
		.amdhsa_reserve_vcc 1
		.amdhsa_reserve_flat_scratch 0
		.amdhsa_float_round_mode_32 0
		.amdhsa_float_round_mode_16_64 0
		.amdhsa_float_denorm_mode_32 3
		.amdhsa_float_denorm_mode_16_64 3
		.amdhsa_dx10_clamp 1
		.amdhsa_ieee_mode 1
		.amdhsa_fp16_overflow 0
		.amdhsa_exception_fp_ieee_invalid_op 0
		.amdhsa_exception_fp_denorm_src 0
		.amdhsa_exception_fp_ieee_div_zero 0
		.amdhsa_exception_fp_ieee_overflow 0
		.amdhsa_exception_fp_ieee_underflow 0
		.amdhsa_exception_fp_ieee_inexact 0
		.amdhsa_exception_int_div_zero 0
	.end_amdhsa_kernel
	.section	.text._ZN2at6native29vectorized_elementwise_kernelILi2EZZZNS0_16asin_kernel_cudaERNS_18TensorIteratorBaseEENKUlvE0_clEvENKUlvE0_clEvEUlfE_St5arrayIPcLm2EEEEviT0_T1_,"axG",@progbits,_ZN2at6native29vectorized_elementwise_kernelILi2EZZZNS0_16asin_kernel_cudaERNS_18TensorIteratorBaseEENKUlvE0_clEvENKUlvE0_clEvEUlfE_St5arrayIPcLm2EEEEviT0_T1_,comdat
.Lfunc_end44:
	.size	_ZN2at6native29vectorized_elementwise_kernelILi2EZZZNS0_16asin_kernel_cudaERNS_18TensorIteratorBaseEENKUlvE0_clEvENKUlvE0_clEvEUlfE_St5arrayIPcLm2EEEEviT0_T1_, .Lfunc_end44-_ZN2at6native29vectorized_elementwise_kernelILi2EZZZNS0_16asin_kernel_cudaERNS_18TensorIteratorBaseEENKUlvE0_clEvENKUlvE0_clEvEUlfE_St5arrayIPcLm2EEEEviT0_T1_
                                        ; -- End function
	.set _ZN2at6native29vectorized_elementwise_kernelILi2EZZZNS0_16asin_kernel_cudaERNS_18TensorIteratorBaseEENKUlvE0_clEvENKUlvE0_clEvEUlfE_St5arrayIPcLm2EEEEviT0_T1_.num_vgpr, 20
	.set _ZN2at6native29vectorized_elementwise_kernelILi2EZZZNS0_16asin_kernel_cudaERNS_18TensorIteratorBaseEENKUlvE0_clEvENKUlvE0_clEvEUlfE_St5arrayIPcLm2EEEEviT0_T1_.num_agpr, 0
	.set _ZN2at6native29vectorized_elementwise_kernelILi2EZZZNS0_16asin_kernel_cudaERNS_18TensorIteratorBaseEENKUlvE0_clEvENKUlvE0_clEvEUlfE_St5arrayIPcLm2EEEEviT0_T1_.numbered_sgpr, 12
	.set _ZN2at6native29vectorized_elementwise_kernelILi2EZZZNS0_16asin_kernel_cudaERNS_18TensorIteratorBaseEENKUlvE0_clEvENKUlvE0_clEvEUlfE_St5arrayIPcLm2EEEEviT0_T1_.num_named_barrier, 0
	.set _ZN2at6native29vectorized_elementwise_kernelILi2EZZZNS0_16asin_kernel_cudaERNS_18TensorIteratorBaseEENKUlvE0_clEvENKUlvE0_clEvEUlfE_St5arrayIPcLm2EEEEviT0_T1_.private_seg_size, 0
	.set _ZN2at6native29vectorized_elementwise_kernelILi2EZZZNS0_16asin_kernel_cudaERNS_18TensorIteratorBaseEENKUlvE0_clEvENKUlvE0_clEvEUlfE_St5arrayIPcLm2EEEEviT0_T1_.uses_vcc, 1
	.set _ZN2at6native29vectorized_elementwise_kernelILi2EZZZNS0_16asin_kernel_cudaERNS_18TensorIteratorBaseEENKUlvE0_clEvENKUlvE0_clEvEUlfE_St5arrayIPcLm2EEEEviT0_T1_.uses_flat_scratch, 0
	.set _ZN2at6native29vectorized_elementwise_kernelILi2EZZZNS0_16asin_kernel_cudaERNS_18TensorIteratorBaseEENKUlvE0_clEvENKUlvE0_clEvEUlfE_St5arrayIPcLm2EEEEviT0_T1_.has_dyn_sized_stack, 0
	.set _ZN2at6native29vectorized_elementwise_kernelILi2EZZZNS0_16asin_kernel_cudaERNS_18TensorIteratorBaseEENKUlvE0_clEvENKUlvE0_clEvEUlfE_St5arrayIPcLm2EEEEviT0_T1_.has_recursion, 0
	.set _ZN2at6native29vectorized_elementwise_kernelILi2EZZZNS0_16asin_kernel_cudaERNS_18TensorIteratorBaseEENKUlvE0_clEvENKUlvE0_clEvEUlfE_St5arrayIPcLm2EEEEviT0_T1_.has_indirect_call, 0
	.section	.AMDGPU.csdata,"",@progbits
; Kernel info:
; codeLenInByte = 1980
; TotalNumSgprs: 16
; NumVgprs: 20
; ScratchSize: 0
; MemoryBound: 0
; FloatMode: 240
; IeeeMode: 1
; LDSByteSize: 0 bytes/workgroup (compile time only)
; SGPRBlocks: 1
; VGPRBlocks: 4
; NumSGPRsForWavesPerEU: 16
; NumVGPRsForWavesPerEU: 20
; Occupancy: 10
; WaveLimiterHint : 1
; COMPUTE_PGM_RSRC2:SCRATCH_EN: 0
; COMPUTE_PGM_RSRC2:USER_SGPR: 6
; COMPUTE_PGM_RSRC2:TRAP_HANDLER: 0
; COMPUTE_PGM_RSRC2:TGID_X_EN: 1
; COMPUTE_PGM_RSRC2:TGID_Y_EN: 0
; COMPUTE_PGM_RSRC2:TGID_Z_EN: 0
; COMPUTE_PGM_RSRC2:TIDIG_COMP_CNT: 0
	.section	.text._ZN2at6native27unrolled_elementwise_kernelIZZZNS0_16asin_kernel_cudaERNS_18TensorIteratorBaseEENKUlvE0_clEvENKUlvE0_clEvEUlfE_St5arrayIPcLm2EELi4E23TrivialOffsetCalculatorILi1EjESB_NS0_6memory15LoadWithoutCastENSC_16StoreWithoutCastEEEviT_T0_T2_T3_T4_T5_,"axG",@progbits,_ZN2at6native27unrolled_elementwise_kernelIZZZNS0_16asin_kernel_cudaERNS_18TensorIteratorBaseEENKUlvE0_clEvENKUlvE0_clEvEUlfE_St5arrayIPcLm2EELi4E23TrivialOffsetCalculatorILi1EjESB_NS0_6memory15LoadWithoutCastENSC_16StoreWithoutCastEEEviT_T0_T2_T3_T4_T5_,comdat
	.globl	_ZN2at6native27unrolled_elementwise_kernelIZZZNS0_16asin_kernel_cudaERNS_18TensorIteratorBaseEENKUlvE0_clEvENKUlvE0_clEvEUlfE_St5arrayIPcLm2EELi4E23TrivialOffsetCalculatorILi1EjESB_NS0_6memory15LoadWithoutCastENSC_16StoreWithoutCastEEEviT_T0_T2_T3_T4_T5_ ; -- Begin function _ZN2at6native27unrolled_elementwise_kernelIZZZNS0_16asin_kernel_cudaERNS_18TensorIteratorBaseEENKUlvE0_clEvENKUlvE0_clEvEUlfE_St5arrayIPcLm2EELi4E23TrivialOffsetCalculatorILi1EjESB_NS0_6memory15LoadWithoutCastENSC_16StoreWithoutCastEEEviT_T0_T2_T3_T4_T5_
	.p2align	8
	.type	_ZN2at6native27unrolled_elementwise_kernelIZZZNS0_16asin_kernel_cudaERNS_18TensorIteratorBaseEENKUlvE0_clEvENKUlvE0_clEvEUlfE_St5arrayIPcLm2EELi4E23TrivialOffsetCalculatorILi1EjESB_NS0_6memory15LoadWithoutCastENSC_16StoreWithoutCastEEEviT_T0_T2_T3_T4_T5_,@function
_ZN2at6native27unrolled_elementwise_kernelIZZZNS0_16asin_kernel_cudaERNS_18TensorIteratorBaseEENKUlvE0_clEvENKUlvE0_clEvEUlfE_St5arrayIPcLm2EELi4E23TrivialOffsetCalculatorILi1EjESB_NS0_6memory15LoadWithoutCastENSC_16StoreWithoutCastEEEviT_T0_T2_T3_T4_T5_: ; @_ZN2at6native27unrolled_elementwise_kernelIZZZNS0_16asin_kernel_cudaERNS_18TensorIteratorBaseEENKUlvE0_clEvENKUlvE0_clEvEUlfE_St5arrayIPcLm2EELi4E23TrivialOffsetCalculatorILi1EjESB_NS0_6memory15LoadWithoutCastENSC_16StoreWithoutCastEEEviT_T0_T2_T3_T4_T5_
; %bb.0:
	s_load_dword s0, s[4:5], 0x0
	s_load_dwordx4 s[8:11], s[4:5], 0x8
	s_lshl_b32 s4, s6, 10
	v_mov_b32_e32 v7, 0
	v_or_b32_e32 v5, s4, v0
	s_waitcnt lgkmcnt(0)
	s_sub_i32 s5, s0, s4
	v_cmp_gt_i32_e32 vcc, s5, v0
	v_mov_b32_e32 v9, 0
	v_mov_b32_e32 v1, v0
	s_and_saveexec_b64 s[2:3], vcc
	s_cbranch_execz .LBB45_2
; %bb.1:
	v_mov_b32_e32 v6, 0
	v_lshlrev_b64 v[1:2], 2, v[5:6]
	v_mov_b32_e32 v3, s11
	v_add_co_u32_e64 v1, s[0:1], s10, v1
	v_addc_co_u32_e64 v2, s[0:1], v3, v2, s[0:1]
	global_load_dword v9, v[1:2], off
	v_or_b32_e32 v1, 0x100, v0
.LBB45_2:
	s_or_b64 exec, exec, s[2:3]
	v_cmp_gt_i32_e64 s[0:1], s5, v1
	s_and_saveexec_b64 s[2:3], s[0:1]
	s_cbranch_execz .LBB45_4
; %bb.3:
	v_add_u32_e32 v2, s4, v1
	v_mov_b32_e32 v3, 0
	v_lshlrev_b64 v[2:3], 2, v[2:3]
	v_mov_b32_e32 v4, s11
	v_add_co_u32_e64 v2, s[0:1], s10, v2
	v_addc_co_u32_e64 v3, s[0:1], v4, v3, s[0:1]
	global_load_dword v7, v[2:3], off
	v_add_u32_e32 v1, 0x100, v1
.LBB45_4:
	s_or_b64 exec, exec, s[2:3]
	v_cmp_gt_i32_e64 s[0:1], s5, v1
	v_mov_b32_e32 v6, 0
	v_mov_b32_e32 v8, 0
	s_and_saveexec_b64 s[2:3], s[0:1]
	s_cbranch_execz .LBB45_6
; %bb.5:
	v_add_u32_e32 v2, s4, v1
	v_mov_b32_e32 v3, 0
	v_lshlrev_b64 v[2:3], 2, v[2:3]
	v_mov_b32_e32 v4, s11
	v_add_co_u32_e64 v2, s[0:1], s10, v2
	v_addc_co_u32_e64 v3, s[0:1], v4, v3, s[0:1]
	global_load_dword v8, v[2:3], off
	v_add_u32_e32 v1, 0x100, v1
.LBB45_6:
	s_or_b64 exec, exec, s[2:3]
	v_cmp_gt_i32_e64 s[0:1], s5, v1
	s_and_saveexec_b64 s[2:3], s[0:1]
	s_cbranch_execz .LBB45_8
; %bb.7:
	v_add_u32_e32 v1, s4, v1
	v_mov_b32_e32 v2, 0
	v_lshlrev_b64 v[1:2], 2, v[1:2]
	v_mov_b32_e32 v3, s11
	v_add_co_u32_e64 v1, s[0:1], s10, v1
	v_addc_co_u32_e64 v2, s[0:1], v3, v2, s[0:1]
	global_load_dword v6, v[1:2], off
.LBB45_8:
	s_or_b64 exec, exec, s[2:3]
	v_mov_b32_e32 v1, 0
	v_mov_b32_e32 v2, v1
	;; [unrolled: 1-line block ×4, first 2 shown]
	s_and_saveexec_b64 s[2:3], vcc
	s_cbranch_execz .LBB45_10
; %bb.9:
	s_waitcnt vmcnt(0)
	v_fma_f32 v2, |v9|, -0.5, 0.5
	v_mul_f32_e32 v3, v9, v9
	v_cmp_ge_f32_e64 s[0:1], |v9|, 0.5
	v_cndmask_b32_e64 v2, v3, v2, s[0:1]
	v_mov_b32_e32 v3, 0x3c5fc5da
	v_fmac_f32_e32 v3, 0x3d1c21a7, v2
	v_mov_b32_e32 v4, 0x3d034c3c
	v_fmac_f32_e32 v4, v2, v3
	v_mov_b32_e32 v3, 0x3d3641b1
	v_fmac_f32_e32 v3, v2, v4
	v_mov_b32_e32 v4, 0x3d999bc8
	v_fmac_f32_e32 v4, v2, v3
	v_sqrt_f32_e32 v3, v2
	v_mov_b32_e32 v10, 0x3e2aaaac
	v_fmac_f32_e32 v10, v2, v4
	v_mul_f32_e32 v2, v2, v10
	v_fmac_f32_e32 v3, v3, v2
	v_add_f32_e32 v3, v3, v3
	v_sub_f32_e32 v3, 0x3fc90fdb, v3
	v_fma_f32 v2, |v9|, v2, |v9|
	v_cmp_lt_f32_e64 s[0:1], |v9|, 0.5
	v_cndmask_b32_e64 v2, v3, v2, s[0:1]
	s_brev_b32 s0, -2
	v_bfi_b32 v9, s0, v2, v9
	v_mov_b32_e32 v10, v1
	v_mov_b32_e32 v11, v1
	;; [unrolled: 1-line block ×7, first 2 shown]
.LBB45_10:
	s_or_b64 exec, exec, s[2:3]
	s_waitcnt vmcnt(0)
	v_or_b32_e32 v9, 0x100, v0
	v_cmp_gt_i32_e64 s[0:1], s5, v9
	s_and_saveexec_b64 s[2:3], s[0:1]
	s_cbranch_execz .LBB45_12
; %bb.11:
	v_fma_f32 v2, |v7|, -0.5, 0.5
	v_mul_f32_e32 v10, v7, v7
	v_cmp_ge_f32_e64 s[0:1], |v7|, 0.5
	v_cndmask_b32_e64 v2, v10, v2, s[0:1]
	v_mov_b32_e32 v10, 0x3c5fc5da
	v_fmac_f32_e32 v10, 0x3d1c21a7, v2
	v_mov_b32_e32 v11, 0x3d034c3c
	v_fmac_f32_e32 v11, v2, v10
	;; [unrolled: 2-line block ×4, first 2 shown]
	v_sqrt_f32_e32 v10, v2
	v_mov_b32_e32 v12, 0x3e2aaaac
	v_fmac_f32_e32 v12, v2, v11
	v_mul_f32_e32 v2, v2, v12
	v_fmac_f32_e32 v10, v10, v2
	v_add_f32_e32 v10, v10, v10
	v_sub_f32_e32 v10, 0x3fc90fdb, v10
	v_fma_f32 v2, |v7|, v2, |v7|
	v_cmp_lt_f32_e64 s[0:1], |v7|, 0.5
	v_cndmask_b32_e64 v2, v10, v2, s[0:1]
	s_brev_b32 s0, -2
	v_bfi_b32 v2, s0, v2, v7
.LBB45_12:
	s_or_b64 exec, exec, s[2:3]
	v_or_b32_e32 v7, 0x200, v0
	v_cmp_gt_i32_e64 s[0:1], s5, v7
	s_and_saveexec_b64 s[2:3], s[0:1]
	s_cbranch_execz .LBB45_14
; %bb.13:
	v_fma_f32 v3, |v8|, -0.5, 0.5
	v_mul_f32_e32 v7, v8, v8
	v_cmp_ge_f32_e64 s[0:1], |v8|, 0.5
	v_cndmask_b32_e64 v3, v7, v3, s[0:1]
	v_mov_b32_e32 v7, 0x3c5fc5da
	v_fmac_f32_e32 v7, 0x3d1c21a7, v3
	v_mov_b32_e32 v10, 0x3d034c3c
	v_fmac_f32_e32 v10, v3, v7
	;; [unrolled: 2-line block ×4, first 2 shown]
	v_sqrt_f32_e32 v7, v3
	v_mov_b32_e32 v11, 0x3e2aaaac
	v_fmac_f32_e32 v11, v3, v10
	v_mul_f32_e32 v3, v3, v11
	v_fmac_f32_e32 v7, v7, v3
	v_add_f32_e32 v7, v7, v7
	v_sub_f32_e32 v7, 0x3fc90fdb, v7
	v_fma_f32 v3, |v8|, v3, |v8|
	v_cmp_lt_f32_e64 s[0:1], |v8|, 0.5
	v_cndmask_b32_e64 v3, v7, v3, s[0:1]
	s_brev_b32 s0, -2
	v_bfi_b32 v3, s0, v3, v8
.LBB45_14:
	s_or_b64 exec, exec, s[2:3]
	v_or_b32_e32 v7, 0x300, v0
	v_cmp_gt_i32_e64 s[0:1], s5, v7
	s_and_saveexec_b64 s[2:3], s[0:1]
	s_cbranch_execnz .LBB45_20
; %bb.15:
	s_or_b64 exec, exec, s[2:3]
	s_and_saveexec_b64 s[0:1], vcc
	s_xor_b64 s[0:1], exec, s[0:1]
	s_cbranch_execnz .LBB45_21
.LBB45_16:
	s_or_b64 exec, exec, s[0:1]
	v_cmp_gt_i32_e32 vcc, s5, v0
	s_and_saveexec_b64 s[0:1], vcc
	s_cbranch_execnz .LBB45_22
.LBB45_17:
	s_or_b64 exec, exec, s[0:1]
	v_cmp_gt_i32_e32 vcc, s5, v0
	s_and_saveexec_b64 s[0:1], vcc
	s_cbranch_execnz .LBB45_23
.LBB45_18:
	s_or_b64 exec, exec, s[0:1]
	v_cmp_gt_i32_e32 vcc, s5, v0
	s_and_saveexec_b64 s[0:1], vcc
	s_cbranch_execnz .LBB45_24
.LBB45_19:
	s_endpgm
.LBB45_20:
	v_fma_f32 v4, |v6|, -0.5, 0.5
	v_mul_f32_e32 v7, v6, v6
	v_cmp_ge_f32_e64 s[0:1], |v6|, 0.5
	v_cndmask_b32_e64 v4, v7, v4, s[0:1]
	v_mov_b32_e32 v7, 0x3c5fc5da
	v_fmac_f32_e32 v7, 0x3d1c21a7, v4
	v_mov_b32_e32 v8, 0x3d034c3c
	v_fmac_f32_e32 v8, v4, v7
	;; [unrolled: 2-line block ×4, first 2 shown]
	v_sqrt_f32_e32 v7, v4
	v_mov_b32_e32 v10, 0x3e2aaaac
	v_fmac_f32_e32 v10, v4, v8
	v_mul_f32_e32 v4, v4, v10
	v_fmac_f32_e32 v7, v7, v4
	v_add_f32_e32 v7, v7, v7
	v_sub_f32_e32 v7, 0x3fc90fdb, v7
	v_fma_f32 v4, |v6|, v4, |v6|
	v_cmp_lt_f32_e64 s[0:1], |v6|, 0.5
	v_cndmask_b32_e64 v4, v7, v4, s[0:1]
	s_brev_b32 s0, -2
	v_bfi_b32 v4, s0, v4, v6
	s_or_b64 exec, exec, s[2:3]
	s_and_saveexec_b64 s[0:1], vcc
	s_xor_b64 s[0:1], exec, s[0:1]
	s_cbranch_execz .LBB45_16
.LBB45_21:
	v_mov_b32_e32 v6, 0
	v_lshlrev_b64 v[5:6], 2, v[5:6]
	v_mov_b32_e32 v0, s9
	v_add_co_u32_e32 v5, vcc, s8, v5
	v_addc_co_u32_e32 v6, vcc, v0, v6, vcc
	v_mov_b32_e32 v0, v9
	global_store_dword v[5:6], v1, off
	s_or_b64 exec, exec, s[0:1]
	v_cmp_gt_i32_e32 vcc, s5, v0
	s_and_saveexec_b64 s[0:1], vcc
	s_cbranch_execz .LBB45_17
.LBB45_22:
	v_add_u32_e32 v5, 0x100, v0
	v_add_u32_e32 v0, s4, v0
	v_mov_b32_e32 v1, 0
	v_lshlrev_b64 v[0:1], 2, v[0:1]
	v_mov_b32_e32 v6, s9
	v_add_co_u32_e32 v0, vcc, s8, v0
	v_addc_co_u32_e32 v1, vcc, v6, v1, vcc
	global_store_dword v[0:1], v2, off
	v_mov_b32_e32 v0, v5
	s_or_b64 exec, exec, s[0:1]
	v_cmp_gt_i32_e32 vcc, s5, v0
	s_and_saveexec_b64 s[0:1], vcc
	s_cbranch_execz .LBB45_18
.LBB45_23:
	v_add_u32_e32 v2, 0x100, v0
	v_add_u32_e32 v0, s4, v0
	v_mov_b32_e32 v1, 0
	v_lshlrev_b64 v[0:1], 2, v[0:1]
	v_mov_b32_e32 v5, s9
	v_add_co_u32_e32 v0, vcc, s8, v0
	v_addc_co_u32_e32 v1, vcc, v5, v1, vcc
	global_store_dword v[0:1], v3, off
	v_mov_b32_e32 v0, v2
	s_or_b64 exec, exec, s[0:1]
	v_cmp_gt_i32_e32 vcc, s5, v0
	s_and_saveexec_b64 s[0:1], vcc
	s_cbranch_execz .LBB45_19
.LBB45_24:
	v_add_u32_e32 v0, s4, v0
	v_mov_b32_e32 v1, 0
	v_lshlrev_b64 v[0:1], 2, v[0:1]
	v_mov_b32_e32 v2, s9
	v_add_co_u32_e32 v0, vcc, s8, v0
	v_addc_co_u32_e32 v1, vcc, v2, v1, vcc
	global_store_dword v[0:1], v4, off
	s_endpgm
	.section	.rodata,"a",@progbits
	.p2align	6, 0x0
	.amdhsa_kernel _ZN2at6native27unrolled_elementwise_kernelIZZZNS0_16asin_kernel_cudaERNS_18TensorIteratorBaseEENKUlvE0_clEvENKUlvE0_clEvEUlfE_St5arrayIPcLm2EELi4E23TrivialOffsetCalculatorILi1EjESB_NS0_6memory15LoadWithoutCastENSC_16StoreWithoutCastEEEviT_T0_T2_T3_T4_T5_
		.amdhsa_group_segment_fixed_size 0
		.amdhsa_private_segment_fixed_size 0
		.amdhsa_kernarg_size 28
		.amdhsa_user_sgpr_count 6
		.amdhsa_user_sgpr_private_segment_buffer 1
		.amdhsa_user_sgpr_dispatch_ptr 0
		.amdhsa_user_sgpr_queue_ptr 0
		.amdhsa_user_sgpr_kernarg_segment_ptr 1
		.amdhsa_user_sgpr_dispatch_id 0
		.amdhsa_user_sgpr_flat_scratch_init 0
		.amdhsa_user_sgpr_private_segment_size 0
		.amdhsa_uses_dynamic_stack 0
		.amdhsa_system_sgpr_private_segment_wavefront_offset 0
		.amdhsa_system_sgpr_workgroup_id_x 1
		.amdhsa_system_sgpr_workgroup_id_y 0
		.amdhsa_system_sgpr_workgroup_id_z 0
		.amdhsa_system_sgpr_workgroup_info 0
		.amdhsa_system_vgpr_workitem_id 0
		.amdhsa_next_free_vgpr 13
		.amdhsa_next_free_sgpr 12
		.amdhsa_reserve_vcc 1
		.amdhsa_reserve_flat_scratch 0
		.amdhsa_float_round_mode_32 0
		.amdhsa_float_round_mode_16_64 0
		.amdhsa_float_denorm_mode_32 3
		.amdhsa_float_denorm_mode_16_64 3
		.amdhsa_dx10_clamp 1
		.amdhsa_ieee_mode 1
		.amdhsa_fp16_overflow 0
		.amdhsa_exception_fp_ieee_invalid_op 0
		.amdhsa_exception_fp_denorm_src 0
		.amdhsa_exception_fp_ieee_div_zero 0
		.amdhsa_exception_fp_ieee_overflow 0
		.amdhsa_exception_fp_ieee_underflow 0
		.amdhsa_exception_fp_ieee_inexact 0
		.amdhsa_exception_int_div_zero 0
	.end_amdhsa_kernel
	.section	.text._ZN2at6native27unrolled_elementwise_kernelIZZZNS0_16asin_kernel_cudaERNS_18TensorIteratorBaseEENKUlvE0_clEvENKUlvE0_clEvEUlfE_St5arrayIPcLm2EELi4E23TrivialOffsetCalculatorILi1EjESB_NS0_6memory15LoadWithoutCastENSC_16StoreWithoutCastEEEviT_T0_T2_T3_T4_T5_,"axG",@progbits,_ZN2at6native27unrolled_elementwise_kernelIZZZNS0_16asin_kernel_cudaERNS_18TensorIteratorBaseEENKUlvE0_clEvENKUlvE0_clEvEUlfE_St5arrayIPcLm2EELi4E23TrivialOffsetCalculatorILi1EjESB_NS0_6memory15LoadWithoutCastENSC_16StoreWithoutCastEEEviT_T0_T2_T3_T4_T5_,comdat
.Lfunc_end45:
	.size	_ZN2at6native27unrolled_elementwise_kernelIZZZNS0_16asin_kernel_cudaERNS_18TensorIteratorBaseEENKUlvE0_clEvENKUlvE0_clEvEUlfE_St5arrayIPcLm2EELi4E23TrivialOffsetCalculatorILi1EjESB_NS0_6memory15LoadWithoutCastENSC_16StoreWithoutCastEEEviT_T0_T2_T3_T4_T5_, .Lfunc_end45-_ZN2at6native27unrolled_elementwise_kernelIZZZNS0_16asin_kernel_cudaERNS_18TensorIteratorBaseEENKUlvE0_clEvENKUlvE0_clEvEUlfE_St5arrayIPcLm2EELi4E23TrivialOffsetCalculatorILi1EjESB_NS0_6memory15LoadWithoutCastENSC_16StoreWithoutCastEEEviT_T0_T2_T3_T4_T5_
                                        ; -- End function
	.set _ZN2at6native27unrolled_elementwise_kernelIZZZNS0_16asin_kernel_cudaERNS_18TensorIteratorBaseEENKUlvE0_clEvENKUlvE0_clEvEUlfE_St5arrayIPcLm2EELi4E23TrivialOffsetCalculatorILi1EjESB_NS0_6memory15LoadWithoutCastENSC_16StoreWithoutCastEEEviT_T0_T2_T3_T4_T5_.num_vgpr, 13
	.set _ZN2at6native27unrolled_elementwise_kernelIZZZNS0_16asin_kernel_cudaERNS_18TensorIteratorBaseEENKUlvE0_clEvENKUlvE0_clEvEUlfE_St5arrayIPcLm2EELi4E23TrivialOffsetCalculatorILi1EjESB_NS0_6memory15LoadWithoutCastENSC_16StoreWithoutCastEEEviT_T0_T2_T3_T4_T5_.num_agpr, 0
	.set _ZN2at6native27unrolled_elementwise_kernelIZZZNS0_16asin_kernel_cudaERNS_18TensorIteratorBaseEENKUlvE0_clEvENKUlvE0_clEvEUlfE_St5arrayIPcLm2EELi4E23TrivialOffsetCalculatorILi1EjESB_NS0_6memory15LoadWithoutCastENSC_16StoreWithoutCastEEEviT_T0_T2_T3_T4_T5_.numbered_sgpr, 12
	.set _ZN2at6native27unrolled_elementwise_kernelIZZZNS0_16asin_kernel_cudaERNS_18TensorIteratorBaseEENKUlvE0_clEvENKUlvE0_clEvEUlfE_St5arrayIPcLm2EELi4E23TrivialOffsetCalculatorILi1EjESB_NS0_6memory15LoadWithoutCastENSC_16StoreWithoutCastEEEviT_T0_T2_T3_T4_T5_.num_named_barrier, 0
	.set _ZN2at6native27unrolled_elementwise_kernelIZZZNS0_16asin_kernel_cudaERNS_18TensorIteratorBaseEENKUlvE0_clEvENKUlvE0_clEvEUlfE_St5arrayIPcLm2EELi4E23TrivialOffsetCalculatorILi1EjESB_NS0_6memory15LoadWithoutCastENSC_16StoreWithoutCastEEEviT_T0_T2_T3_T4_T5_.private_seg_size, 0
	.set _ZN2at6native27unrolled_elementwise_kernelIZZZNS0_16asin_kernel_cudaERNS_18TensorIteratorBaseEENKUlvE0_clEvENKUlvE0_clEvEUlfE_St5arrayIPcLm2EELi4E23TrivialOffsetCalculatorILi1EjESB_NS0_6memory15LoadWithoutCastENSC_16StoreWithoutCastEEEviT_T0_T2_T3_T4_T5_.uses_vcc, 1
	.set _ZN2at6native27unrolled_elementwise_kernelIZZZNS0_16asin_kernel_cudaERNS_18TensorIteratorBaseEENKUlvE0_clEvENKUlvE0_clEvEUlfE_St5arrayIPcLm2EELi4E23TrivialOffsetCalculatorILi1EjESB_NS0_6memory15LoadWithoutCastENSC_16StoreWithoutCastEEEviT_T0_T2_T3_T4_T5_.uses_flat_scratch, 0
	.set _ZN2at6native27unrolled_elementwise_kernelIZZZNS0_16asin_kernel_cudaERNS_18TensorIteratorBaseEENKUlvE0_clEvENKUlvE0_clEvEUlfE_St5arrayIPcLm2EELi4E23TrivialOffsetCalculatorILi1EjESB_NS0_6memory15LoadWithoutCastENSC_16StoreWithoutCastEEEviT_T0_T2_T3_T4_T5_.has_dyn_sized_stack, 0
	.set _ZN2at6native27unrolled_elementwise_kernelIZZZNS0_16asin_kernel_cudaERNS_18TensorIteratorBaseEENKUlvE0_clEvENKUlvE0_clEvEUlfE_St5arrayIPcLm2EELi4E23TrivialOffsetCalculatorILi1EjESB_NS0_6memory15LoadWithoutCastENSC_16StoreWithoutCastEEEviT_T0_T2_T3_T4_T5_.has_recursion, 0
	.set _ZN2at6native27unrolled_elementwise_kernelIZZZNS0_16asin_kernel_cudaERNS_18TensorIteratorBaseEENKUlvE0_clEvENKUlvE0_clEvEUlfE_St5arrayIPcLm2EELi4E23TrivialOffsetCalculatorILi1EjESB_NS0_6memory15LoadWithoutCastENSC_16StoreWithoutCastEEEviT_T0_T2_T3_T4_T5_.has_indirect_call, 0
	.section	.AMDGPU.csdata,"",@progbits
; Kernel info:
; codeLenInByte = 1380
; TotalNumSgprs: 16
; NumVgprs: 13
; ScratchSize: 0
; MemoryBound: 0
; FloatMode: 240
; IeeeMode: 1
; LDSByteSize: 0 bytes/workgroup (compile time only)
; SGPRBlocks: 1
; VGPRBlocks: 3
; NumSGPRsForWavesPerEU: 16
; NumVGPRsForWavesPerEU: 13
; Occupancy: 10
; WaveLimiterHint : 0
; COMPUTE_PGM_RSRC2:SCRATCH_EN: 0
; COMPUTE_PGM_RSRC2:USER_SGPR: 6
; COMPUTE_PGM_RSRC2:TRAP_HANDLER: 0
; COMPUTE_PGM_RSRC2:TGID_X_EN: 1
; COMPUTE_PGM_RSRC2:TGID_Y_EN: 0
; COMPUTE_PGM_RSRC2:TGID_Z_EN: 0
; COMPUTE_PGM_RSRC2:TIDIG_COMP_CNT: 0
	.section	.text._ZN2at6native32elementwise_kernel_manual_unrollILi128ELi4EZNS0_22gpu_kernel_impl_nocastIZZZNS0_16asin_kernel_cudaERNS_18TensorIteratorBaseEENKUlvE0_clEvENKUlvE0_clEvEUlfE_EEvS4_RKT_EUlibE_EEviT1_,"axG",@progbits,_ZN2at6native32elementwise_kernel_manual_unrollILi128ELi4EZNS0_22gpu_kernel_impl_nocastIZZZNS0_16asin_kernel_cudaERNS_18TensorIteratorBaseEENKUlvE0_clEvENKUlvE0_clEvEUlfE_EEvS4_RKT_EUlibE_EEviT1_,comdat
	.globl	_ZN2at6native32elementwise_kernel_manual_unrollILi128ELi4EZNS0_22gpu_kernel_impl_nocastIZZZNS0_16asin_kernel_cudaERNS_18TensorIteratorBaseEENKUlvE0_clEvENKUlvE0_clEvEUlfE_EEvS4_RKT_EUlibE_EEviT1_ ; -- Begin function _ZN2at6native32elementwise_kernel_manual_unrollILi128ELi4EZNS0_22gpu_kernel_impl_nocastIZZZNS0_16asin_kernel_cudaERNS_18TensorIteratorBaseEENKUlvE0_clEvENKUlvE0_clEvEUlfE_EEvS4_RKT_EUlibE_EEviT1_
	.p2align	8
	.type	_ZN2at6native32elementwise_kernel_manual_unrollILi128ELi4EZNS0_22gpu_kernel_impl_nocastIZZZNS0_16asin_kernel_cudaERNS_18TensorIteratorBaseEENKUlvE0_clEvENKUlvE0_clEvEUlfE_EEvS4_RKT_EUlibE_EEviT1_,@function
_ZN2at6native32elementwise_kernel_manual_unrollILi128ELi4EZNS0_22gpu_kernel_impl_nocastIZZZNS0_16asin_kernel_cudaERNS_18TensorIteratorBaseEENKUlvE0_clEvENKUlvE0_clEvEUlfE_EEvS4_RKT_EUlibE_EEviT1_: ; @_ZN2at6native32elementwise_kernel_manual_unrollILi128ELi4EZNS0_22gpu_kernel_impl_nocastIZZZNS0_16asin_kernel_cudaERNS_18TensorIteratorBaseEENKUlvE0_clEvENKUlvE0_clEvEUlfE_EEvS4_RKT_EUlibE_EEviT1_
; %bb.0:
	s_load_dword s55, s[4:5], 0x0
	s_load_dword s33, s[4:5], 0x8
	s_add_u32 s34, s4, 8
	s_addc_u32 s35, s5, 0
	v_lshl_or_b32 v7, s6, 9, v0
	v_or_b32_e32 v13, 0x180, v7
	s_waitcnt lgkmcnt(0)
	s_add_i32 s54, s33, -1
	s_cmp_gt_u32 s54, 1
	v_cmp_le_i32_e32 vcc, s55, v13
	s_cselect_b64 s[36:37], -1, 0
	s_and_saveexec_b64 s[0:1], vcc
	s_xor_b64 s[38:39], exec, s[0:1]
	s_cbranch_execz .LBB46_7
; %bb.1:
	s_load_dwordx4 s[24:27], s[34:35], 0x4
	s_load_dwordx2 s[40:41], s[34:35], 0x14
	s_load_dwordx4 s[20:23], s[34:35], 0xc4
	s_load_dwordx4 s[16:19], s[34:35], 0x148
	s_cmp_lg_u32 s33, 0
	s_cselect_b64 s[46:47], -1, 0
	s_add_u32 s44, s34, 0xc4
	s_addc_u32 s45, s35, 0
	s_min_u32 s56, s54, 15
	s_cmp_gt_u32 s33, 1
	s_cselect_b64 s[42:43], -1, 0
	v_cmp_gt_i32_e32 vcc, s55, v7
	s_and_saveexec_b64 s[48:49], vcc
	s_cbranch_execz .LBB46_14
; %bb.2:
	s_andn2_b64 vcc, exec, s[36:37]
	s_cbranch_vccnz .LBB46_21
; %bb.3:
	s_andn2_b64 vcc, exec, s[46:47]
	s_cbranch_vccnz .LBB46_73
; %bb.4:
	s_add_i32 s58, s56, 1
	s_cmp_eq_u32 s54, 2
	s_cbranch_scc1 .LBB46_75
; %bb.5:
	s_and_b32 s57, s58, 28
	v_mov_b32_e32 v2, 0
	s_mov_b32 s59, 0
	s_mov_b64 s[50:51], s[34:35]
	s_mov_b64 s[52:53], s[44:45]
	v_mov_b32_e32 v0, 0
	v_mov_b32_e32 v1, v7
.LBB46_6:                               ; =>This Inner Loop Header: Depth=1
	s_load_dwordx8 s[8:15], s[50:51], 0x4
	s_load_dwordx4 s[28:31], s[50:51], 0x24
	s_load_dwordx8 s[0:7], s[52:53], 0x0
	s_add_u32 s50, s50, 48
	s_addc_u32 s51, s51, 0
	s_waitcnt lgkmcnt(0)
	v_mul_hi_u32 v3, s9, v1
	s_add_i32 s59, s59, 4
	s_add_u32 s52, s52, 32
	s_addc_u32 s53, s53, 0
	v_add_u32_e32 v3, v1, v3
	v_lshrrev_b32_e32 v3, s10, v3
	v_mul_lo_u32 v4, v3, s8
	v_mul_hi_u32 v5, s12, v3
	s_cmp_lg_u32 s57, s59
	v_sub_u32_e32 v1, v1, v4
	v_add_u32_e32 v4, v3, v5
	v_mul_lo_u32 v5, v1, s0
	v_mul_lo_u32 v6, v1, s1
	v_lshrrev_b32_e32 v1, s13, v4
	v_mul_lo_u32 v4, v1, s11
	v_mul_hi_u32 v8, s15, v1
	v_sub_u32_e32 v3, v3, v4
	v_add_u32_e32 v4, v1, v8
	v_lshrrev_b32_e32 v4, s28, v4
	v_mul_hi_u32 v9, s30, v4
	v_mul_lo_u32 v10, v4, s14
	v_mul_lo_u32 v8, v3, s2
	;; [unrolled: 1-line block ×3, first 2 shown]
	v_sub_u32_e32 v10, v1, v10
	v_add_u32_e32 v1, v4, v9
	v_lshrrev_b32_e32 v1, s31, v1
	v_mul_lo_u32 v9, v1, s29
	v_mul_lo_u32 v11, v10, s4
	;; [unrolled: 1-line block ×3, first 2 shown]
	v_add3_u32 v0, v5, v0, v8
	v_sub_u32_e32 v4, v4, v9
	v_mul_lo_u32 v9, v4, s6
	v_mul_lo_u32 v4, v4, s7
	v_add3_u32 v2, v6, v2, v3
	v_add3_u32 v0, v11, v0, v9
	;; [unrolled: 1-line block ×3, first 2 shown]
	s_cbranch_scc1 .LBB46_6
	s_branch .LBB46_76
.LBB46_7:
	s_andn2_saveexec_b64 s[0:1], s[38:39]
	s_cbranch_execz .LBB46_101
.LBB46_8:
	v_cndmask_b32_e64 v0, 0, 1, s[36:37]
	v_cmp_ne_u32_e64 s[0:1], 1, v0
	s_andn2_b64 vcc, exec, s[36:37]
	s_cbranch_vccnz .LBB46_20
; %bb.9:
	s_cmp_lg_u32 s33, 0
	s_waitcnt lgkmcnt(0)
	s_mov_b32 s26, 0
	s_cbranch_scc0 .LBB46_23
; %bb.10:
	s_min_u32 s27, s54, 15
	s_add_i32 s27, s27, 1
	s_cmp_eq_u32 s54, 2
	s_cbranch_scc1 .LBB46_24
; %bb.11:
	s_and_b32 s26, s27, 28
	s_add_u32 s2, s34, 0xc4
	s_addc_u32 s3, s35, 0
	v_mov_b32_e32 v2, 0
	s_mov_b32 s28, 0
	s_mov_b64 s[24:25], s[34:35]
	v_mov_b32_e32 v0, 0
	v_mov_b32_e32 v1, v7
.LBB46_12:                              ; =>This Inner Loop Header: Depth=1
	s_load_dwordx8 s[12:19], s[24:25], 0x4
	s_load_dwordx4 s[20:23], s[24:25], 0x24
	s_load_dwordx8 s[4:11], s[2:3], 0x0
	s_add_u32 s24, s24, 48
	s_addc_u32 s25, s25, 0
	s_waitcnt lgkmcnt(0)
	v_mul_hi_u32 v3, s13, v1
	s_add_i32 s28, s28, 4
	s_add_u32 s2, s2, 32
	s_addc_u32 s3, s3, 0
	v_add_u32_e32 v3, v1, v3
	v_lshrrev_b32_e32 v3, s14, v3
	v_mul_lo_u32 v4, v3, s12
	v_mul_hi_u32 v5, s16, v3
	s_cmp_lg_u32 s26, s28
	v_sub_u32_e32 v1, v1, v4
	v_add_u32_e32 v4, v3, v5
	v_mul_lo_u32 v5, v1, s4
	v_mul_lo_u32 v6, v1, s5
	v_lshrrev_b32_e32 v1, s17, v4
	v_mul_lo_u32 v4, v1, s15
	v_mul_hi_u32 v8, s19, v1
	v_sub_u32_e32 v3, v3, v4
	v_add_u32_e32 v4, v1, v8
	v_lshrrev_b32_e32 v4, s20, v4
	v_mul_hi_u32 v9, s22, v4
	v_mul_lo_u32 v10, v4, s18
	v_mul_lo_u32 v8, v3, s6
	;; [unrolled: 1-line block ×3, first 2 shown]
	v_sub_u32_e32 v10, v1, v10
	v_add_u32_e32 v1, v4, v9
	v_lshrrev_b32_e32 v1, s23, v1
	v_mul_lo_u32 v9, v1, s21
	v_mul_lo_u32 v11, v10, s8
	;; [unrolled: 1-line block ×3, first 2 shown]
	v_add3_u32 v0, v5, v0, v8
	v_sub_u32_e32 v4, v4, v9
	v_mul_lo_u32 v9, v4, s10
	v_mul_lo_u32 v4, v4, s11
	v_add3_u32 v2, v6, v2, v3
	v_add3_u32 v0, v11, v0, v9
	;; [unrolled: 1-line block ×3, first 2 shown]
	s_cbranch_scc1 .LBB46_12
; %bb.13:
	s_and_b32 s6, s27, 3
	s_cmp_eq_u32 s6, 0
	s_cbranch_scc0 .LBB46_25
	s_branch .LBB46_27
.LBB46_14:
	s_or_b64 exec, exec, s[48:49]
	v_cmp_gt_i32_e32 vcc, s55, v7
	s_and_saveexec_b64 s[48:49], vcc
	s_cbranch_execz .LBB46_83
.LBB46_15:
	s_andn2_b64 vcc, exec, s[36:37]
	s_cbranch_vccnz .LBB46_22
; %bb.16:
	s_andn2_b64 vcc, exec, s[46:47]
	s_cbranch_vccnz .LBB46_74
; %bb.17:
	s_add_i32 s58, s56, 1
	s_cmp_eq_u32 s54, 2
	s_cbranch_scc1 .LBB46_91
; %bb.18:
	s_and_b32 s57, s58, 28
	v_mov_b32_e32 v2, 0
	s_mov_b32 s59, 0
	s_mov_b64 s[50:51], s[34:35]
	s_mov_b64 s[52:53], s[44:45]
	v_mov_b32_e32 v0, 0
	v_mov_b32_e32 v1, v7
.LBB46_19:                              ; =>This Inner Loop Header: Depth=1
	s_load_dwordx8 s[8:15], s[50:51], 0x4
	s_load_dwordx4 s[28:31], s[50:51], 0x24
	s_load_dwordx8 s[0:7], s[52:53], 0x0
	s_add_u32 s50, s50, 48
	s_addc_u32 s51, s51, 0
	s_waitcnt lgkmcnt(0)
	v_mul_hi_u32 v3, s9, v1
	s_add_i32 s59, s59, 4
	s_add_u32 s52, s52, 32
	s_addc_u32 s53, s53, 0
	v_add_u32_e32 v3, v1, v3
	v_lshrrev_b32_e32 v3, s10, v3
	v_mul_lo_u32 v4, v3, s8
	v_mul_hi_u32 v5, s12, v3
	s_cmp_eq_u32 s57, s59
	v_sub_u32_e32 v1, v1, v4
	v_add_u32_e32 v4, v3, v5
	v_mul_lo_u32 v5, v1, s0
	v_mul_lo_u32 v6, v1, s1
	v_lshrrev_b32_e32 v1, s13, v4
	v_mul_lo_u32 v4, v1, s11
	v_mul_hi_u32 v8, s15, v1
	v_sub_u32_e32 v3, v3, v4
	v_add_u32_e32 v4, v1, v8
	v_lshrrev_b32_e32 v4, s28, v4
	v_mul_hi_u32 v9, s30, v4
	v_mul_lo_u32 v10, v4, s14
	v_mul_lo_u32 v8, v3, s2
	;; [unrolled: 1-line block ×3, first 2 shown]
	v_sub_u32_e32 v10, v1, v10
	v_add_u32_e32 v1, v4, v9
	v_lshrrev_b32_e32 v1, s31, v1
	v_mul_lo_u32 v9, v1, s29
	v_mul_lo_u32 v11, v10, s4
	;; [unrolled: 1-line block ×3, first 2 shown]
	v_add3_u32 v0, v5, v0, v8
	v_sub_u32_e32 v4, v4, v9
	v_mul_lo_u32 v9, v4, s6
	v_mul_lo_u32 v4, v4, s7
	v_add3_u32 v2, v6, v2, v3
	v_add3_u32 v0, v11, v0, v9
	;; [unrolled: 1-line block ×3, first 2 shown]
	s_cbranch_scc0 .LBB46_19
	s_branch .LBB46_92
.LBB46_20:
                                        ; implicit-def: $vgpr0
                                        ; implicit-def: $vgpr2
	s_branch .LBB46_28
.LBB46_21:
                                        ; implicit-def: $vgpr0
                                        ; implicit-def: $vgpr2
	s_branch .LBB46_80
.LBB46_22:
                                        ; implicit-def: $vgpr0
                                        ; implicit-def: $vgpr2
	s_branch .LBB46_96
.LBB46_23:
	v_mov_b32_e32 v0, 0
	v_mov_b32_e32 v2, 0
	s_branch .LBB46_27
.LBB46_24:
	v_mov_b32_e32 v0, 0
	v_mov_b32_e32 v2, 0
	;; [unrolled: 1-line block ×3, first 2 shown]
	s_and_b32 s6, s27, 3
	s_cmp_eq_u32 s6, 0
	s_cbranch_scc1 .LBB46_27
.LBB46_25:
	s_lshl_b32 s2, s26, 3
	s_add_u32 s2, s34, s2
	s_addc_u32 s3, s35, 0
	s_add_u32 s2, s2, 0xc4
	s_addc_u32 s3, s3, 0
	s_mul_i32 s4, s26, 12
	s_add_u32 s4, s34, s4
	s_addc_u32 s5, s35, 0
.LBB46_26:                              ; =>This Inner Loop Header: Depth=1
	s_load_dwordx2 s[8:9], s[4:5], 0x4
	s_load_dword s7, s[4:5], 0xc
	s_load_dwordx2 s[10:11], s[2:3], 0x0
	s_add_u32 s4, s4, 12
	s_addc_u32 s5, s5, 0
	s_waitcnt lgkmcnt(0)
	v_mul_hi_u32 v4, s9, v1
	s_add_u32 s2, s2, 8
	s_addc_u32 s3, s3, 0
	s_add_i32 s6, s6, -1
	v_add_u32_e32 v4, v1, v4
	v_lshrrev_b32_e32 v4, s7, v4
	v_mul_lo_u32 v5, v4, s8
	s_cmp_lg_u32 s6, 0
	v_sub_u32_e32 v5, v1, v5
	v_mad_u64_u32 v[0:1], s[8:9], v5, s10, v[0:1]
	v_mad_u64_u32 v[2:3], s[8:9], v5, s11, v[2:3]
	v_mov_b32_e32 v1, v4
	s_cbranch_scc1 .LBB46_26
.LBB46_27:
	s_cbranch_execnz .LBB46_30
.LBB46_28:
	s_load_dwordx4 s[4:7], s[34:35], 0x4
	s_load_dwordx2 s[2:3], s[34:35], 0xc4
	s_cmp_lt_u32 s33, 2
	s_waitcnt lgkmcnt(0)
	v_mul_hi_u32 v0, s5, v7
	v_add_u32_e32 v0, v7, v0
	v_lshrrev_b32_e32 v1, s6, v0
	v_mul_lo_u32 v0, v1, s4
	v_sub_u32_e32 v2, v7, v0
	v_mul_lo_u32 v0, v2, s2
	v_mul_lo_u32 v2, v2, s3
	s_cbranch_scc1 .LBB46_30
; %bb.29:
	s_load_dwordx4 s[4:7], s[34:35], 0x10
	s_load_dwordx2 s[2:3], s[34:35], 0xcc
	s_waitcnt lgkmcnt(0)
	v_mul_hi_u32 v3, s5, v1
	v_add_u32_e32 v3, v1, v3
	v_lshrrev_b32_e32 v3, s6, v3
	v_mul_lo_u32 v3, v3, s4
	v_sub_u32_e32 v3, v1, v3
	v_mad_u64_u32 v[0:1], s[4:5], v3, s2, v[0:1]
	v_mad_u64_u32 v[2:3], s[2:3], v3, s3, v[2:3]
.LBB46_30:
	s_and_b64 vcc, exec, s[0:1]
	v_add_u32_e32 v1, 0x80, v7
	s_cbranch_vccnz .LBB46_36
; %bb.31:
	s_cmp_lg_u32 s33, 0
	s_waitcnt lgkmcnt(0)
	s_mov_b32 s26, 0
	s_cbranch_scc0 .LBB46_37
; %bb.32:
	s_min_u32 s27, s54, 15
	s_add_i32 s27, s27, 1
	s_cmp_eq_u32 s54, 2
	s_cbranch_scc1 .LBB46_38
; %bb.33:
	s_and_b32 s26, s27, 28
	s_add_u32 s2, s34, 0xc4
	s_addc_u32 s3, s35, 0
	v_mov_b32_e32 v5, 0
	s_mov_b32 s28, 0
	s_mov_b64 s[24:25], s[34:35]
	v_mov_b32_e32 v3, 0
	v_mov_b32_e32 v4, v1
.LBB46_34:                              ; =>This Inner Loop Header: Depth=1
	s_load_dwordx8 s[12:19], s[24:25], 0x4
	s_load_dwordx4 s[20:23], s[24:25], 0x24
	s_load_dwordx8 s[4:11], s[2:3], 0x0
	s_add_u32 s24, s24, 48
	s_addc_u32 s25, s25, 0
	s_waitcnt lgkmcnt(0)
	v_mul_hi_u32 v6, s13, v4
	s_add_i32 s28, s28, 4
	s_add_u32 s2, s2, 32
	s_addc_u32 s3, s3, 0
	v_add_u32_e32 v6, v4, v6
	v_lshrrev_b32_e32 v6, s14, v6
	v_mul_lo_u32 v8, v6, s12
	v_mul_hi_u32 v9, s16, v6
	s_cmp_lg_u32 s26, s28
	v_sub_u32_e32 v4, v4, v8
	v_add_u32_e32 v8, v6, v9
	v_mul_lo_u32 v9, v4, s4
	v_mul_lo_u32 v10, v4, s5
	v_lshrrev_b32_e32 v4, s17, v8
	v_mul_lo_u32 v8, v4, s15
	v_mul_hi_u32 v11, s19, v4
	v_sub_u32_e32 v6, v6, v8
	v_add_u32_e32 v8, v4, v11
	v_lshrrev_b32_e32 v8, s20, v8
	v_mul_hi_u32 v12, s22, v8
	v_mul_lo_u32 v14, v8, s18
	v_mul_lo_u32 v11, v6, s6
	;; [unrolled: 1-line block ×3, first 2 shown]
	v_sub_u32_e32 v14, v4, v14
	v_add_u32_e32 v4, v8, v12
	v_lshrrev_b32_e32 v4, s23, v4
	v_mul_lo_u32 v12, v4, s21
	v_mul_lo_u32 v15, v14, s8
	;; [unrolled: 1-line block ×3, first 2 shown]
	v_add3_u32 v3, v9, v3, v11
	v_sub_u32_e32 v8, v8, v12
	v_mul_lo_u32 v12, v8, s10
	v_mul_lo_u32 v8, v8, s11
	v_add3_u32 v5, v10, v5, v6
	v_add3_u32 v3, v15, v3, v12
	;; [unrolled: 1-line block ×3, first 2 shown]
	s_cbranch_scc1 .LBB46_34
; %bb.35:
	s_and_b32 s6, s27, 3
	s_cmp_eq_u32 s6, 0
	s_cbranch_scc0 .LBB46_39
	s_branch .LBB46_41
.LBB46_36:
                                        ; implicit-def: $vgpr3
                                        ; implicit-def: $vgpr5
	s_branch .LBB46_42
.LBB46_37:
	v_mov_b32_e32 v3, 0
	v_mov_b32_e32 v5, 0
	s_branch .LBB46_41
.LBB46_38:
	v_mov_b32_e32 v3, 0
	v_mov_b32_e32 v5, 0
	;; [unrolled: 1-line block ×3, first 2 shown]
	s_and_b32 s6, s27, 3
	s_cmp_eq_u32 s6, 0
	s_cbranch_scc1 .LBB46_41
.LBB46_39:
	s_lshl_b32 s2, s26, 3
	s_add_u32 s2, s34, s2
	s_addc_u32 s3, s35, 0
	s_add_u32 s2, s2, 0xc4
	s_addc_u32 s3, s3, 0
	s_mul_i32 s4, s26, 12
	s_add_u32 s4, s34, s4
	s_addc_u32 s5, s35, 0
.LBB46_40:                              ; =>This Inner Loop Header: Depth=1
	s_load_dwordx2 s[8:9], s[4:5], 0x4
	s_load_dword s7, s[4:5], 0xc
	s_load_dwordx2 s[10:11], s[2:3], 0x0
	s_add_u32 s4, s4, 12
	s_addc_u32 s5, s5, 0
	s_waitcnt lgkmcnt(0)
	v_mul_hi_u32 v8, s9, v4
	s_add_u32 s2, s2, 8
	s_addc_u32 s3, s3, 0
	s_add_i32 s6, s6, -1
	v_add_u32_e32 v8, v4, v8
	v_lshrrev_b32_e32 v8, s7, v8
	v_mul_lo_u32 v9, v8, s8
	s_cmp_lg_u32 s6, 0
	v_sub_u32_e32 v9, v4, v9
	v_mad_u64_u32 v[3:4], s[8:9], v9, s10, v[3:4]
	v_mad_u64_u32 v[5:6], s[8:9], v9, s11, v[5:6]
	v_mov_b32_e32 v4, v8
	s_cbranch_scc1 .LBB46_40
.LBB46_41:
	s_cbranch_execnz .LBB46_44
.LBB46_42:
	s_load_dwordx4 s[4:7], s[34:35], 0x4
	s_load_dwordx2 s[2:3], s[34:35], 0xc4
	s_cmp_lt_u32 s33, 2
	s_waitcnt lgkmcnt(0)
	v_mul_hi_u32 v3, s5, v1
	v_add_u32_e32 v3, v1, v3
	v_lshrrev_b32_e32 v4, s6, v3
	v_mul_lo_u32 v3, v4, s4
	v_sub_u32_e32 v1, v1, v3
	v_mul_lo_u32 v3, v1, s2
	v_mul_lo_u32 v5, v1, s3
	s_cbranch_scc1 .LBB46_44
; %bb.43:
	s_load_dwordx4 s[4:7], s[34:35], 0x10
	s_load_dwordx2 s[2:3], s[34:35], 0xcc
	s_waitcnt lgkmcnt(0)
	v_mul_hi_u32 v1, s5, v4
	v_add_u32_e32 v1, v4, v1
	v_lshrrev_b32_e32 v1, s6, v1
	v_mul_lo_u32 v1, v1, s4
	v_sub_u32_e32 v1, v4, v1
	v_mad_u64_u32 v[3:4], s[4:5], v1, s2, v[3:4]
	v_mad_u64_u32 v[5:6], s[2:3], v1, s3, v[5:6]
.LBB46_44:
	s_and_b64 vcc, exec, s[0:1]
	v_add_u32_e32 v1, 0x100, v7
	s_cbranch_vccnz .LBB46_50
; %bb.45:
	s_cmp_lg_u32 s33, 0
	s_waitcnt lgkmcnt(0)
	s_mov_b32 s26, 0
	s_cbranch_scc0 .LBB46_51
; %bb.46:
	s_min_u32 s27, s54, 15
	s_add_i32 s27, s27, 1
	s_cmp_eq_u32 s54, 2
	s_cbranch_scc1 .LBB46_52
; %bb.47:
	s_and_b32 s26, s27, 28
	s_add_u32 s2, s34, 0xc4
	s_addc_u32 s3, s35, 0
	v_mov_b32_e32 v8, 0
	s_mov_b32 s28, 0
	s_mov_b64 s[24:25], s[34:35]
	v_mov_b32_e32 v6, 0
	v_mov_b32_e32 v4, v1
.LBB46_48:                              ; =>This Inner Loop Header: Depth=1
	s_load_dwordx8 s[12:19], s[24:25], 0x4
	s_load_dwordx4 s[20:23], s[24:25], 0x24
	s_load_dwordx8 s[4:11], s[2:3], 0x0
	s_add_u32 s24, s24, 48
	s_addc_u32 s25, s25, 0
	s_waitcnt lgkmcnt(0)
	v_mul_hi_u32 v7, s13, v4
	s_add_i32 s28, s28, 4
	s_add_u32 s2, s2, 32
	s_addc_u32 s3, s3, 0
	v_add_u32_e32 v7, v4, v7
	v_lshrrev_b32_e32 v7, s14, v7
	v_mul_lo_u32 v9, v7, s12
	v_mul_hi_u32 v10, s16, v7
	s_cmp_lg_u32 s26, s28
	v_sub_u32_e32 v4, v4, v9
	v_add_u32_e32 v9, v7, v10
	v_mul_lo_u32 v10, v4, s4
	v_mul_lo_u32 v11, v4, s5
	v_lshrrev_b32_e32 v4, s17, v9
	v_mul_lo_u32 v9, v4, s15
	v_mul_hi_u32 v12, s19, v4
	v_sub_u32_e32 v7, v7, v9
	v_add_u32_e32 v9, v4, v12
	v_lshrrev_b32_e32 v9, s20, v9
	v_mul_hi_u32 v14, s22, v9
	v_mul_lo_u32 v15, v9, s18
	v_mul_lo_u32 v12, v7, s6
	;; [unrolled: 1-line block ×3, first 2 shown]
	v_sub_u32_e32 v15, v4, v15
	v_add_u32_e32 v4, v9, v14
	v_lshrrev_b32_e32 v4, s23, v4
	v_mul_lo_u32 v14, v4, s21
	v_mul_lo_u32 v16, v15, s8
	;; [unrolled: 1-line block ×3, first 2 shown]
	v_add3_u32 v6, v10, v6, v12
	v_sub_u32_e32 v9, v9, v14
	v_mul_lo_u32 v14, v9, s10
	v_mul_lo_u32 v9, v9, s11
	v_add3_u32 v7, v11, v8, v7
	v_add3_u32 v6, v16, v6, v14
	;; [unrolled: 1-line block ×3, first 2 shown]
	s_cbranch_scc1 .LBB46_48
; %bb.49:
	s_and_b32 s6, s27, 3
	s_cmp_eq_u32 s6, 0
	s_cbranch_scc0 .LBB46_53
	s_branch .LBB46_55
.LBB46_50:
                                        ; implicit-def: $vgpr6
                                        ; implicit-def: $vgpr8
	s_branch .LBB46_56
.LBB46_51:
	v_mov_b32_e32 v6, 0
	v_mov_b32_e32 v8, 0
	s_branch .LBB46_55
.LBB46_52:
	v_mov_b32_e32 v6, 0
	v_mov_b32_e32 v8, 0
	;; [unrolled: 1-line block ×3, first 2 shown]
	s_and_b32 s6, s27, 3
	s_cmp_eq_u32 s6, 0
	s_cbranch_scc1 .LBB46_55
.LBB46_53:
	s_lshl_b32 s2, s26, 3
	s_add_u32 s2, s34, s2
	s_addc_u32 s3, s35, 0
	s_add_u32 s2, s2, 0xc4
	s_addc_u32 s3, s3, 0
	s_mul_i32 s4, s26, 12
	s_add_u32 s4, s34, s4
	s_addc_u32 s5, s35, 0
.LBB46_54:                              ; =>This Inner Loop Header: Depth=1
	s_load_dwordx2 s[8:9], s[4:5], 0x4
	s_load_dword s7, s[4:5], 0xc
	s_load_dwordx2 s[10:11], s[2:3], 0x0
	s_add_u32 s4, s4, 12
	s_addc_u32 s5, s5, 0
	s_waitcnt lgkmcnt(0)
	v_mul_hi_u32 v7, s9, v4
	s_add_u32 s2, s2, 8
	s_addc_u32 s3, s3, 0
	s_add_i32 s6, s6, -1
	v_add_u32_e32 v7, v4, v7
	v_lshrrev_b32_e32 v10, s7, v7
	v_mul_lo_u32 v7, v10, s8
	s_cmp_lg_u32 s6, 0
	v_sub_u32_e32 v4, v4, v7
	v_mad_u64_u32 v[6:7], s[8:9], v4, s10, v[6:7]
	v_mad_u64_u32 v[8:9], s[8:9], v4, s11, v[8:9]
	v_mov_b32_e32 v4, v10
	s_cbranch_scc1 .LBB46_54
.LBB46_55:
	s_cbranch_execnz .LBB46_58
.LBB46_56:
	s_load_dwordx4 s[4:7], s[34:35], 0x4
	s_load_dwordx2 s[2:3], s[34:35], 0xc4
	s_cmp_lt_u32 s33, 2
	s_waitcnt lgkmcnt(0)
	v_mul_hi_u32 v4, s5, v1
	v_add_u32_e32 v4, v1, v4
	v_lshrrev_b32_e32 v4, s6, v4
	v_mul_lo_u32 v6, v4, s4
	v_sub_u32_e32 v1, v1, v6
	v_mul_lo_u32 v6, v1, s2
	v_mul_lo_u32 v8, v1, s3
	s_cbranch_scc1 .LBB46_58
; %bb.57:
	s_load_dwordx4 s[4:7], s[34:35], 0x10
	s_load_dwordx2 s[2:3], s[34:35], 0xcc
	s_waitcnt lgkmcnt(0)
	v_mul_hi_u32 v1, s5, v4
	v_add_u32_e32 v1, v4, v1
	v_lshrrev_b32_e32 v1, s6, v1
	v_mul_lo_u32 v1, v1, s4
	v_sub_u32_e32 v1, v4, v1
	v_mad_u64_u32 v[6:7], s[4:5], v1, s2, v[6:7]
	v_mad_u64_u32 v[8:9], s[2:3], v1, s3, v[8:9]
.LBB46_58:
	s_and_b64 vcc, exec, s[0:1]
	s_cbranch_vccnz .LBB46_64
; %bb.59:
	s_cmp_lg_u32 s33, 0
	s_waitcnt lgkmcnt(0)
	s_mov_b32 s24, 0
	s_cbranch_scc0 .LBB46_65
; %bb.60:
	s_min_u32 s25, s54, 15
	s_add_i32 s25, s25, 1
	s_cmp_eq_u32 s54, 2
	s_cbranch_scc1 .LBB46_66
; %bb.61:
	s_and_b32 s24, s25, 28
	s_add_u32 s20, s34, 0xc4
	s_addc_u32 s21, s35, 0
	v_mov_b32_e32 v11, 0
	s_mov_b32 s26, 0
	s_mov_b64 s[22:23], s[34:35]
	v_mov_b32_e32 v9, 0
	v_mov_b32_e32 v1, v13
.LBB46_62:                              ; =>This Inner Loop Header: Depth=1
	s_load_dwordx8 s[8:15], s[22:23], 0x4
	s_load_dwordx4 s[16:19], s[22:23], 0x24
	s_load_dwordx8 s[0:7], s[20:21], 0x0
	s_add_u32 s22, s22, 48
	s_addc_u32 s23, s23, 0
	s_waitcnt lgkmcnt(0)
	v_mul_hi_u32 v4, s9, v1
	s_add_i32 s26, s26, 4
	s_add_u32 s20, s20, 32
	s_addc_u32 s21, s21, 0
	v_add_u32_e32 v4, v1, v4
	v_lshrrev_b32_e32 v4, s10, v4
	v_mul_lo_u32 v7, v4, s8
	v_mul_hi_u32 v10, s12, v4
	s_cmp_lg_u32 s24, s26
	v_sub_u32_e32 v1, v1, v7
	v_add_u32_e32 v7, v4, v10
	v_mul_lo_u32 v10, v1, s0
	v_mul_lo_u32 v12, v1, s1
	v_lshrrev_b32_e32 v1, s13, v7
	v_mul_lo_u32 v7, v1, s11
	v_mul_hi_u32 v14, s15, v1
	v_sub_u32_e32 v4, v4, v7
	v_add_u32_e32 v7, v1, v14
	v_lshrrev_b32_e32 v7, s16, v7
	v_mul_hi_u32 v15, s18, v7
	v_mul_lo_u32 v16, v7, s14
	v_mul_lo_u32 v14, v4, s2
	;; [unrolled: 1-line block ×3, first 2 shown]
	v_sub_u32_e32 v16, v1, v16
	v_add_u32_e32 v1, v7, v15
	v_lshrrev_b32_e32 v1, s19, v1
	v_mul_lo_u32 v15, v1, s17
	v_mul_lo_u32 v17, v16, s4
	v_mul_lo_u32 v16, v16, s5
	v_add3_u32 v9, v10, v9, v14
	v_sub_u32_e32 v7, v7, v15
	v_mul_lo_u32 v15, v7, s6
	v_mul_lo_u32 v7, v7, s7
	v_add3_u32 v4, v12, v11, v4
	v_add3_u32 v9, v17, v9, v15
	;; [unrolled: 1-line block ×3, first 2 shown]
	s_cbranch_scc1 .LBB46_62
; %bb.63:
	s_and_b32 s4, s25, 3
	s_cmp_eq_u32 s4, 0
	s_cbranch_scc0 .LBB46_67
	s_branch .LBB46_69
.LBB46_64:
                                        ; implicit-def: $vgpr9
                                        ; implicit-def: $vgpr11
	s_branch .LBB46_70
.LBB46_65:
	v_mov_b32_e32 v9, 0
	v_mov_b32_e32 v11, 0
	s_branch .LBB46_69
.LBB46_66:
	v_mov_b32_e32 v9, 0
	v_mov_b32_e32 v11, 0
	;; [unrolled: 1-line block ×3, first 2 shown]
	s_and_b32 s4, s25, 3
	s_cmp_eq_u32 s4, 0
	s_cbranch_scc1 .LBB46_69
.LBB46_67:
	s_lshl_b32 s0, s24, 3
	s_add_u32 s0, s34, s0
	s_addc_u32 s1, s35, 0
	s_add_u32 s0, s0, 0xc4
	s_addc_u32 s1, s1, 0
	s_mul_i32 s2, s24, 12
	s_add_u32 s2, s34, s2
	s_addc_u32 s3, s35, 0
.LBB46_68:                              ; =>This Inner Loop Header: Depth=1
	s_load_dwordx2 s[6:7], s[2:3], 0x4
	s_load_dword s5, s[2:3], 0xc
	s_load_dwordx2 s[8:9], s[0:1], 0x0
	s_add_u32 s2, s2, 12
	s_addc_u32 s3, s3, 0
	s_waitcnt lgkmcnt(0)
	v_mul_hi_u32 v4, s7, v1
	s_add_u32 s0, s0, 8
	s_addc_u32 s1, s1, 0
	s_add_i32 s4, s4, -1
	v_add_u32_e32 v4, v1, v4
	v_lshrrev_b32_e32 v4, s5, v4
	v_mul_lo_u32 v7, v4, s6
	s_cmp_lg_u32 s4, 0
	v_sub_u32_e32 v1, v1, v7
	v_mad_u64_u32 v[9:10], s[6:7], v1, s8, v[9:10]
	v_mad_u64_u32 v[11:12], s[6:7], v1, s9, v[11:12]
	v_mov_b32_e32 v1, v4
	s_cbranch_scc1 .LBB46_68
.LBB46_69:
	s_cbranch_execnz .LBB46_72
.LBB46_70:
	s_load_dwordx4 s[0:3], s[34:35], 0x4
	s_load_dwordx2 s[4:5], s[34:35], 0xc4
	s_cmp_lt_u32 s33, 2
	s_waitcnt lgkmcnt(0)
	v_mul_hi_u32 v1, s1, v13
	v_add_u32_e32 v1, v13, v1
	v_lshrrev_b32_e32 v1, s2, v1
	v_mul_lo_u32 v4, v1, s0
	v_sub_u32_e32 v4, v13, v4
	v_mul_lo_u32 v9, v4, s4
	v_mul_lo_u32 v11, v4, s5
	s_cbranch_scc1 .LBB46_72
; %bb.71:
	s_load_dwordx4 s[0:3], s[34:35], 0x10
	s_load_dwordx2 s[4:5], s[34:35], 0xcc
	s_waitcnt lgkmcnt(0)
	v_mul_hi_u32 v4, s1, v1
	v_add_u32_e32 v4, v1, v4
	v_lshrrev_b32_e32 v4, s2, v4
	v_mul_lo_u32 v4, v4, s0
	v_sub_u32_e32 v1, v1, v4
	v_mad_u64_u32 v[9:10], s[0:1], v1, s4, v[9:10]
	v_mad_u64_u32 v[11:12], s[0:1], v1, s5, v[11:12]
.LBB46_72:
	s_load_dwordx4 s[0:3], s[34:35], 0x148
	v_mov_b32_e32 v16, 0x3d034c3c
	s_waitcnt lgkmcnt(0)
	global_load_dword v1, v2, s[2:3]
	global_load_dword v4, v5, s[2:3]
	;; [unrolled: 1-line block ×4, first 2 shown]
	v_mov_b32_e32 v2, 0x3c5fc5da
	v_mov_b32_e32 v5, 0x3c5fc5da
	;; [unrolled: 1-line block ×3, first 2 shown]
	s_brev_b32 s2, -2
	s_waitcnt vmcnt(3)
	v_fma_f32 v11, |v1|, -0.5, 0.5
	v_mul_f32_e32 v12, v1, v1
	v_cmp_ge_f32_e64 vcc, |v1|, 0.5
	s_waitcnt vmcnt(2)
	v_fma_f32 v13, |v4|, -0.5, 0.5
	v_mul_f32_e32 v14, v4, v4
	v_cndmask_b32_e32 v11, v12, v11, vcc
	v_cmp_ge_f32_e64 vcc, |v4|, 0.5
	s_waitcnt vmcnt(1)
	v_fma_f32 v15, |v7|, -0.5, 0.5
	v_mul_f32_e32 v12, v7, v7
	v_cndmask_b32_e32 v13, v14, v13, vcc
	v_cmp_ge_f32_e64 vcc, |v7|, 0.5
	s_waitcnt vmcnt(0)
	v_fma_f32 v14, |v10|, -0.5, 0.5
	v_cndmask_b32_e32 v12, v12, v15, vcc
	v_mul_f32_e32 v15, v10, v10
	v_cmp_ge_f32_e64 vcc, |v10|, 0.5
	v_cndmask_b32_e32 v14, v15, v14, vcc
	v_mov_b32_e32 v15, 0x3c5fc5da
	v_fmac_f32_e32 v5, 0x3d1c21a7, v11
	v_fmac_f32_e32 v8, 0x3d1c21a7, v13
	;; [unrolled: 1-line block ×4, first 2 shown]
	v_fma_f32 v5, v11, v5, v16
	v_fma_f32 v8, v13, v8, v16
	v_fma_f32 v15, v12, v15, v16
	v_fmac_f32_e32 v16, v14, v2
	v_mov_b32_e32 v2, 0x3d3641b1
	v_fma_f32 v5, v11, v5, v2
	v_fma_f32 v8, v13, v8, v2
	v_fma_f32 v15, v12, v15, v2
	v_fmac_f32_e32 v2, v14, v16
	v_mov_b32_e32 v16, 0x3d999bc8
	;; [unrolled: 5-line block ×3, first 2 shown]
	v_fma_f32 v5, v11, v5, v2
	v_fma_f32 v8, v13, v8, v2
	v_mul_f32_e32 v5, v11, v5
	v_sqrt_f32_e32 v11, v11
	v_fma_f32 v15, v12, v15, v2
	v_mul_f32_e32 v8, v13, v8
	v_sqrt_f32_e32 v13, v13
	v_fmac_f32_e32 v2, v14, v16
	v_mul_f32_e32 v15, v12, v15
	v_sqrt_f32_e32 v12, v12
	v_mul_f32_e32 v2, v14, v2
	v_sqrt_f32_e32 v14, v14
	v_fmac_f32_e32 v11, v11, v5
	v_fmac_f32_e32 v13, v13, v8
	v_add_f32_e32 v11, v11, v11
	v_fma_f32 v5, |v1|, v5, |v1|
	v_fmac_f32_e32 v12, v12, v15
	v_add_f32_e32 v13, v13, v13
	v_sub_f32_e32 v11, 0x3fc90fdb, v11
	v_cmp_lt_f32_e64 vcc, |v1|, 0.5
	v_fma_f32 v8, |v4|, v8, |v4|
	v_fmac_f32_e32 v14, v14, v2
	v_add_f32_e32 v12, v12, v12
	v_sub_f32_e32 v13, 0x3fc90fdb, v13
	v_cndmask_b32_e32 v5, v11, v5, vcc
	v_cmp_lt_f32_e64 vcc, |v4|, 0.5
	v_fma_f32 v15, |v7|, v15, |v7|
	v_add_f32_e32 v14, v14, v14
	v_sub_f32_e32 v12, 0x3fc90fdb, v12
	v_cndmask_b32_e32 v8, v13, v8, vcc
	v_cmp_lt_f32_e64 vcc, |v7|, 0.5
	v_fma_f32 v2, |v10|, v2, |v10|
	v_sub_f32_e32 v14, 0x3fc90fdb, v14
	v_cndmask_b32_e32 v11, v12, v15, vcc
	v_cmp_lt_f32_e64 vcc, |v10|, 0.5
	v_cndmask_b32_e32 v2, v14, v2, vcc
	v_bfi_b32 v1, s2, v5, v1
	v_bfi_b32 v4, s2, v8, v4
	;; [unrolled: 1-line block ×4, first 2 shown]
	global_store_dword v0, v1, s[0:1]
	global_store_dword v3, v4, s[0:1]
	global_store_dword v6, v5, s[0:1]
	global_store_dword v9, v2, s[0:1]
	s_endpgm
.LBB46_73:
	v_mov_b32_e32 v0, 0
	v_mov_b32_e32 v2, 0
	s_branch .LBB46_79
.LBB46_74:
	v_mov_b32_e32 v0, 0
	v_mov_b32_e32 v2, 0
	s_branch .LBB46_95
.LBB46_75:
	s_mov_b32 s57, 0
	v_mov_b32_e32 v0, 0
	v_mov_b32_e32 v2, 0
	;; [unrolled: 1-line block ×3, first 2 shown]
.LBB46_76:
	s_and_b32 s4, s58, 3
	s_cmp_eq_u32 s4, 0
	s_cbranch_scc1 .LBB46_79
; %bb.77:
	s_lshl_b32 s0, s57, 3
	s_add_u32 s0, s34, s0
	s_addc_u32 s1, s35, 0
	s_add_u32 s0, s0, 0xc4
	s_addc_u32 s1, s1, 0
	s_mul_i32 s2, s57, 12
	s_add_u32 s2, s34, s2
	s_addc_u32 s3, s35, 0
.LBB46_78:                              ; =>This Inner Loop Header: Depth=1
	s_load_dwordx2 s[6:7], s[2:3], 0x4
	s_load_dword s5, s[2:3], 0xc
	s_load_dwordx2 s[8:9], s[0:1], 0x0
	s_add_u32 s2, s2, 12
	s_addc_u32 s3, s3, 0
	s_waitcnt lgkmcnt(0)
	v_mul_hi_u32 v3, s7, v1
	s_add_u32 s0, s0, 8
	s_addc_u32 s1, s1, 0
	s_add_i32 s4, s4, -1
	v_add_u32_e32 v3, v1, v3
	v_lshrrev_b32_e32 v4, s5, v3
	v_mul_lo_u32 v3, v4, s6
	s_cmp_lg_u32 s4, 0
	v_sub_u32_e32 v3, v1, v3
	v_mad_u64_u32 v[0:1], s[6:7], v3, s8, v[0:1]
	v_mad_u64_u32 v[2:3], s[6:7], v3, s9, v[2:3]
	v_mov_b32_e32 v1, v4
	s_cbranch_scc1 .LBB46_78
.LBB46_79:
	s_cbranch_execnz .LBB46_82
.LBB46_80:
	s_waitcnt lgkmcnt(0)
	v_mul_hi_u32 v0, s25, v7
	s_andn2_b64 vcc, exec, s[42:43]
	v_add_u32_e32 v0, v7, v0
	v_lshrrev_b32_e32 v1, s26, v0
	v_mul_lo_u32 v0, v1, s24
	v_sub_u32_e32 v2, v7, v0
	v_mul_lo_u32 v0, v2, s20
	v_mul_lo_u32 v2, v2, s21
	s_cbranch_vccnz .LBB46_82
; %bb.81:
	v_mul_hi_u32 v3, s40, v1
	v_add_u32_e32 v3, v1, v3
	v_lshrrev_b32_e32 v3, s41, v3
	v_mul_lo_u32 v3, v3, s27
	v_sub_u32_e32 v3, v1, v3
	v_mad_u64_u32 v[0:1], s[0:1], v3, s22, v[0:1]
	v_mad_u64_u32 v[2:3], s[0:1], v3, s23, v[2:3]
.LBB46_82:
	s_waitcnt lgkmcnt(0)
	global_load_dword v1, v2, s[18:19]
	v_mov_b32_e32 v2, 0x3c5fc5da
	v_mov_b32_e32 v3, 0x3d034c3c
	;; [unrolled: 1-line block ×5, first 2 shown]
	s_brev_b32 s0, -2
	v_add_u32_e32 v7, 0x80, v7
	s_waitcnt vmcnt(0)
	v_fma_f32 v8, |v1|, -0.5, 0.5
	v_mul_f32_e32 v9, v1, v1
	v_cmp_ge_f32_e64 vcc, |v1|, 0.5
	v_cndmask_b32_e32 v8, v9, v8, vcc
	v_fmac_f32_e32 v2, 0x3d1c21a7, v8
	v_fmac_f32_e32 v3, v8, v2
	v_sqrt_f32_e32 v9, v8
	v_fmac_f32_e32 v4, v8, v3
	v_fmac_f32_e32 v5, v8, v4
	;; [unrolled: 1-line block ×3, first 2 shown]
	v_mul_f32_e32 v2, v8, v6
	v_fmac_f32_e32 v9, v9, v2
	v_add_f32_e32 v3, v9, v9
	v_fma_f32 v2, |v1|, v2, |v1|
	v_sub_f32_e32 v3, 0x3fc90fdb, v3
	v_cmp_lt_f32_e64 vcc, |v1|, 0.5
	v_cndmask_b32_e32 v2, v3, v2, vcc
	v_bfi_b32 v1, s0, v2, v1
	global_store_dword v0, v1, s[16:17]
	s_or_b64 exec, exec, s[48:49]
	v_cmp_gt_i32_e32 vcc, s55, v7
	s_and_saveexec_b64 s[48:49], vcc
	s_cbranch_execnz .LBB46_15
.LBB46_83:
	s_or_b64 exec, exec, s[48:49]
	v_cmp_gt_i32_e32 vcc, s55, v7
	s_and_saveexec_b64 s[48:49], vcc
	s_cbranch_execz .LBB46_99
.LBB46_84:
	s_andn2_b64 vcc, exec, s[36:37]
	s_cbranch_vccnz .LBB46_89
; %bb.85:
	s_andn2_b64 vcc, exec, s[46:47]
	s_cbranch_vccnz .LBB46_90
; %bb.86:
	s_add_i32 s58, s56, 1
	s_cmp_eq_u32 s54, 2
	s_cbranch_scc1 .LBB46_102
; %bb.87:
	s_and_b32 s57, s58, 28
	v_mov_b32_e32 v2, 0
	s_mov_b32 s59, 0
	s_mov_b64 s[50:51], s[34:35]
	s_mov_b64 s[52:53], s[44:45]
	v_mov_b32_e32 v0, 0
	v_mov_b32_e32 v1, v7
.LBB46_88:                              ; =>This Inner Loop Header: Depth=1
	s_load_dwordx8 s[8:15], s[50:51], 0x4
	s_load_dwordx4 s[28:31], s[50:51], 0x24
	s_load_dwordx8 s[0:7], s[52:53], 0x0
	s_add_u32 s50, s50, 48
	s_addc_u32 s51, s51, 0
	s_waitcnt lgkmcnt(0)
	v_mul_hi_u32 v3, s9, v1
	s_add_i32 s59, s59, 4
	s_add_u32 s52, s52, 32
	s_addc_u32 s53, s53, 0
	v_add_u32_e32 v3, v1, v3
	v_lshrrev_b32_e32 v3, s10, v3
	v_mul_lo_u32 v4, v3, s8
	v_mul_hi_u32 v5, s12, v3
	s_cmp_eq_u32 s57, s59
	v_sub_u32_e32 v1, v1, v4
	v_add_u32_e32 v4, v3, v5
	v_mul_lo_u32 v5, v1, s0
	v_mul_lo_u32 v6, v1, s1
	v_lshrrev_b32_e32 v1, s13, v4
	v_mul_lo_u32 v4, v1, s11
	v_mul_hi_u32 v8, s15, v1
	v_sub_u32_e32 v3, v3, v4
	v_add_u32_e32 v4, v1, v8
	v_lshrrev_b32_e32 v4, s28, v4
	v_mul_hi_u32 v9, s30, v4
	v_mul_lo_u32 v10, v4, s14
	v_mul_lo_u32 v8, v3, s2
	;; [unrolled: 1-line block ×3, first 2 shown]
	v_sub_u32_e32 v10, v1, v10
	v_add_u32_e32 v1, v4, v9
	v_lshrrev_b32_e32 v1, s31, v1
	v_mul_lo_u32 v9, v1, s29
	v_mul_lo_u32 v11, v10, s4
	;; [unrolled: 1-line block ×3, first 2 shown]
	v_add3_u32 v0, v5, v0, v8
	v_sub_u32_e32 v4, v4, v9
	v_mul_lo_u32 v9, v4, s6
	v_mul_lo_u32 v4, v4, s7
	v_add3_u32 v2, v6, v2, v3
	v_add3_u32 v0, v11, v0, v9
	;; [unrolled: 1-line block ×3, first 2 shown]
	s_cbranch_scc0 .LBB46_88
	s_branch .LBB46_103
.LBB46_89:
                                        ; implicit-def: $vgpr0
                                        ; implicit-def: $vgpr2
	s_branch .LBB46_107
.LBB46_90:
	v_mov_b32_e32 v0, 0
	v_mov_b32_e32 v2, 0
	s_branch .LBB46_106
.LBB46_91:
	s_mov_b32 s57, 0
	v_mov_b32_e32 v0, 0
	v_mov_b32_e32 v2, 0
	;; [unrolled: 1-line block ×3, first 2 shown]
.LBB46_92:
	s_and_b32 s4, s58, 3
	s_cmp_eq_u32 s4, 0
	s_cbranch_scc1 .LBB46_95
; %bb.93:
	s_lshl_b32 s0, s57, 3
	s_add_u32 s0, s34, s0
	s_addc_u32 s1, s35, 0
	s_add_u32 s0, s0, 0xc4
	s_addc_u32 s1, s1, 0
	s_mul_i32 s2, s57, 12
	s_add_u32 s2, s34, s2
	s_addc_u32 s3, s35, 0
.LBB46_94:                              ; =>This Inner Loop Header: Depth=1
	s_load_dwordx2 s[6:7], s[2:3], 0x4
	s_load_dword s5, s[2:3], 0xc
	s_load_dwordx2 s[8:9], s[0:1], 0x0
	s_add_u32 s2, s2, 12
	s_addc_u32 s3, s3, 0
	s_waitcnt lgkmcnt(0)
	v_mul_hi_u32 v3, s7, v1
	s_add_u32 s0, s0, 8
	s_addc_u32 s1, s1, 0
	s_add_i32 s4, s4, -1
	v_add_u32_e32 v3, v1, v3
	v_lshrrev_b32_e32 v4, s5, v3
	v_mul_lo_u32 v3, v4, s6
	s_cmp_lg_u32 s4, 0
	v_sub_u32_e32 v3, v1, v3
	v_mad_u64_u32 v[0:1], s[6:7], v3, s8, v[0:1]
	v_mad_u64_u32 v[2:3], s[6:7], v3, s9, v[2:3]
	v_mov_b32_e32 v1, v4
	s_cbranch_scc1 .LBB46_94
.LBB46_95:
	s_cbranch_execnz .LBB46_98
.LBB46_96:
	s_waitcnt lgkmcnt(0)
	v_mul_hi_u32 v0, s25, v7
	s_andn2_b64 vcc, exec, s[42:43]
	v_add_u32_e32 v0, v7, v0
	v_lshrrev_b32_e32 v1, s26, v0
	v_mul_lo_u32 v0, v1, s24
	v_sub_u32_e32 v2, v7, v0
	v_mul_lo_u32 v0, v2, s20
	v_mul_lo_u32 v2, v2, s21
	s_cbranch_vccnz .LBB46_98
; %bb.97:
	v_mul_hi_u32 v3, s40, v1
	v_add_u32_e32 v3, v1, v3
	v_lshrrev_b32_e32 v3, s41, v3
	v_mul_lo_u32 v3, v3, s27
	v_sub_u32_e32 v3, v1, v3
	v_mad_u64_u32 v[0:1], s[0:1], v3, s22, v[0:1]
	v_mad_u64_u32 v[2:3], s[0:1], v3, s23, v[2:3]
.LBB46_98:
	s_waitcnt lgkmcnt(0)
	global_load_dword v1, v2, s[18:19]
	v_mov_b32_e32 v2, 0x3c5fc5da
	v_mov_b32_e32 v3, 0x3d034c3c
	;; [unrolled: 1-line block ×5, first 2 shown]
	s_brev_b32 s0, -2
	v_add_u32_e32 v7, 0x80, v7
	s_waitcnt vmcnt(0)
	v_fma_f32 v8, |v1|, -0.5, 0.5
	v_mul_f32_e32 v9, v1, v1
	v_cmp_ge_f32_e64 vcc, |v1|, 0.5
	v_cndmask_b32_e32 v8, v9, v8, vcc
	v_fmac_f32_e32 v2, 0x3d1c21a7, v8
	v_fmac_f32_e32 v3, v8, v2
	v_sqrt_f32_e32 v9, v8
	v_fmac_f32_e32 v4, v8, v3
	v_fmac_f32_e32 v5, v8, v4
	v_fmac_f32_e32 v6, v8, v5
	v_mul_f32_e32 v2, v8, v6
	v_fmac_f32_e32 v9, v9, v2
	v_add_f32_e32 v3, v9, v9
	v_fma_f32 v2, |v1|, v2, |v1|
	v_sub_f32_e32 v3, 0x3fc90fdb, v3
	v_cmp_lt_f32_e64 vcc, |v1|, 0.5
	v_cndmask_b32_e32 v2, v3, v2, vcc
	v_bfi_b32 v1, s0, v2, v1
	global_store_dword v0, v1, s[16:17]
	s_or_b64 exec, exec, s[48:49]
	v_cmp_gt_i32_e32 vcc, s55, v7
	s_and_saveexec_b64 s[48:49], vcc
	s_cbranch_execnz .LBB46_84
.LBB46_99:
	s_or_b64 exec, exec, s[48:49]
	v_cmp_gt_i32_e32 vcc, s55, v7
	s_and_saveexec_b64 s[48:49], vcc
	s_cbranch_execnz .LBB46_110
.LBB46_100:
	s_or_b64 exec, exec, s[48:49]
                                        ; implicit-def: $vgpr13
                                        ; implicit-def: $vgpr7
	s_andn2_saveexec_b64 s[0:1], s[38:39]
	s_cbranch_execnz .LBB46_8
.LBB46_101:
	s_endpgm
.LBB46_102:
	s_mov_b32 s57, 0
	v_mov_b32_e32 v0, 0
	v_mov_b32_e32 v2, 0
	;; [unrolled: 1-line block ×3, first 2 shown]
.LBB46_103:
	s_and_b32 s4, s58, 3
	s_cmp_eq_u32 s4, 0
	s_cbranch_scc1 .LBB46_106
; %bb.104:
	s_lshl_b32 s0, s57, 3
	s_add_u32 s0, s34, s0
	s_addc_u32 s1, s35, 0
	s_add_u32 s0, s0, 0xc4
	s_addc_u32 s1, s1, 0
	s_mul_i32 s2, s57, 12
	s_add_u32 s2, s34, s2
	s_addc_u32 s3, s35, 0
.LBB46_105:                             ; =>This Inner Loop Header: Depth=1
	s_load_dwordx2 s[6:7], s[2:3], 0x4
	s_load_dword s5, s[2:3], 0xc
	s_load_dwordx2 s[8:9], s[0:1], 0x0
	s_add_u32 s2, s2, 12
	s_addc_u32 s3, s3, 0
	s_waitcnt lgkmcnt(0)
	v_mul_hi_u32 v3, s7, v1
	s_add_u32 s0, s0, 8
	s_addc_u32 s1, s1, 0
	s_add_i32 s4, s4, -1
	v_add_u32_e32 v3, v1, v3
	v_lshrrev_b32_e32 v4, s5, v3
	v_mul_lo_u32 v3, v4, s6
	s_cmp_lg_u32 s4, 0
	v_sub_u32_e32 v3, v1, v3
	v_mad_u64_u32 v[0:1], s[6:7], v3, s8, v[0:1]
	v_mad_u64_u32 v[2:3], s[6:7], v3, s9, v[2:3]
	v_mov_b32_e32 v1, v4
	s_cbranch_scc1 .LBB46_105
.LBB46_106:
	s_cbranch_execnz .LBB46_109
.LBB46_107:
	s_waitcnt lgkmcnt(0)
	v_mul_hi_u32 v0, s25, v7
	s_andn2_b64 vcc, exec, s[42:43]
	v_add_u32_e32 v0, v7, v0
	v_lshrrev_b32_e32 v1, s26, v0
	v_mul_lo_u32 v0, v1, s24
	v_sub_u32_e32 v2, v7, v0
	v_mul_lo_u32 v0, v2, s20
	v_mul_lo_u32 v2, v2, s21
	s_cbranch_vccnz .LBB46_109
; %bb.108:
	v_mul_hi_u32 v3, s40, v1
	v_add_u32_e32 v3, v1, v3
	v_lshrrev_b32_e32 v3, s41, v3
	v_mul_lo_u32 v3, v3, s27
	v_sub_u32_e32 v3, v1, v3
	v_mad_u64_u32 v[0:1], s[0:1], v3, s22, v[0:1]
	v_mad_u64_u32 v[2:3], s[0:1], v3, s23, v[2:3]
.LBB46_109:
	s_waitcnt lgkmcnt(0)
	global_load_dword v1, v2, s[18:19]
	v_mov_b32_e32 v2, 0x3c5fc5da
	v_mov_b32_e32 v3, 0x3d034c3c
	;; [unrolled: 1-line block ×5, first 2 shown]
	s_brev_b32 s0, -2
	v_add_u32_e32 v7, 0x80, v7
	s_waitcnt vmcnt(0)
	v_fma_f32 v8, |v1|, -0.5, 0.5
	v_mul_f32_e32 v9, v1, v1
	v_cmp_ge_f32_e64 vcc, |v1|, 0.5
	v_cndmask_b32_e32 v8, v9, v8, vcc
	v_fmac_f32_e32 v2, 0x3d1c21a7, v8
	v_fmac_f32_e32 v3, v8, v2
	v_sqrt_f32_e32 v9, v8
	v_fmac_f32_e32 v4, v8, v3
	v_fmac_f32_e32 v5, v8, v4
	v_fmac_f32_e32 v6, v8, v5
	v_mul_f32_e32 v2, v8, v6
	v_fmac_f32_e32 v9, v9, v2
	v_add_f32_e32 v3, v9, v9
	v_fma_f32 v2, |v1|, v2, |v1|
	v_sub_f32_e32 v3, 0x3fc90fdb, v3
	v_cmp_lt_f32_e64 vcc, |v1|, 0.5
	v_cndmask_b32_e32 v2, v3, v2, vcc
	v_bfi_b32 v1, s0, v2, v1
	global_store_dword v0, v1, s[16:17]
	s_or_b64 exec, exec, s[48:49]
	v_cmp_gt_i32_e32 vcc, s55, v7
	s_and_saveexec_b64 s[48:49], vcc
	s_cbranch_execz .LBB46_100
.LBB46_110:
	s_andn2_b64 vcc, exec, s[36:37]
	s_cbranch_vccnz .LBB46_115
; %bb.111:
	s_andn2_b64 vcc, exec, s[46:47]
	s_cbranch_vccnz .LBB46_116
; %bb.112:
	s_add_i32 s56, s56, 1
	s_cmp_eq_u32 s54, 2
	s_cbranch_scc1 .LBB46_117
; %bb.113:
	s_and_b32 s50, s56, 28
	v_mov_b32_e32 v2, 0
	s_mov_b32 s51, 0
	s_mov_b64 s[46:47], s[34:35]
	v_mov_b32_e32 v0, 0
	v_mov_b32_e32 v1, v7
.LBB46_114:                             ; =>This Inner Loop Header: Depth=1
	s_load_dwordx8 s[8:15], s[46:47], 0x4
	s_load_dwordx4 s[28:31], s[46:47], 0x24
	s_load_dwordx8 s[0:7], s[44:45], 0x0
	s_add_u32 s46, s46, 48
	s_addc_u32 s47, s47, 0
	s_waitcnt lgkmcnt(0)
	v_mul_hi_u32 v3, s9, v1
	s_add_i32 s51, s51, 4
	s_add_u32 s44, s44, 32
	s_addc_u32 s45, s45, 0
	v_add_u32_e32 v3, v1, v3
	v_lshrrev_b32_e32 v3, s10, v3
	v_mul_lo_u32 v4, v3, s8
	v_mul_hi_u32 v5, s12, v3
	s_cmp_eq_u32 s50, s51
	v_sub_u32_e32 v1, v1, v4
	v_add_u32_e32 v4, v3, v5
	v_mul_lo_u32 v5, v1, s0
	v_mul_lo_u32 v6, v1, s1
	v_lshrrev_b32_e32 v1, s13, v4
	v_mul_lo_u32 v4, v1, s11
	v_mul_hi_u32 v8, s15, v1
	v_sub_u32_e32 v3, v3, v4
	v_add_u32_e32 v4, v1, v8
	v_lshrrev_b32_e32 v4, s28, v4
	v_mul_hi_u32 v9, s30, v4
	v_mul_lo_u32 v10, v4, s14
	v_mul_lo_u32 v8, v3, s2
	;; [unrolled: 1-line block ×3, first 2 shown]
	v_sub_u32_e32 v10, v1, v10
	v_add_u32_e32 v1, v4, v9
	v_lshrrev_b32_e32 v1, s31, v1
	v_mul_lo_u32 v9, v1, s29
	v_mul_lo_u32 v11, v10, s4
	;; [unrolled: 1-line block ×3, first 2 shown]
	v_add3_u32 v0, v5, v0, v8
	v_sub_u32_e32 v4, v4, v9
	v_mul_lo_u32 v9, v4, s6
	v_mul_lo_u32 v4, v4, s7
	v_add3_u32 v2, v6, v2, v3
	v_add3_u32 v0, v11, v0, v9
	;; [unrolled: 1-line block ×3, first 2 shown]
	s_cbranch_scc0 .LBB46_114
	s_branch .LBB46_118
.LBB46_115:
                                        ; implicit-def: $vgpr0
                                        ; implicit-def: $vgpr2
	s_branch .LBB46_122
.LBB46_116:
	v_mov_b32_e32 v0, 0
	v_mov_b32_e32 v2, 0
	s_branch .LBB46_121
.LBB46_117:
	s_mov_b32 s50, 0
	v_mov_b32_e32 v0, 0
	v_mov_b32_e32 v2, 0
	;; [unrolled: 1-line block ×3, first 2 shown]
.LBB46_118:
	s_and_b32 s4, s56, 3
	s_cmp_eq_u32 s4, 0
	s_cbranch_scc1 .LBB46_121
; %bb.119:
	s_lshl_b32 s0, s50, 3
	s_add_u32 s0, s34, s0
	s_addc_u32 s1, s35, 0
	s_add_u32 s0, s0, 0xc4
	s_addc_u32 s1, s1, 0
	s_mul_i32 s2, s50, 12
	s_add_u32 s2, s34, s2
	s_addc_u32 s3, s35, 0
.LBB46_120:                             ; =>This Inner Loop Header: Depth=1
	s_load_dwordx2 s[6:7], s[2:3], 0x4
	s_load_dword s5, s[2:3], 0xc
	s_load_dwordx2 s[8:9], s[0:1], 0x0
	s_add_u32 s2, s2, 12
	s_addc_u32 s3, s3, 0
	s_waitcnt lgkmcnt(0)
	v_mul_hi_u32 v3, s7, v1
	s_add_u32 s0, s0, 8
	s_addc_u32 s1, s1, 0
	s_add_i32 s4, s4, -1
	v_add_u32_e32 v3, v1, v3
	v_lshrrev_b32_e32 v4, s5, v3
	v_mul_lo_u32 v3, v4, s6
	s_cmp_lg_u32 s4, 0
	v_sub_u32_e32 v3, v1, v3
	v_mad_u64_u32 v[0:1], s[6:7], v3, s8, v[0:1]
	v_mad_u64_u32 v[2:3], s[6:7], v3, s9, v[2:3]
	v_mov_b32_e32 v1, v4
	s_cbranch_scc1 .LBB46_120
.LBB46_121:
	s_cbranch_execnz .LBB46_124
.LBB46_122:
	s_waitcnt lgkmcnt(0)
	v_mul_hi_u32 v0, s25, v7
	s_andn2_b64 vcc, exec, s[42:43]
	v_add_u32_e32 v0, v7, v0
	v_lshrrev_b32_e32 v1, s26, v0
	v_mul_lo_u32 v0, v1, s24
	v_sub_u32_e32 v2, v7, v0
	v_mul_lo_u32 v0, v2, s20
	v_mul_lo_u32 v2, v2, s21
	s_cbranch_vccnz .LBB46_124
; %bb.123:
	v_mul_hi_u32 v3, s40, v1
	v_add_u32_e32 v3, v1, v3
	v_lshrrev_b32_e32 v3, s41, v3
	v_mul_lo_u32 v3, v3, s27
	v_sub_u32_e32 v3, v1, v3
	v_mad_u64_u32 v[0:1], s[0:1], v3, s22, v[0:1]
	v_mad_u64_u32 v[2:3], s[0:1], v3, s23, v[2:3]
.LBB46_124:
	s_waitcnt lgkmcnt(0)
	global_load_dword v1, v2, s[18:19]
	v_mov_b32_e32 v2, 0x3c5fc5da
	v_mov_b32_e32 v3, 0x3d034c3c
	;; [unrolled: 1-line block ×5, first 2 shown]
	s_brev_b32 s0, -2
	s_waitcnt vmcnt(0)
	v_fma_f32 v7, |v1|, -0.5, 0.5
	v_mul_f32_e32 v8, v1, v1
	v_cmp_ge_f32_e64 vcc, |v1|, 0.5
	v_cndmask_b32_e32 v7, v8, v7, vcc
	v_fmac_f32_e32 v2, 0x3d1c21a7, v7
	v_fmac_f32_e32 v3, v7, v2
	v_sqrt_f32_e32 v8, v7
	v_fmac_f32_e32 v4, v7, v3
	v_fmac_f32_e32 v5, v7, v4
	;; [unrolled: 1-line block ×3, first 2 shown]
	v_mul_f32_e32 v2, v7, v6
	v_fmac_f32_e32 v8, v8, v2
	v_add_f32_e32 v3, v8, v8
	v_fma_f32 v2, |v1|, v2, |v1|
	v_sub_f32_e32 v3, 0x3fc90fdb, v3
	v_cmp_lt_f32_e64 vcc, |v1|, 0.5
	v_cndmask_b32_e32 v2, v3, v2, vcc
	v_bfi_b32 v1, s0, v2, v1
	global_store_dword v0, v1, s[16:17]
	s_or_b64 exec, exec, s[48:49]
                                        ; implicit-def: $vgpr13
                                        ; implicit-def: $vgpr7
	s_andn2_saveexec_b64 s[0:1], s[38:39]
	s_cbranch_execz .LBB46_101
	s_branch .LBB46_8
	.section	.rodata,"a",@progbits
	.p2align	6, 0x0
	.amdhsa_kernel _ZN2at6native32elementwise_kernel_manual_unrollILi128ELi4EZNS0_22gpu_kernel_impl_nocastIZZZNS0_16asin_kernel_cudaERNS_18TensorIteratorBaseEENKUlvE0_clEvENKUlvE0_clEvEUlfE_EEvS4_RKT_EUlibE_EEviT1_
		.amdhsa_group_segment_fixed_size 0
		.amdhsa_private_segment_fixed_size 0
		.amdhsa_kernarg_size 360
		.amdhsa_user_sgpr_count 6
		.amdhsa_user_sgpr_private_segment_buffer 1
		.amdhsa_user_sgpr_dispatch_ptr 0
		.amdhsa_user_sgpr_queue_ptr 0
		.amdhsa_user_sgpr_kernarg_segment_ptr 1
		.amdhsa_user_sgpr_dispatch_id 0
		.amdhsa_user_sgpr_flat_scratch_init 0
		.amdhsa_user_sgpr_private_segment_size 0
		.amdhsa_uses_dynamic_stack 0
		.amdhsa_system_sgpr_private_segment_wavefront_offset 0
		.amdhsa_system_sgpr_workgroup_id_x 1
		.amdhsa_system_sgpr_workgroup_id_y 0
		.amdhsa_system_sgpr_workgroup_id_z 0
		.amdhsa_system_sgpr_workgroup_info 0
		.amdhsa_system_vgpr_workitem_id 0
		.amdhsa_next_free_vgpr 18
		.amdhsa_next_free_sgpr 60
		.amdhsa_reserve_vcc 1
		.amdhsa_reserve_flat_scratch 0
		.amdhsa_float_round_mode_32 0
		.amdhsa_float_round_mode_16_64 0
		.amdhsa_float_denorm_mode_32 3
		.amdhsa_float_denorm_mode_16_64 3
		.amdhsa_dx10_clamp 1
		.amdhsa_ieee_mode 1
		.amdhsa_fp16_overflow 0
		.amdhsa_exception_fp_ieee_invalid_op 0
		.amdhsa_exception_fp_denorm_src 0
		.amdhsa_exception_fp_ieee_div_zero 0
		.amdhsa_exception_fp_ieee_overflow 0
		.amdhsa_exception_fp_ieee_underflow 0
		.amdhsa_exception_fp_ieee_inexact 0
		.amdhsa_exception_int_div_zero 0
	.end_amdhsa_kernel
	.section	.text._ZN2at6native32elementwise_kernel_manual_unrollILi128ELi4EZNS0_22gpu_kernel_impl_nocastIZZZNS0_16asin_kernel_cudaERNS_18TensorIteratorBaseEENKUlvE0_clEvENKUlvE0_clEvEUlfE_EEvS4_RKT_EUlibE_EEviT1_,"axG",@progbits,_ZN2at6native32elementwise_kernel_manual_unrollILi128ELi4EZNS0_22gpu_kernel_impl_nocastIZZZNS0_16asin_kernel_cudaERNS_18TensorIteratorBaseEENKUlvE0_clEvENKUlvE0_clEvEUlfE_EEvS4_RKT_EUlibE_EEviT1_,comdat
.Lfunc_end46:
	.size	_ZN2at6native32elementwise_kernel_manual_unrollILi128ELi4EZNS0_22gpu_kernel_impl_nocastIZZZNS0_16asin_kernel_cudaERNS_18TensorIteratorBaseEENKUlvE0_clEvENKUlvE0_clEvEUlfE_EEvS4_RKT_EUlibE_EEviT1_, .Lfunc_end46-_ZN2at6native32elementwise_kernel_manual_unrollILi128ELi4EZNS0_22gpu_kernel_impl_nocastIZZZNS0_16asin_kernel_cudaERNS_18TensorIteratorBaseEENKUlvE0_clEvENKUlvE0_clEvEUlfE_EEvS4_RKT_EUlibE_EEviT1_
                                        ; -- End function
	.set _ZN2at6native32elementwise_kernel_manual_unrollILi128ELi4EZNS0_22gpu_kernel_impl_nocastIZZZNS0_16asin_kernel_cudaERNS_18TensorIteratorBaseEENKUlvE0_clEvENKUlvE0_clEvEUlfE_EEvS4_RKT_EUlibE_EEviT1_.num_vgpr, 18
	.set _ZN2at6native32elementwise_kernel_manual_unrollILi128ELi4EZNS0_22gpu_kernel_impl_nocastIZZZNS0_16asin_kernel_cudaERNS_18TensorIteratorBaseEENKUlvE0_clEvENKUlvE0_clEvEUlfE_EEvS4_RKT_EUlibE_EEviT1_.num_agpr, 0
	.set _ZN2at6native32elementwise_kernel_manual_unrollILi128ELi4EZNS0_22gpu_kernel_impl_nocastIZZZNS0_16asin_kernel_cudaERNS_18TensorIteratorBaseEENKUlvE0_clEvENKUlvE0_clEvEUlfE_EEvS4_RKT_EUlibE_EEviT1_.numbered_sgpr, 60
	.set _ZN2at6native32elementwise_kernel_manual_unrollILi128ELi4EZNS0_22gpu_kernel_impl_nocastIZZZNS0_16asin_kernel_cudaERNS_18TensorIteratorBaseEENKUlvE0_clEvENKUlvE0_clEvEUlfE_EEvS4_RKT_EUlibE_EEviT1_.num_named_barrier, 0
	.set _ZN2at6native32elementwise_kernel_manual_unrollILi128ELi4EZNS0_22gpu_kernel_impl_nocastIZZZNS0_16asin_kernel_cudaERNS_18TensorIteratorBaseEENKUlvE0_clEvENKUlvE0_clEvEUlfE_EEvS4_RKT_EUlibE_EEviT1_.private_seg_size, 0
	.set _ZN2at6native32elementwise_kernel_manual_unrollILi128ELi4EZNS0_22gpu_kernel_impl_nocastIZZZNS0_16asin_kernel_cudaERNS_18TensorIteratorBaseEENKUlvE0_clEvENKUlvE0_clEvEUlfE_EEvS4_RKT_EUlibE_EEviT1_.uses_vcc, 1
	.set _ZN2at6native32elementwise_kernel_manual_unrollILi128ELi4EZNS0_22gpu_kernel_impl_nocastIZZZNS0_16asin_kernel_cudaERNS_18TensorIteratorBaseEENKUlvE0_clEvENKUlvE0_clEvEUlfE_EEvS4_RKT_EUlibE_EEviT1_.uses_flat_scratch, 0
	.set _ZN2at6native32elementwise_kernel_manual_unrollILi128ELi4EZNS0_22gpu_kernel_impl_nocastIZZZNS0_16asin_kernel_cudaERNS_18TensorIteratorBaseEENKUlvE0_clEvENKUlvE0_clEvEUlfE_EEvS4_RKT_EUlibE_EEviT1_.has_dyn_sized_stack, 0
	.set _ZN2at6native32elementwise_kernel_manual_unrollILi128ELi4EZNS0_22gpu_kernel_impl_nocastIZZZNS0_16asin_kernel_cudaERNS_18TensorIteratorBaseEENKUlvE0_clEvENKUlvE0_clEvEUlfE_EEvS4_RKT_EUlibE_EEviT1_.has_recursion, 0
	.set _ZN2at6native32elementwise_kernel_manual_unrollILi128ELi4EZNS0_22gpu_kernel_impl_nocastIZZZNS0_16asin_kernel_cudaERNS_18TensorIteratorBaseEENKUlvE0_clEvENKUlvE0_clEvEUlfE_EEvS4_RKT_EUlibE_EEviT1_.has_indirect_call, 0
	.section	.AMDGPU.csdata,"",@progbits
; Kernel info:
; codeLenInByte = 6772
; TotalNumSgprs: 64
; NumVgprs: 18
; ScratchSize: 0
; MemoryBound: 0
; FloatMode: 240
; IeeeMode: 1
; LDSByteSize: 0 bytes/workgroup (compile time only)
; SGPRBlocks: 7
; VGPRBlocks: 4
; NumSGPRsForWavesPerEU: 64
; NumVGPRsForWavesPerEU: 18
; Occupancy: 10
; WaveLimiterHint : 1
; COMPUTE_PGM_RSRC2:SCRATCH_EN: 0
; COMPUTE_PGM_RSRC2:USER_SGPR: 6
; COMPUTE_PGM_RSRC2:TRAP_HANDLER: 0
; COMPUTE_PGM_RSRC2:TGID_X_EN: 1
; COMPUTE_PGM_RSRC2:TGID_Y_EN: 0
; COMPUTE_PGM_RSRC2:TGID_Z_EN: 0
; COMPUTE_PGM_RSRC2:TIDIG_COMP_CNT: 0
	.section	.text._ZN2at6native32elementwise_kernel_manual_unrollILi128ELi4EZNS0_15gpu_kernel_implIZZZNS0_16asin_kernel_cudaERNS_18TensorIteratorBaseEENKUlvE0_clEvENKUlvE0_clEvEUlfE_EEvS4_RKT_EUlibE_EEviT1_,"axG",@progbits,_ZN2at6native32elementwise_kernel_manual_unrollILi128ELi4EZNS0_15gpu_kernel_implIZZZNS0_16asin_kernel_cudaERNS_18TensorIteratorBaseEENKUlvE0_clEvENKUlvE0_clEvEUlfE_EEvS4_RKT_EUlibE_EEviT1_,comdat
	.globl	_ZN2at6native32elementwise_kernel_manual_unrollILi128ELi4EZNS0_15gpu_kernel_implIZZZNS0_16asin_kernel_cudaERNS_18TensorIteratorBaseEENKUlvE0_clEvENKUlvE0_clEvEUlfE_EEvS4_RKT_EUlibE_EEviT1_ ; -- Begin function _ZN2at6native32elementwise_kernel_manual_unrollILi128ELi4EZNS0_15gpu_kernel_implIZZZNS0_16asin_kernel_cudaERNS_18TensorIteratorBaseEENKUlvE0_clEvENKUlvE0_clEvEUlfE_EEvS4_RKT_EUlibE_EEviT1_
	.p2align	8
	.type	_ZN2at6native32elementwise_kernel_manual_unrollILi128ELi4EZNS0_15gpu_kernel_implIZZZNS0_16asin_kernel_cudaERNS_18TensorIteratorBaseEENKUlvE0_clEvENKUlvE0_clEvEUlfE_EEvS4_RKT_EUlibE_EEviT1_,@function
_ZN2at6native32elementwise_kernel_manual_unrollILi128ELi4EZNS0_15gpu_kernel_implIZZZNS0_16asin_kernel_cudaERNS_18TensorIteratorBaseEENKUlvE0_clEvENKUlvE0_clEvEUlfE_EEvS4_RKT_EUlibE_EEviT1_: ; @_ZN2at6native32elementwise_kernel_manual_unrollILi128ELi4EZNS0_15gpu_kernel_implIZZZNS0_16asin_kernel_cudaERNS_18TensorIteratorBaseEENKUlvE0_clEvENKUlvE0_clEvEUlfE_EEvS4_RKT_EUlibE_EEviT1_
; %bb.0:
	v_mov_b32_e32 v1, 0
	global_load_ushort v1, v1, s[4:5] offset:33
	s_load_dwordx4 s[8:11], s[4:5], 0x8
	s_load_dwordx2 s[2:3], s[4:5], 0x18
	s_load_dword s38, s[4:5], 0x0
	v_lshl_or_b32 v4, s6, 9, v0
	v_or_b32_e32 v0, 0x180, v4
	s_mov_b64 s[12:13], 0
	s_mov_b64 s[6:7], 0
	s_waitcnt lgkmcnt(0)
	v_cmp_le_i32_e32 vcc, s38, v0
	s_waitcnt vmcnt(0)
	v_readfirstlane_b32 s33, v1
	s_and_b32 s0, 0xffff, s33
	s_lshr_b32 s42, s0, 8
	s_and_saveexec_b64 s[0:1], vcc
	s_xor_b64 s[4:5], exec, s[0:1]
	s_cbranch_execz .LBB47_1027
; %bb.1:
	v_cmp_gt_i32_e32 vcc, s38, v4
	s_mov_b64 s[18:19], -1
	s_mov_b64 s[20:21], 0
	s_mov_b64 s[14:15], 0
	s_and_saveexec_b64 s[16:17], vcc
	s_cbranch_execz .LBB47_252
; %bb.2:
	v_mul_lo_u32 v0, v4, s3
	v_mov_b32_e32 v1, s11
	s_and_b32 s22, 0xffff, s42
	s_cmp_lt_i32 s22, 11
	v_ashrrev_i32_e32 v2, 31, v0
	v_add_co_u32_e32 v0, vcc, s10, v0
	v_addc_co_u32_e32 v1, vcc, v1, v2, vcc
	s_cbranch_scc1 .LBB47_9
; %bb.3:
	s_cmp_gt_i32 s22, 25
	s_cbranch_scc0 .LBB47_18
; %bb.4:
	s_cmp_gt_i32 s22, 28
	s_cbranch_scc0 .LBB47_22
	;; [unrolled: 3-line block ×4, first 2 shown]
; %bb.7:
	s_cmp_eq_u32 s22, 46
	s_cbranch_scc0 .LBB47_28
; %bb.8:
	global_load_dword v2, v[0:1], off
	s_mov_b64 s[0:1], -1
	s_waitcnt vmcnt(0)
	v_lshlrev_b32_e32 v2, 16, v2
	s_branch .LBB47_30
.LBB47_9:
                                        ; implicit-def: $vgpr2
	s_mov_b64 s[0:1], 0
	s_cbranch_execnz .LBB47_203
.LBB47_10:
	s_andn2_b64 vcc, exec, s[0:1]
	s_cbranch_vccnz .LBB47_250
.LBB47_11:
	s_waitcnt vmcnt(0)
	v_fma_f32 v0, |v2|, -0.5, 0.5
	v_mul_f32_e32 v1, v2, v2
	v_cmp_ge_f32_e64 vcc, |v2|, 0.5
	v_cndmask_b32_e32 v0, v1, v0, vcc
	v_mov_b32_e32 v1, 0x3c5fc5da
	v_fmac_f32_e32 v1, 0x3d1c21a7, v0
	v_mov_b32_e32 v3, 0x3d034c3c
	v_fmac_f32_e32 v3, v0, v1
	;; [unrolled: 2-line block ×4, first 2 shown]
	v_sqrt_f32_e32 v1, v0
	v_mov_b32_e32 v5, 0x3e2aaaac
	v_fmac_f32_e32 v5, v0, v3
	v_mul_f32_e32 v0, v0, v5
	v_mul_lo_u32 v5, v4, s2
	v_fmac_f32_e32 v1, v1, v0
	v_add_f32_e32 v1, v1, v1
	v_sub_f32_e32 v1, 0x3fc90fdb, v1
	v_fma_f32 v0, |v2|, v0, |v2|
	v_cmp_lt_f32_e64 vcc, |v2|, 0.5
	v_cndmask_b32_e32 v3, v1, v0, vcc
	s_brev_b32 s0, -2
	v_ashrrev_i32_e32 v1, 31, v5
	v_mov_b32_e32 v6, s9
	s_and_b32 s24, s33, 0xff
	v_add_co_u32_e32 v0, vcc, s8, v5
	v_bfi_b32 v2, s0, v3, v2
	s_cmp_lt_i32 s24, 11
	v_addc_co_u32_e32 v1, vcc, v6, v1, vcc
	s_cbranch_scc1 .LBB47_19
; %bb.12:
	s_and_b32 s25, 0xffff, s24
	s_cmp_gt_i32 s25, 25
	s_cbranch_scc0 .LBB47_23
; %bb.13:
	s_cmp_gt_i32 s25, 28
	s_cbranch_scc0 .LBB47_25
; %bb.14:
	;; [unrolled: 3-line block ×4, first 2 shown]
	s_mov_b64 s[18:19], 0
	s_mov_b64 s[0:1], -1
	s_cmp_eq_u32 s25, 46
	s_mov_b64 s[6:7], 0
	s_cbranch_scc0 .LBB47_34
; %bb.17:
	v_bfe_u32 v5, v2, 16, 1
	s_movk_i32 s0, 0x7fff
	v_add3_u32 v5, v2, v5, s0
	v_cmp_o_f32_e32 vcc, v2, v2
	v_mov_b32_e32 v6, 0x7fc0
	v_cndmask_b32_sdwa v5, v6, v5, vcc dst_sel:DWORD dst_unused:UNUSED_PAD src0_sel:DWORD src1_sel:WORD_1
	global_store_dword v[0:1], v5, off
	s_mov_b64 s[6:7], -1
	s_mov_b64 s[0:1], 0
	s_branch .LBB47_34
.LBB47_18:
	s_mov_b64 s[0:1], 0
                                        ; implicit-def: $vgpr2
	s_cbranch_execnz .LBB47_168
	s_branch .LBB47_202
.LBB47_19:
	s_mov_b64 s[0:1], 0
	s_mov_b64 s[6:7], 0
	s_cbranch_execnz .LBB47_103
.LBB47_20:
	s_andn2_b64 vcc, exec, s[6:7]
	s_cbranch_vccnz .LBB47_141
.LBB47_21:
	v_add_u32_e32 v4, 0x80, v4
	s_mov_b64 s[18:19], -1
	s_branch .LBB47_251
.LBB47_22:
	s_mov_b64 s[6:7], -1
	s_mov_b64 s[0:1], 0
                                        ; implicit-def: $vgpr2
	s_branch .LBB47_149
.LBB47_23:
	s_mov_b64 s[18:19], -1
	s_mov_b64 s[0:1], 0
	s_mov_b64 s[6:7], 0
	s_branch .LBB47_61
.LBB47_24:
	s_mov_b64 s[6:7], -1
	s_mov_b64 s[0:1], 0
                                        ; implicit-def: $vgpr2
	s_branch .LBB47_144
.LBB47_25:
	s_mov_b64 s[18:19], -1
	s_mov_b64 s[0:1], 0
	s_mov_b64 s[6:7], 0
	s_branch .LBB47_44
.LBB47_26:
	s_mov_b64 s[6:7], -1
	s_branch .LBB47_29
.LBB47_27:
	s_mov_b64 s[18:19], -1
	s_mov_b64 s[0:1], 0
	s_mov_b64 s[6:7], 0
	s_branch .LBB47_40
.LBB47_28:
	s_mov_b64 s[14:15], -1
.LBB47_29:
	s_mov_b64 s[0:1], 0
                                        ; implicit-def: $vgpr2
.LBB47_30:
	s_and_b64 vcc, exec, s[6:7]
	s_cbranch_vccz .LBB47_143
; %bb.31:
	s_cmp_eq_u32 s22, 44
	s_cbranch_scc0 .LBB47_142
; %bb.32:
	global_load_ubyte v2, v[0:1], off
	s_movk_i32 s6, 0xff
	v_mov_b32_e32 v3, 0x7f800001
	v_mov_b32_e32 v5, 0x400000
	s_mov_b64 s[0:1], -1
	s_mov_b64 s[14:15], 0
	s_waitcnt vmcnt(0)
	v_lshlrev_b32_e32 v6, 23, v2
	v_cmp_ne_u32_e32 vcc, s6, v2
	v_cndmask_b32_e32 v3, v3, v6, vcc
	v_cmp_ne_u32_e32 vcc, 0, v2
	v_cndmask_b32_e32 v2, v5, v3, vcc
	s_branch .LBB47_143
.LBB47_33:
	s_mov_b64 s[18:19], -1
	s_mov_b64 s[0:1], 0
	s_mov_b64 s[6:7], 0
.LBB47_34:
	s_and_b64 vcc, exec, s[18:19]
	s_cbranch_vccz .LBB47_39
; %bb.35:
	s_cmp_eq_u32 s25, 44
	s_mov_b64 s[0:1], -1
	s_cbranch_scc0 .LBB47_39
; %bb.36:
	v_bfe_u32 v5, v2, 23, 8
	s_movk_i32 s0, 0xff
	v_cmp_ne_u32_e32 vcc, s0, v5
	v_mov_b32_e32 v6, 0xff
	s_and_saveexec_b64 s[6:7], vcc
; %bb.37:
	s_mov_b32 s0, 0x3fffff
	v_and_b32_e32 v7, 0x400000, v2
	v_and_or_b32 v5, v2, s0, v5
	v_cmp_ne_u32_e32 vcc, 0, v7
	v_cmp_ne_u32_e64 s[0:1], 0, v5
	s_and_b64 s[0:1], vcc, s[0:1]
	v_lshrrev_b32_e32 v6, 23, v2
	v_cndmask_b32_e64 v5, 0, 1, s[0:1]
	v_add_u32_e32 v6, v6, v5
; %bb.38:
	s_or_b64 exec, exec, s[6:7]
	s_mov_b64 s[6:7], -1
	s_mov_b64 s[0:1], 0
	global_store_byte v[0:1], v6, off
.LBB47_39:
	s_mov_b64 s[18:19], 0
.LBB47_40:
	s_and_b64 vcc, exec, s[18:19]
	s_cbranch_vccz .LBB47_43
; %bb.41:
	s_cmp_eq_u32 s25, 29
	s_mov_b64 s[0:1], -1
	s_cbranch_scc0 .LBB47_43
; %bb.42:
	v_trunc_f32_e32 v5, v2
	v_mul_f32_e32 v6, 0x2f800000, v5
	v_floor_f32_e32 v7, v6
	v_fmac_f32_e32 v5, 0xcf800000, v7
	v_cvt_u32_f32_e32 v6, v7
	v_cvt_u32_f32_e32 v5, v5
	s_mov_b64 s[6:7], -1
	s_mov_b64 s[0:1], 0
	s_mov_b64 s[18:19], 0
	global_store_dwordx2 v[0:1], v[5:6], off
	s_branch .LBB47_44
.LBB47_43:
	s_mov_b64 s[18:19], 0
.LBB47_44:
	s_and_b64 vcc, exec, s[18:19]
	s_cbranch_vccz .LBB47_60
; %bb.45:
	s_cmp_lt_i32 s25, 27
	s_mov_b64 s[6:7], -1
	s_cbranch_scc1 .LBB47_51
; %bb.46:
	v_cvt_u32_f32_e32 v5, v2
	s_cmp_gt_i32 s25, 27
	s_cbranch_scc0 .LBB47_48
; %bb.47:
	s_mov_b64 s[6:7], 0
	global_store_dword v[0:1], v5, off
.LBB47_48:
	s_andn2_b64 vcc, exec, s[6:7]
	s_cbranch_vccnz .LBB47_50
; %bb.49:
	global_store_short v[0:1], v5, off
.LBB47_50:
	s_mov_b64 s[6:7], 0
.LBB47_51:
	s_andn2_b64 vcc, exec, s[6:7]
	s_cbranch_vccnz .LBB47_59
; %bb.52:
	v_and_b32_e32 v5, 0x7fffffff, v3
	s_mov_b32 s6, 0x43800000
	v_cmp_gt_u32_e32 vcc, s6, v5
	v_mov_b32_e32 v6, 0x80
	s_and_saveexec_b64 s[6:7], vcc
	s_cbranch_execz .LBB47_58
; %bb.53:
	s_mov_b32 s18, 0x3bffffff
	v_cmp_lt_u32_e32 vcc, s18, v5
	s_mov_b64 s[18:19], 0
                                        ; implicit-def: $vgpr5
	s_and_saveexec_b64 s[22:23], vcc
	s_xor_b64 s[22:23], exec, s[22:23]
	s_cbranch_execz .LBB47_279
; %bb.54:
	v_bfe_u32 v5, v2, 20, 1
	s_mov_b32 s26, 0x487ffff
	v_add3_u32 v5, v2, v5, s26
	s_mov_b64 s[18:19], exec
	v_lshrrev_b32_e32 v5, 20, v5
	s_andn2_saveexec_b64 s[22:23], s[22:23]
	s_cbranch_execnz .LBB47_280
.LBB47_55:
	s_or_b64 exec, exec, s[22:23]
	v_mov_b32_e32 v6, 0
	s_and_saveexec_b64 s[22:23], s[18:19]
.LBB47_56:
	v_lshrrev_b32_e32 v6, 24, v2
	s_movk_i32 s18, 0x80
	v_and_or_b32 v6, v6, s18, v5
.LBB47_57:
	s_or_b64 exec, exec, s[22:23]
.LBB47_58:
	s_or_b64 exec, exec, s[6:7]
	global_store_byte v[0:1], v6, off
.LBB47_59:
	s_mov_b64 s[6:7], -1
.LBB47_60:
	s_mov_b64 s[18:19], 0
.LBB47_61:
	s_and_b64 vcc, exec, s[18:19]
	s_cbranch_vccz .LBB47_102
; %bb.62:
	s_cmp_gt_i32 s25, 22
	s_mov_b64 s[18:19], -1
	s_cbranch_scc0 .LBB47_94
; %bb.63:
	s_cmp_lt_i32 s25, 24
	s_mov_b64 s[6:7], -1
	s_cbranch_scc1 .LBB47_83
; %bb.64:
	s_cmp_gt_i32 s25, 24
	s_cbranch_scc0 .LBB47_72
; %bb.65:
	v_and_b32_e32 v5, 0x7fffffff, v3
	s_mov_b32 s6, 0x47800000
	v_cmp_gt_u32_e32 vcc, s6, v5
	v_mov_b32_e32 v6, 0x80
	s_and_saveexec_b64 s[6:7], vcc
	s_cbranch_execz .LBB47_71
; %bb.66:
	s_mov_b32 s18, 0x37ffffff
	v_cmp_lt_u32_e32 vcc, s18, v5
	s_mov_b64 s[18:19], 0
                                        ; implicit-def: $vgpr5
	s_and_saveexec_b64 s[22:23], vcc
	s_xor_b64 s[22:23], exec, s[22:23]
	s_cbranch_execz .LBB47_283
; %bb.67:
	v_bfe_u32 v5, v2, 21, 1
	s_mov_b32 s26, 0x88fffff
	v_add3_u32 v5, v2, v5, s26
	s_mov_b64 s[18:19], exec
	v_lshrrev_b32_e32 v5, 21, v5
	s_andn2_saveexec_b64 s[22:23], s[22:23]
	s_cbranch_execnz .LBB47_284
.LBB47_68:
	s_or_b64 exec, exec, s[22:23]
	v_mov_b32_e32 v6, 0
	s_and_saveexec_b64 s[22:23], s[18:19]
.LBB47_69:
	v_lshrrev_b32_e32 v6, 24, v2
	s_movk_i32 s18, 0x80
	v_and_or_b32 v6, v6, s18, v5
.LBB47_70:
	s_or_b64 exec, exec, s[22:23]
.LBB47_71:
	s_or_b64 exec, exec, s[6:7]
	s_mov_b64 s[6:7], 0
	global_store_byte v[0:1], v6, off
.LBB47_72:
	s_and_b64 vcc, exec, s[6:7]
	s_cbranch_vccz .LBB47_82
; %bb.73:
	v_and_b32_e32 v6, 0x7fffffff, v3
	s_mov_b32 s6, 0x43f00000
	v_cmp_gt_u32_e32 vcc, s6, v6
                                        ; implicit-def: $vgpr5
	s_and_saveexec_b64 s[6:7], vcc
	s_xor_b64 s[6:7], exec, s[6:7]
	s_cbranch_execz .LBB47_79
; %bb.74:
	s_mov_b32 s18, 0x3c7fffff
	v_cmp_lt_u32_e32 vcc, s18, v6
                                        ; implicit-def: $vgpr5
	s_and_saveexec_b64 s[18:19], vcc
	s_xor_b64 s[18:19], exec, s[18:19]
; %bb.75:
	v_bfe_u32 v5, v2, 20, 1
	s_mov_b32 s22, 0x407ffff
	v_add3_u32 v5, v2, v5, s22
	v_lshrrev_b32_e32 v6, 20, v5
	v_and_b32_e32 v5, 0xff00000, v5
	s_mov_b32 s22, 0x7f00000
	v_mov_b32_e32 v7, 0x7e
	v_cmp_ne_u32_e32 vcc, s22, v5
	v_cndmask_b32_e32 v5, v7, v6, vcc
; %bb.76:
	s_andn2_saveexec_b64 s[18:19], s[18:19]
; %bb.77:
	s_mov_b32 s22, 0x46800000
	v_add_f32_e64 v5, |v3|, s22
; %bb.78:
	s_or_b64 exec, exec, s[18:19]
                                        ; implicit-def: $vgpr6
.LBB47_79:
	s_andn2_saveexec_b64 s[6:7], s[6:7]
; %bb.80:
	s_mov_b32 s18, 0x7f800000
	v_mov_b32_e32 v5, 0x7e
	v_mov_b32_e32 v7, 0x7f
	v_cmp_lt_u32_e32 vcc, s18, v6
	v_cndmask_b32_e32 v5, v5, v7, vcc
; %bb.81:
	s_or_b64 exec, exec, s[6:7]
	v_lshrrev_b32_e32 v6, 24, v2
	s_movk_i32 s6, 0x80
	v_and_or_b32 v5, v6, s6, v5
	global_store_byte v[0:1], v5, off
.LBB47_82:
	s_mov_b64 s[6:7], 0
.LBB47_83:
	s_andn2_b64 vcc, exec, s[6:7]
	s_cbranch_vccnz .LBB47_93
; %bb.84:
	v_and_b32_e32 v6, 0x7fffffff, v3
	s_mov_b32 s6, 0x47800000
	v_cmp_gt_u32_e32 vcc, s6, v6
                                        ; implicit-def: $vgpr5
	s_and_saveexec_b64 s[6:7], vcc
	s_xor_b64 s[6:7], exec, s[6:7]
	s_cbranch_execz .LBB47_90
; %bb.85:
	s_mov_b32 s18, 0x387fffff
	v_cmp_lt_u32_e32 vcc, s18, v6
                                        ; implicit-def: $vgpr5
	s_and_saveexec_b64 s[18:19], vcc
	s_xor_b64 s[18:19], exec, s[18:19]
; %bb.86:
	v_bfe_u32 v3, v2, 21, 1
	s_mov_b32 s22, 0x80fffff
	v_add3_u32 v3, v2, v3, s22
	v_lshrrev_b32_e32 v5, 21, v3
                                        ; implicit-def: $vgpr3
; %bb.87:
	s_andn2_saveexec_b64 s[18:19], s[18:19]
; %bb.88:
	s_mov_b32 s22, 0x43000000
	v_add_f32_e64 v5, |v3|, s22
; %bb.89:
	s_or_b64 exec, exec, s[18:19]
                                        ; implicit-def: $vgpr6
.LBB47_90:
	s_andn2_saveexec_b64 s[6:7], s[6:7]
; %bb.91:
	s_mov_b32 s18, 0x7f800000
	v_mov_b32_e32 v3, 0x7c
	v_mov_b32_e32 v5, 0x7f
	v_cmp_lt_u32_e32 vcc, s18, v6
	v_cndmask_b32_e32 v5, v3, v5, vcc
; %bb.92:
	s_or_b64 exec, exec, s[6:7]
	v_lshrrev_b32_e32 v3, 24, v2
	s_movk_i32 s6, 0x80
	v_and_or_b32 v3, v3, s6, v5
	global_store_byte v[0:1], v3, off
.LBB47_93:
	s_mov_b64 s[18:19], 0
	s_mov_b64 s[6:7], -1
.LBB47_94:
	s_andn2_b64 vcc, exec, s[18:19]
	s_cbranch_vccnz .LBB47_102
; %bb.95:
	s_cmp_gt_i32 s25, 14
	s_mov_b64 s[18:19], -1
	s_cbranch_scc0 .LBB47_99
; %bb.96:
	s_cmp_eq_u32 s25, 15
	s_mov_b64 s[0:1], -1
	s_cbranch_scc0 .LBB47_98
; %bb.97:
	v_bfe_u32 v3, v2, 16, 1
	s_movk_i32 s0, 0x7fff
	v_add3_u32 v3, v2, v3, s0
	v_cmp_o_f32_e32 vcc, v2, v2
	v_mov_b32_e32 v5, 0x7fc0
	v_cndmask_b32_sdwa v3, v5, v3, vcc dst_sel:DWORD dst_unused:UNUSED_PAD src0_sel:DWORD src1_sel:WORD_1
	global_store_short v[0:1], v3, off
	s_mov_b64 s[6:7], -1
	s_mov_b64 s[0:1], 0
.LBB47_98:
	s_mov_b64 s[18:19], 0
.LBB47_99:
	s_and_b64 vcc, exec, s[18:19]
	s_cbranch_vccz .LBB47_102
; %bb.100:
	s_cmp_eq_u32 s25, 11
	s_mov_b64 s[0:1], -1
	s_cbranch_scc0 .LBB47_102
; %bb.101:
	v_cmp_neq_f32_e32 vcc, 0, v2
	v_cndmask_b32_e64 v3, 0, 1, vcc
	s_mov_b64 s[6:7], -1
	s_mov_b64 s[0:1], 0
	global_store_byte v[0:1], v3, off
.LBB47_102:
	s_branch .LBB47_20
.LBB47_103:
	s_and_b32 s18, 0xffff, s24
	s_cmp_lt_i32 s18, 5
	s_mov_b64 s[6:7], -1
	s_cbranch_scc1 .LBB47_124
; %bb.104:
	s_cmp_lt_i32 s18, 8
	s_cbranch_scc1 .LBB47_114
; %bb.105:
	s_cmp_lt_i32 s18, 9
	s_cbranch_scc1 .LBB47_111
; %bb.106:
	s_cmp_gt_i32 s18, 9
	s_cbranch_scc0 .LBB47_108
; %bb.107:
	v_cvt_f64_f32_e32 v[5:6], v2
	v_mov_b32_e32 v7, 0
	v_mov_b32_e32 v8, v7
	s_mov_b64 s[6:7], 0
	global_store_dwordx4 v[0:1], v[5:8], off
.LBB47_108:
	s_andn2_b64 vcc, exec, s[6:7]
	s_cbranch_vccnz .LBB47_110
; %bb.109:
	v_mov_b32_e32 v3, 0
	global_store_dwordx2 v[0:1], v[2:3], off
.LBB47_110:
	s_mov_b64 s[6:7], 0
.LBB47_111:
	s_andn2_b64 vcc, exec, s[6:7]
	s_cbranch_vccnz .LBB47_113
; %bb.112:
	v_cvt_f16_f32_e32 v3, v2
	global_store_dword v[0:1], v3, off
.LBB47_113:
	s_mov_b64 s[6:7], 0
.LBB47_114:
	s_andn2_b64 vcc, exec, s[6:7]
	s_cbranch_vccnz .LBB47_123
; %bb.115:
	s_cmp_lt_i32 s18, 6
	s_mov_b64 s[6:7], -1
	s_cbranch_scc1 .LBB47_121
; %bb.116:
	s_cmp_gt_i32 s18, 6
	s_cbranch_scc0 .LBB47_118
; %bb.117:
	v_cvt_f64_f32_e32 v[5:6], v2
	s_mov_b64 s[6:7], 0
	global_store_dwordx2 v[0:1], v[5:6], off
.LBB47_118:
	s_andn2_b64 vcc, exec, s[6:7]
	s_cbranch_vccnz .LBB47_120
; %bb.119:
	global_store_dword v[0:1], v2, off
.LBB47_120:
	s_mov_b64 s[6:7], 0
.LBB47_121:
	s_andn2_b64 vcc, exec, s[6:7]
	s_cbranch_vccnz .LBB47_123
; %bb.122:
	v_cvt_f16_f32_e32 v3, v2
	global_store_short v[0:1], v3, off
.LBB47_123:
	s_mov_b64 s[6:7], 0
.LBB47_124:
	s_andn2_b64 vcc, exec, s[6:7]
	s_cbranch_vccnz .LBB47_140
; %bb.125:
	s_cmp_lt_i32 s18, 2
	s_mov_b64 s[6:7], -1
	s_cbranch_scc1 .LBB47_135
; %bb.126:
	s_cmp_lt_i32 s18, 3
	s_cbranch_scc1 .LBB47_132
; %bb.127:
	s_cmp_gt_i32 s18, 3
	s_cbranch_scc0 .LBB47_129
; %bb.128:
	v_trunc_f32_e32 v3, v2
	s_mov_b32 s6, 0x2f800000
	v_mul_f32_e64 v5, |v3|, s6
	v_floor_f32_e32 v5, v5
	s_mov_b32 s6, 0xcf800000
	v_cvt_u32_f32_e32 v6, v5
	v_fma_f32 v5, v5, s6, |v3|
	v_cvt_u32_f32_e32 v5, v5
	v_ashrrev_i32_e32 v3, 31, v3
	v_xor_b32_e32 v6, v6, v3
	s_mov_b64 s[6:7], 0
	v_xor_b32_e32 v5, v5, v3
	v_sub_co_u32_e32 v5, vcc, v5, v3
	v_subb_co_u32_e32 v6, vcc, v6, v3, vcc
	global_store_dwordx2 v[0:1], v[5:6], off
.LBB47_129:
	s_andn2_b64 vcc, exec, s[6:7]
	s_cbranch_vccnz .LBB47_131
; %bb.130:
	v_cvt_i32_f32_e32 v3, v2
	global_store_dword v[0:1], v3, off
.LBB47_131:
	s_mov_b64 s[6:7], 0
.LBB47_132:
	s_andn2_b64 vcc, exec, s[6:7]
	s_cbranch_vccnz .LBB47_134
; %bb.133:
	v_cvt_i32_f32_e32 v3, v2
	global_store_short v[0:1], v3, off
.LBB47_134:
	s_mov_b64 s[6:7], 0
.LBB47_135:
	s_andn2_b64 vcc, exec, s[6:7]
	s_cbranch_vccnz .LBB47_140
; %bb.136:
	s_cmp_gt_i32 s18, 0
	s_mov_b64 s[6:7], -1
	s_cbranch_scc0 .LBB47_138
; %bb.137:
	v_cvt_i32_f32_e32 v3, v2
	s_mov_b64 s[6:7], 0
	global_store_byte v[0:1], v3, off
.LBB47_138:
	s_andn2_b64 vcc, exec, s[6:7]
	s_cbranch_vccnz .LBB47_140
; %bb.139:
	v_trunc_f32_e32 v2, v2
	s_mov_b32 s6, 0x2f800000
	v_mul_f32_e64 v3, |v2|, s6
	v_floor_f32_e32 v3, v3
	s_mov_b32 s6, 0xcf800000
	v_fma_f32 v3, v3, s6, |v2|
	v_cvt_u32_f32_e32 v3, v3
	v_ashrrev_i32_e32 v2, 31, v2
	v_xor_b32_e32 v3, v3, v2
	v_sub_u32_e32 v2, v3, v2
	global_store_byte v[0:1], v2, off
.LBB47_140:
	s_branch .LBB47_21
.LBB47_141:
	s_mov_b64 s[18:19], 0
                                        ; implicit-def: $vgpr4
	s_branch .LBB47_251
.LBB47_142:
	s_mov_b64 s[14:15], -1
                                        ; implicit-def: $vgpr2
.LBB47_143:
	s_mov_b64 s[6:7], 0
.LBB47_144:
	s_and_b64 vcc, exec, s[6:7]
	s_cbranch_vccz .LBB47_148
; %bb.145:
	s_cmp_eq_u32 s22, 29
	s_cbranch_scc0 .LBB47_147
; %bb.146:
	global_load_dwordx2 v[2:3], v[0:1], off
	s_mov_b64 s[0:1], -1
	s_mov_b64 s[14:15], 0
	s_mov_b64 s[6:7], 0
	s_waitcnt vmcnt(0)
	v_ffbh_u32_e32 v5, v3
	v_min_u32_e32 v5, 32, v5
	v_lshlrev_b64 v[2:3], v5, v[2:3]
	v_min_u32_e32 v2, 1, v2
	v_or_b32_e32 v2, v3, v2
	v_cvt_f32_u32_e32 v2, v2
	v_sub_u32_e32 v3, 32, v5
	v_ldexp_f32 v2, v2, v3
	s_branch .LBB47_149
.LBB47_147:
	s_mov_b64 s[14:15], -1
                                        ; implicit-def: $vgpr2
.LBB47_148:
	s_mov_b64 s[6:7], 0
.LBB47_149:
	s_and_b64 vcc, exec, s[6:7]
	s_cbranch_vccz .LBB47_167
; %bb.150:
	s_cmp_lt_i32 s22, 27
	s_cbranch_scc1 .LBB47_153
; %bb.151:
	s_cmp_gt_i32 s22, 27
	s_cbranch_scc0 .LBB47_154
; %bb.152:
	global_load_dword v2, v[0:1], off
	s_mov_b64 s[0:1], 0
	s_waitcnt vmcnt(0)
	v_cvt_f32_u32_e32 v2, v2
	s_branch .LBB47_155
.LBB47_153:
	s_mov_b64 s[0:1], -1
                                        ; implicit-def: $vgpr2
	s_branch .LBB47_158
.LBB47_154:
	s_mov_b64 s[0:1], -1
                                        ; implicit-def: $vgpr2
.LBB47_155:
	s_andn2_b64 vcc, exec, s[0:1]
	s_cbranch_vccnz .LBB47_157
; %bb.156:
	global_load_ushort v2, v[0:1], off
	s_waitcnt vmcnt(0)
	v_cvt_f32_u32_e32 v2, v2
.LBB47_157:
	s_mov_b64 s[0:1], 0
.LBB47_158:
	s_andn2_b64 vcc, exec, s[0:1]
	s_cbranch_vccnz .LBB47_166
; %bb.159:
	global_load_ubyte v3, v[0:1], off
	s_movk_i32 s0, 0x7f
	s_waitcnt vmcnt(0)
	v_cmp_lt_i16_e32 vcc, s0, v3
	s_mov_b64 s[0:1], 0
	s_and_saveexec_b64 s[6:7], vcc
	s_xor_b64 s[6:7], exec, s[6:7]
	s_cbranch_execz .LBB47_179
; %bb.160:
	s_movk_i32 s0, 0x80
	v_cmp_eq_u16_e32 vcc, s0, v3
	s_mov_b64 s[0:1], -1
	s_and_saveexec_b64 s[18:19], vcc
; %bb.161:
	s_xor_b64 s[0:1], exec, -1
; %bb.162:
	s_or_b64 exec, exec, s[18:19]
	s_and_b64 s[0:1], s[0:1], exec
	s_or_saveexec_b64 s[6:7], s[6:7]
	v_mov_b32_e32 v2, 0x7f800001
	s_xor_b64 exec, exec, s[6:7]
	s_cbranch_execnz .LBB47_180
.LBB47_163:
	s_or_b64 exec, exec, s[6:7]
	s_and_saveexec_b64 s[6:7], s[0:1]
	s_cbranch_execz .LBB47_165
.LBB47_164:
	v_lshlrev_b32_e32 v2, 24, v3
	v_and_b32_e32 v3, 0xffff, v3
	v_and_b32_e32 v5, 7, v3
	v_ffbh_u32_e32 v7, v5
	v_min_u32_e32 v7, 32, v7
	v_subrev_u32_e32 v8, 28, v7
	v_bfe_u32 v6, v3, 3, 4
	v_lshlrev_b32_e32 v3, v8, v3
	v_sub_u32_e32 v7, 29, v7
	v_and_b32_e32 v3, 7, v3
	v_cmp_eq_u32_e32 vcc, 0, v6
	v_cndmask_b32_e32 v6, v6, v7, vcc
	v_cndmask_b32_e32 v3, v5, v3, vcc
	v_mov_b32_e32 v5, 0x3b800000
	v_lshlrev_b32_e32 v3, 20, v3
	v_and_b32_e32 v2, 0x80000000, v2
	v_lshl_add_u32 v5, v6, 23, v5
	v_or3_b32 v2, v2, v5, v3
.LBB47_165:
	s_or_b64 exec, exec, s[6:7]
.LBB47_166:
	s_mov_b64 s[0:1], -1
.LBB47_167:
	s_branch .LBB47_202
.LBB47_168:
	s_cmp_gt_i32 s22, 22
	s_cbranch_scc0 .LBB47_178
; %bb.169:
	s_cmp_lt_i32 s22, 24
	s_cbranch_scc1 .LBB47_181
; %bb.170:
	s_cmp_gt_i32 s22, 24
	s_cbranch_scc0 .LBB47_182
; %bb.171:
	global_load_ubyte v3, v[0:1], off
	s_movk_i32 s0, 0x7f
	s_waitcnt vmcnt(0)
	v_cmp_lt_i16_e32 vcc, s0, v3
	s_mov_b64 s[0:1], 0
	s_and_saveexec_b64 s[6:7], vcc
	s_xor_b64 s[6:7], exec, s[6:7]
	s_cbranch_execz .LBB47_194
; %bb.172:
	s_movk_i32 s0, 0x80
	v_cmp_eq_u16_e32 vcc, s0, v3
	s_mov_b64 s[0:1], -1
	s_and_saveexec_b64 s[18:19], vcc
; %bb.173:
	s_xor_b64 s[0:1], exec, -1
; %bb.174:
	s_or_b64 exec, exec, s[18:19]
	s_and_b64 s[0:1], s[0:1], exec
	s_or_saveexec_b64 s[6:7], s[6:7]
	v_mov_b32_e32 v2, 0x7f800001
	s_xor_b64 exec, exec, s[6:7]
	s_cbranch_execnz .LBB47_195
.LBB47_175:
	s_or_b64 exec, exec, s[6:7]
	s_and_saveexec_b64 s[6:7], s[0:1]
	s_cbranch_execz .LBB47_177
.LBB47_176:
	v_lshlrev_b32_e32 v2, 24, v3
	v_and_b32_e32 v3, 0xffff, v3
	v_and_b32_e32 v5, 3, v3
	v_ffbh_u32_e32 v7, v5
	v_min_u32_e32 v7, 32, v7
	v_subrev_u32_e32 v8, 29, v7
	v_bfe_u32 v6, v3, 2, 5
	v_lshlrev_b32_e32 v3, v8, v3
	v_sub_u32_e32 v7, 30, v7
	v_and_b32_e32 v3, 3, v3
	v_cmp_eq_u32_e32 vcc, 0, v6
	v_cndmask_b32_e32 v6, v6, v7, vcc
	v_cndmask_b32_e32 v3, v5, v3, vcc
	v_mov_b32_e32 v5, 0x37800000
	v_lshlrev_b32_e32 v3, 21, v3
	v_and_b32_e32 v2, 0x80000000, v2
	v_lshl_add_u32 v5, v6, 23, v5
	v_or3_b32 v2, v2, v5, v3
.LBB47_177:
	s_or_b64 exec, exec, s[6:7]
	s_mov_b64 s[0:1], 0
	s_branch .LBB47_183
.LBB47_178:
	s_mov_b64 s[6:7], -1
                                        ; implicit-def: $vgpr2
	s_branch .LBB47_189
.LBB47_179:
	s_or_saveexec_b64 s[6:7], s[6:7]
	v_mov_b32_e32 v2, 0x7f800001
	s_xor_b64 exec, exec, s[6:7]
	s_cbranch_execz .LBB47_163
.LBB47_180:
	v_cmp_ne_u16_e32 vcc, 0, v3
	s_andn2_b64 s[0:1], s[0:1], exec
	s_and_b64 s[18:19], vcc, exec
	v_mov_b32_e32 v2, 0
	s_or_b64 s[0:1], s[0:1], s[18:19]
	s_or_b64 exec, exec, s[6:7]
	s_and_saveexec_b64 s[6:7], s[0:1]
	s_cbranch_execnz .LBB47_164
	s_branch .LBB47_165
.LBB47_181:
	s_mov_b64 s[0:1], -1
                                        ; implicit-def: $vgpr2
	s_branch .LBB47_186
.LBB47_182:
	s_mov_b64 s[0:1], -1
                                        ; implicit-def: $vgpr2
.LBB47_183:
	s_and_b64 vcc, exec, s[0:1]
	s_cbranch_vccz .LBB47_185
; %bb.184:
	global_load_ubyte v2, v[0:1], off
	s_mov_b32 s0, 0x7f800000
	s_waitcnt vmcnt(0)
	v_lshlrev_b32_e32 v2, 24, v2
	v_and_b32_e32 v3, 0x7f000000, v2
	v_ffbh_u32_e32 v5, v3
	v_min_u32_e32 v5, 32, v5
	v_sub_u32_e64 v5, v5, 4 clamp
	v_lshlrev_b32_e32 v7, v5, v3
	v_lshlrev_b32_e32 v5, 23, v5
	v_lshrrev_b32_e32 v7, 4, v7
	v_add_u32_e32 v6, 0x1000000, v3
	v_sub_u32_e32 v5, v7, v5
	v_ashrrev_i32_e32 v6, 8, v6
	v_add_u32_e32 v5, 0x3c000000, v5
	v_and_or_b32 v5, v6, s0, v5
	v_cmp_ne_u32_e32 vcc, 0, v3
	v_cndmask_b32_e32 v3, 0, v5, vcc
	s_brev_b32 s0, 1
	v_and_or_b32 v2, v2, s0, v3
.LBB47_185:
	s_mov_b64 s[0:1], 0
.LBB47_186:
	s_andn2_b64 vcc, exec, s[0:1]
	s_cbranch_vccnz .LBB47_188
; %bb.187:
	global_load_ubyte v2, v[0:1], off
	s_movk_i32 s0, 0x7f00
	s_brev_b32 s1, 16
	s_waitcnt vmcnt(0)
	v_lshlrev_b16_e32 v3, 8, v2
	v_lshlrev_b32_e32 v2, 25, v2
	v_lshrrev_b32_e32 v5, 4, v2
	v_and_or_b32 v6, v3, s0, 0.5
	v_or_b32_e32 v5, 0x70000000, v5
	v_add_f32_e32 v6, -0.5, v6
	v_mul_f32_e32 v5, 0x7800000, v5
	v_cmp_gt_u32_e32 vcc, s1, v2
	v_bfe_i32 v3, v3, 0, 16
	v_cndmask_b32_e32 v2, v5, v6, vcc
	s_brev_b32 s0, 1
	v_and_or_b32 v2, v3, s0, v2
.LBB47_188:
	s_mov_b64 s[6:7], 0
	s_mov_b64 s[0:1], -1
.LBB47_189:
	s_andn2_b64 vcc, exec, s[6:7]
	s_cbranch_vccnz .LBB47_202
; %bb.190:
	s_cmp_gt_i32 s22, 14
	s_cbranch_scc0 .LBB47_193
; %bb.191:
	s_cmp_eq_u32 s22, 15
	s_cbranch_scc0 .LBB47_196
; %bb.192:
	global_load_ushort v2, v[0:1], off
	s_mov_b64 s[0:1], -1
	s_mov_b64 s[14:15], 0
	s_waitcnt vmcnt(0)
	v_lshlrev_b32_e32 v2, 16, v2
	s_branch .LBB47_197
.LBB47_193:
	s_mov_b64 s[6:7], -1
                                        ; implicit-def: $vgpr2
	s_branch .LBB47_198
.LBB47_194:
	s_or_saveexec_b64 s[6:7], s[6:7]
	v_mov_b32_e32 v2, 0x7f800001
	s_xor_b64 exec, exec, s[6:7]
	s_cbranch_execz .LBB47_175
.LBB47_195:
	v_cmp_ne_u16_e32 vcc, 0, v3
	s_andn2_b64 s[0:1], s[0:1], exec
	s_and_b64 s[18:19], vcc, exec
	v_mov_b32_e32 v2, 0
	s_or_b64 s[0:1], s[0:1], s[18:19]
	s_or_b64 exec, exec, s[6:7]
	s_and_saveexec_b64 s[6:7], s[0:1]
	s_cbranch_execnz .LBB47_176
	s_branch .LBB47_177
.LBB47_196:
	s_mov_b64 s[14:15], -1
                                        ; implicit-def: $vgpr2
.LBB47_197:
	s_mov_b64 s[6:7], 0
.LBB47_198:
	s_and_b64 vcc, exec, s[6:7]
	s_cbranch_vccz .LBB47_202
; %bb.199:
	s_cmp_eq_u32 s22, 11
	s_cbranch_scc0 .LBB47_201
; %bb.200:
	global_load_ubyte v2, v[0:1], off
	s_mov_b64 s[0:1], -1
	s_mov_b64 s[14:15], 0
	s_waitcnt vmcnt(0)
	v_cmp_ne_u16_e32 vcc, 0, v2
	v_cndmask_b32_e64 v2, 0, 1.0, vcc
	s_branch .LBB47_202
.LBB47_201:
	s_mov_b64 s[14:15], -1
                                        ; implicit-def: $vgpr2
.LBB47_202:
	s_branch .LBB47_10
.LBB47_203:
	s_cmp_lt_i32 s22, 5
	s_cbranch_scc1 .LBB47_208
; %bb.204:
	s_cmp_lt_i32 s22, 8
	s_cbranch_scc1 .LBB47_209
; %bb.205:
	;; [unrolled: 3-line block ×3, first 2 shown]
	s_cmp_gt_i32 s22, 9
	s_cbranch_scc0 .LBB47_211
; %bb.207:
	global_load_dwordx2 v[2:3], v[0:1], off
	s_mov_b64 s[0:1], 0
	s_waitcnt vmcnt(0)
	v_cvt_f32_f64_e32 v2, v[2:3]
	s_branch .LBB47_212
.LBB47_208:
                                        ; implicit-def: $vgpr2
	s_branch .LBB47_230
.LBB47_209:
	s_mov_b64 s[0:1], -1
                                        ; implicit-def: $vgpr2
	s_branch .LBB47_218
.LBB47_210:
	s_mov_b64 s[0:1], -1
                                        ; implicit-def: $vgpr2
	s_branch .LBB47_215
.LBB47_211:
	s_mov_b64 s[0:1], -1
                                        ; implicit-def: $vgpr2
.LBB47_212:
	s_andn2_b64 vcc, exec, s[0:1]
	s_cbranch_vccnz .LBB47_214
; %bb.213:
	global_load_dword v2, v[0:1], off
.LBB47_214:
	s_mov_b64 s[0:1], 0
.LBB47_215:
	s_andn2_b64 vcc, exec, s[0:1]
	s_cbranch_vccnz .LBB47_217
; %bb.216:
	global_load_dword v2, v[0:1], off
	s_waitcnt vmcnt(0)
	v_cvt_f32_f16_e32 v2, v2
.LBB47_217:
	s_mov_b64 s[0:1], 0
.LBB47_218:
	s_andn2_b64 vcc, exec, s[0:1]
	s_cbranch_vccnz .LBB47_229
; %bb.219:
	s_cmp_lt_i32 s22, 6
	s_cbranch_scc1 .LBB47_222
; %bb.220:
	s_cmp_gt_i32 s22, 6
	s_cbranch_scc0 .LBB47_223
; %bb.221:
	global_load_dwordx2 v[2:3], v[0:1], off
	s_mov_b64 s[0:1], 0
	s_waitcnt vmcnt(0)
	v_cvt_f32_f64_e32 v2, v[2:3]
	s_branch .LBB47_224
.LBB47_222:
	s_mov_b64 s[0:1], -1
                                        ; implicit-def: $vgpr2
	s_branch .LBB47_227
.LBB47_223:
	s_mov_b64 s[0:1], -1
                                        ; implicit-def: $vgpr2
.LBB47_224:
	s_andn2_b64 vcc, exec, s[0:1]
	s_cbranch_vccnz .LBB47_226
; %bb.225:
	global_load_dword v2, v[0:1], off
.LBB47_226:
	s_mov_b64 s[0:1], 0
.LBB47_227:
	s_andn2_b64 vcc, exec, s[0:1]
	s_cbranch_vccnz .LBB47_229
; %bb.228:
	global_load_ushort v2, v[0:1], off
	s_waitcnt vmcnt(0)
	v_cvt_f32_f16_e32 v2, v2
.LBB47_229:
	s_cbranch_execnz .LBB47_249
.LBB47_230:
	s_cmp_lt_i32 s22, 2
	s_cbranch_scc1 .LBB47_234
; %bb.231:
	s_cmp_lt_i32 s22, 3
	s_cbranch_scc1 .LBB47_235
; %bb.232:
	s_cmp_gt_i32 s22, 3
	s_cbranch_scc0 .LBB47_236
; %bb.233:
	global_load_dwordx2 v[2:3], v[0:1], off
	s_mov_b64 s[0:1], 0
	s_waitcnt vmcnt(0)
	v_xor_b32_e32 v6, v2, v3
	v_ffbh_i32_e32 v5, v3
	v_ashrrev_i32_e32 v6, 31, v6
	v_add_u32_e32 v5, -1, v5
	v_add_u32_e32 v6, 32, v6
	v_min_u32_e32 v5, v5, v6
	v_lshlrev_b64 v[2:3], v5, v[2:3]
	v_min_u32_e32 v2, 1, v2
	v_or_b32_e32 v2, v3, v2
	v_cvt_f32_i32_e32 v2, v2
	v_sub_u32_e32 v3, 32, v5
	v_ldexp_f32 v2, v2, v3
	s_branch .LBB47_237
.LBB47_234:
	s_mov_b64 s[0:1], -1
                                        ; implicit-def: $vgpr2
	s_branch .LBB47_243
.LBB47_235:
	s_mov_b64 s[0:1], -1
                                        ; implicit-def: $vgpr2
	s_branch .LBB47_240
.LBB47_236:
	s_mov_b64 s[0:1], -1
                                        ; implicit-def: $vgpr2
.LBB47_237:
	s_andn2_b64 vcc, exec, s[0:1]
	s_cbranch_vccnz .LBB47_239
; %bb.238:
	global_load_dword v2, v[0:1], off
	s_waitcnt vmcnt(0)
	v_cvt_f32_i32_e32 v2, v2
.LBB47_239:
	s_mov_b64 s[0:1], 0
.LBB47_240:
	s_andn2_b64 vcc, exec, s[0:1]
	s_cbranch_vccnz .LBB47_242
; %bb.241:
	global_load_sshort v2, v[0:1], off
	s_waitcnt vmcnt(0)
	v_cvt_f32_i32_e32 v2, v2
.LBB47_242:
	s_mov_b64 s[0:1], 0
.LBB47_243:
	s_andn2_b64 vcc, exec, s[0:1]
	s_cbranch_vccnz .LBB47_249
; %bb.244:
	s_cmp_gt_i32 s22, 0
	s_cbranch_scc0 .LBB47_246
; %bb.245:
	global_load_sbyte v2, v[0:1], off
	s_mov_b64 s[0:1], 0
	s_waitcnt vmcnt(0)
	v_cvt_f32_i32_e32 v2, v2
	s_branch .LBB47_247
.LBB47_246:
	s_mov_b64 s[0:1], -1
                                        ; implicit-def: $vgpr2
.LBB47_247:
	s_andn2_b64 vcc, exec, s[0:1]
	s_cbranch_vccnz .LBB47_249
; %bb.248:
	global_load_ubyte v0, v[0:1], off
	s_waitcnt vmcnt(0)
	v_cvt_f32_ubyte0_e32 v2, v0
.LBB47_249:
	s_branch .LBB47_11
.LBB47_250:
	s_mov_b64 s[0:1], 0
                                        ; implicit-def: $vgpr4
	s_mov_b64 s[18:19], 0
.LBB47_251:
	s_and_b64 s[6:7], s[0:1], exec
	s_and_b64 s[14:15], s[14:15], exec
	s_orn2_b64 s[18:19], s[18:19], exec
.LBB47_252:
	s_or_b64 exec, exec, s[16:17]
	s_mov_b64 s[22:23], 0
	s_mov_b64 s[0:1], 0
                                        ; implicit-def: $vgpr0_vgpr1
                                        ; implicit-def: $vgpr3
	s_and_saveexec_b64 s[16:17], s[18:19]
	s_cbranch_execz .LBB47_261
; %bb.253:
	v_cmp_gt_i32_e32 vcc, s38, v4
	s_mov_b64 s[0:1], -1
	s_mov_b64 s[18:19], s[14:15]
	s_mov_b64 s[20:21], s[6:7]
	s_and_saveexec_b64 s[22:23], vcc
	s_cbranch_execz .LBB47_513
; %bb.254:
	v_mul_lo_u32 v0, v4, s3
	v_mov_b32_e32 v1, s11
	s_and_b32 s26, 0xffff, s42
	s_cmp_lt_i32 s26, 11
	s_waitcnt vmcnt(0)
	v_ashrrev_i32_e32 v2, 31, v0
	v_add_co_u32_e32 v0, vcc, s10, v0
	v_addc_co_u32_e32 v1, vcc, v1, v2, vcc
	s_cbranch_scc1 .LBB47_264
; %bb.255:
	s_cmp_gt_i32 s26, 25
	s_cbranch_scc0 .LBB47_273
; %bb.256:
	s_cmp_gt_i32 s26, 28
	s_cbranch_scc0 .LBB47_275
	;; [unrolled: 3-line block ×4, first 2 shown]
; %bb.259:
	s_cmp_eq_u32 s26, 46
	s_mov_b64 s[20:21], 0
	s_cbranch_scc0 .LBB47_285
; %bb.260:
	global_load_dword v2, v[0:1], off
	s_mov_b64 s[18:19], 0
	s_waitcnt vmcnt(0)
	v_lshlrev_b32_e32 v2, 16, v2
	s_branch .LBB47_286
.LBB47_261:
	s_or_b64 exec, exec, s[16:17]
	s_mov_b64 s[16:17], 0
	s_and_saveexec_b64 s[18:19], s[14:15]
	s_cbranch_execnz .LBB47_859
.LBB47_262:
	s_or_b64 exec, exec, s[18:19]
	s_and_saveexec_b64 s[14:15], s[20:21]
	s_xor_b64 s[14:15], exec, s[14:15]
	s_cbranch_execz .LBB47_860
.LBB47_263:
	global_load_ubyte v2, v[0:1], off
	s_or_b64 s[0:1], s[0:1], exec
	s_waitcnt vmcnt(0)
	v_cmp_ne_u16_e32 vcc, 0, v2
	v_cndmask_b32_e64 v3, 0, 1.0, vcc
	s_or_b64 exec, exec, s[14:15]
	s_and_saveexec_b64 s[14:15], s[22:23]
	s_cbranch_execz .LBB47_906
	s_branch .LBB47_861
.LBB47_264:
	s_mov_b64 s[0:1], 0
                                        ; implicit-def: $vgpr2
	s_mov_b64 s[18:19], s[14:15]
	s_cbranch_execnz .LBB47_463
.LBB47_265:
	s_andn2_b64 vcc, exec, s[0:1]
	s_cbranch_vccnz .LBB47_511
.LBB47_266:
	s_waitcnt vmcnt(0)
	v_fma_f32 v0, |v2|, -0.5, 0.5
	v_mul_f32_e32 v1, v2, v2
	v_cmp_ge_f32_e64 vcc, |v2|, 0.5
	v_cndmask_b32_e32 v0, v1, v0, vcc
	v_mov_b32_e32 v1, 0x3c5fc5da
	v_fmac_f32_e32 v1, 0x3d1c21a7, v0
	v_mov_b32_e32 v3, 0x3d034c3c
	v_fmac_f32_e32 v3, v0, v1
	;; [unrolled: 2-line block ×4, first 2 shown]
	v_sqrt_f32_e32 v1, v0
	v_mov_b32_e32 v5, 0x3e2aaaac
	v_fmac_f32_e32 v5, v0, v3
	v_mul_f32_e32 v0, v0, v5
	v_mul_lo_u32 v5, v4, s2
	v_fmac_f32_e32 v1, v1, v0
	v_add_f32_e32 v1, v1, v1
	v_sub_f32_e32 v1, 0x3fc90fdb, v1
	v_fma_f32 v0, |v2|, v0, |v2|
	v_cmp_lt_f32_e64 vcc, |v2|, 0.5
	v_cndmask_b32_e32 v3, v1, v0, vcc
	s_brev_b32 s0, -2
	v_ashrrev_i32_e32 v1, 31, v5
	v_mov_b32_e32 v6, s9
	s_and_b32 s28, s33, 0xff
	v_add_co_u32_e32 v0, vcc, s8, v5
	v_bfi_b32 v2, s0, v3, v2
	s_cmp_lt_i32 s28, 11
	v_addc_co_u32_e32 v1, vcc, v6, v1, vcc
	s_cbranch_scc1 .LBB47_274
; %bb.267:
	s_and_b32 s29, 0xffff, s28
	s_cmp_gt_i32 s29, 25
	s_cbranch_scc0 .LBB47_276
; %bb.268:
	s_cmp_gt_i32 s29, 28
	s_cbranch_scc0 .LBB47_278
; %bb.269:
	;; [unrolled: 3-line block ×4, first 2 shown]
	s_mov_b64 s[24:25], 0
	s_mov_b64 s[0:1], -1
	s_cmp_eq_u32 s29, 46
	s_mov_b64 s[20:21], 0
	s_cbranch_scc0 .LBB47_290
; %bb.272:
	v_bfe_u32 v5, v2, 16, 1
	s_movk_i32 s0, 0x7fff
	v_add3_u32 v5, v2, v5, s0
	v_cmp_o_f32_e32 vcc, v2, v2
	v_mov_b32_e32 v6, 0x7fc0
	v_cndmask_b32_sdwa v5, v6, v5, vcc dst_sel:DWORD dst_unused:UNUSED_PAD src0_sel:DWORD src1_sel:WORD_1
	global_store_dword v[0:1], v5, off
	s_mov_b64 s[20:21], -1
	s_mov_b64 s[0:1], 0
	s_branch .LBB47_290
.LBB47_273:
	s_mov_b64 s[20:21], -1
	s_mov_b64 s[0:1], 0
	s_mov_b64 s[18:19], s[14:15]
                                        ; implicit-def: $vgpr2
	s_branch .LBB47_427
.LBB47_274:
	s_mov_b64 s[24:25], -1
	s_mov_b64 s[20:21], 0
	s_mov_b64 s[0:1], s[6:7]
	s_branch .LBB47_359
.LBB47_275:
	s_mov_b64 s[20:21], -1
	s_mov_b64 s[0:1], 0
	s_mov_b64 s[18:19], s[14:15]
                                        ; implicit-def: $vgpr2
	s_branch .LBB47_408
.LBB47_276:
	s_mov_b64 s[24:25], -1
	s_mov_b64 s[20:21], 0
	s_mov_b64 s[0:1], s[6:7]
	s_branch .LBB47_317
.LBB47_277:
	s_mov_b64 s[20:21], -1
	s_mov_b64 s[0:1], 0
	s_mov_b64 s[18:19], s[14:15]
                                        ; implicit-def: $vgpr2
	s_branch .LBB47_403
.LBB47_278:
	s_mov_b64 s[24:25], -1
	s_mov_b64 s[20:21], 0
	s_mov_b64 s[0:1], s[6:7]
	s_branch .LBB47_300
.LBB47_279:
	s_andn2_saveexec_b64 s[22:23], s[22:23]
	s_cbranch_execz .LBB47_55
.LBB47_280:
	s_mov_b32 s26, 0x46000000
	v_add_f32_e64 v5, |v3|, s26
	v_and_b32_e32 v5, 0xff, v5
	v_cmp_ne_u32_e32 vcc, 0, v5
	s_andn2_b64 s[18:19], s[18:19], exec
	s_and_b64 s[26:27], vcc, exec
	s_or_b64 s[18:19], s[18:19], s[26:27]
	s_or_b64 exec, exec, s[22:23]
	v_mov_b32_e32 v6, 0
	s_and_saveexec_b64 s[22:23], s[18:19]
	s_cbranch_execnz .LBB47_56
	s_branch .LBB47_57
.LBB47_281:
	s_mov_b64 s[20:21], -1
	s_mov_b64 s[0:1], 0
	s_mov_b64 s[18:19], s[14:15]
                                        ; implicit-def: $vgpr2
	s_branch .LBB47_286
.LBB47_282:
	s_mov_b64 s[24:25], -1
	s_mov_b64 s[20:21], 0
	s_mov_b64 s[0:1], s[6:7]
	s_branch .LBB47_296
.LBB47_283:
	s_andn2_saveexec_b64 s[22:23], s[22:23]
	s_cbranch_execz .LBB47_68
.LBB47_284:
	s_mov_b32 s26, 0x42800000
	v_add_f32_e64 v5, |v3|, s26
	v_and_b32_e32 v5, 0xff, v5
	v_cmp_ne_u32_e32 vcc, 0, v5
	s_andn2_b64 s[18:19], s[18:19], exec
	s_and_b64 s[26:27], vcc, exec
	s_or_b64 s[18:19], s[18:19], s[26:27]
	s_or_b64 exec, exec, s[22:23]
	v_mov_b32_e32 v6, 0
	s_and_saveexec_b64 s[22:23], s[18:19]
	s_cbranch_execnz .LBB47_69
	s_branch .LBB47_70
.LBB47_285:
	s_mov_b64 s[18:19], -1
                                        ; implicit-def: $vgpr2
	s_mov_b64 s[0:1], 0
.LBB47_286:
	s_and_b64 vcc, exec, s[20:21]
	s_cbranch_vccz .LBB47_402
; %bb.287:
	s_cmp_eq_u32 s26, 44
	s_cbranch_scc0 .LBB47_401
; %bb.288:
	global_load_ubyte v2, v[0:1], off
	s_movk_i32 s18, 0xff
	v_mov_b32_e32 v3, 0x7f800001
	v_mov_b32_e32 v5, 0x400000
	s_mov_b64 s[0:1], -1
	s_waitcnt vmcnt(0)
	v_lshlrev_b32_e32 v6, 23, v2
	v_cmp_ne_u32_e32 vcc, s18, v2
	v_cndmask_b32_e32 v3, v3, v6, vcc
	v_cmp_ne_u32_e32 vcc, 0, v2
	v_cndmask_b32_e32 v2, v5, v3, vcc
	s_mov_b64 s[18:19], 0
	s_branch .LBB47_402
.LBB47_289:
	s_mov_b64 s[24:25], -1
	s_mov_b64 s[20:21], 0
	s_mov_b64 s[0:1], s[6:7]
.LBB47_290:
	s_and_b64 vcc, exec, s[24:25]
	s_cbranch_vccz .LBB47_295
; %bb.291:
	s_cmp_eq_u32 s29, 44
	s_mov_b64 s[0:1], -1
	s_cbranch_scc0 .LBB47_295
; %bb.292:
	v_bfe_u32 v5, v2, 23, 8
	s_movk_i32 s0, 0xff
	v_cmp_ne_u32_e32 vcc, s0, v5
	v_mov_b32_e32 v6, 0xff
	s_and_saveexec_b64 s[20:21], vcc
; %bb.293:
	s_mov_b32 s0, 0x3fffff
	v_and_b32_e32 v7, 0x400000, v2
	v_and_or_b32 v5, v2, s0, v5
	v_cmp_ne_u32_e32 vcc, 0, v7
	v_cmp_ne_u32_e64 s[0:1], 0, v5
	s_and_b64 s[0:1], vcc, s[0:1]
	v_lshrrev_b32_e32 v6, 23, v2
	v_cndmask_b32_e64 v5, 0, 1, s[0:1]
	v_add_u32_e32 v6, v6, v5
; %bb.294:
	s_or_b64 exec, exec, s[20:21]
	s_mov_b64 s[20:21], -1
	s_mov_b64 s[0:1], 0
	global_store_byte v[0:1], v6, off
.LBB47_295:
	s_mov_b64 s[24:25], 0
.LBB47_296:
	s_and_b64 vcc, exec, s[24:25]
	s_cbranch_vccz .LBB47_299
; %bb.297:
	s_cmp_eq_u32 s29, 29
	s_mov_b64 s[0:1], -1
	s_cbranch_scc0 .LBB47_299
; %bb.298:
	v_trunc_f32_e32 v5, v2
	v_mul_f32_e32 v6, 0x2f800000, v5
	v_floor_f32_e32 v7, v6
	v_fmac_f32_e32 v5, 0xcf800000, v7
	v_cvt_u32_f32_e32 v6, v7
	v_cvt_u32_f32_e32 v5, v5
	s_mov_b64 s[20:21], -1
	s_mov_b64 s[0:1], 0
	s_mov_b64 s[24:25], 0
	global_store_dwordx2 v[0:1], v[5:6], off
	s_branch .LBB47_300
.LBB47_299:
	s_mov_b64 s[24:25], 0
.LBB47_300:
	s_and_b64 vcc, exec, s[24:25]
	s_cbranch_vccz .LBB47_316
; %bb.301:
	s_cmp_lt_i32 s29, 27
	s_mov_b64 s[20:21], -1
	s_cbranch_scc1 .LBB47_307
; %bb.302:
	v_cvt_u32_f32_e32 v5, v2
	s_cmp_gt_i32 s29, 27
	s_cbranch_scc0 .LBB47_304
; %bb.303:
	s_mov_b64 s[20:21], 0
	global_store_dword v[0:1], v5, off
.LBB47_304:
	s_andn2_b64 vcc, exec, s[20:21]
	s_cbranch_vccnz .LBB47_306
; %bb.305:
	global_store_short v[0:1], v5, off
.LBB47_306:
	s_mov_b64 s[20:21], 0
.LBB47_307:
	s_andn2_b64 vcc, exec, s[20:21]
	s_cbranch_vccnz .LBB47_315
; %bb.308:
	v_and_b32_e32 v5, 0x7fffffff, v3
	s_mov_b32 s20, 0x43800000
	v_cmp_gt_u32_e32 vcc, s20, v5
	v_mov_b32_e32 v6, 0x80
	s_and_saveexec_b64 s[20:21], vcc
	s_cbranch_execz .LBB47_314
; %bb.309:
	s_mov_b32 s24, 0x3bffffff
	v_cmp_lt_u32_e32 vcc, s24, v5
	s_mov_b64 s[24:25], 0
                                        ; implicit-def: $vgpr5
	s_and_saveexec_b64 s[26:27], vcc
	s_xor_b64 s[26:27], exec, s[26:27]
	s_cbranch_execz .LBB47_526
; %bb.310:
	v_bfe_u32 v5, v2, 20, 1
	s_mov_b32 s30, 0x487ffff
	v_add3_u32 v5, v2, v5, s30
	s_mov_b64 s[24:25], exec
	v_lshrrev_b32_e32 v5, 20, v5
	s_andn2_saveexec_b64 s[26:27], s[26:27]
	s_cbranch_execnz .LBB47_527
.LBB47_311:
	s_or_b64 exec, exec, s[26:27]
	v_mov_b32_e32 v6, 0
	s_and_saveexec_b64 s[26:27], s[24:25]
.LBB47_312:
	v_lshrrev_b32_e32 v6, 24, v2
	s_movk_i32 s24, 0x80
	v_and_or_b32 v6, v6, s24, v5
.LBB47_313:
	s_or_b64 exec, exec, s[26:27]
.LBB47_314:
	s_or_b64 exec, exec, s[20:21]
	global_store_byte v[0:1], v6, off
.LBB47_315:
	s_mov_b64 s[20:21], -1
.LBB47_316:
	s_mov_b64 s[24:25], 0
.LBB47_317:
	s_and_b64 vcc, exec, s[24:25]
	s_cbranch_vccz .LBB47_358
; %bb.318:
	s_cmp_gt_i32 s29, 22
	s_mov_b64 s[24:25], -1
	s_cbranch_scc0 .LBB47_350
; %bb.319:
	s_cmp_lt_i32 s29, 24
	s_mov_b64 s[20:21], -1
	s_cbranch_scc1 .LBB47_339
; %bb.320:
	s_cmp_gt_i32 s29, 24
	s_cbranch_scc0 .LBB47_328
; %bb.321:
	v_and_b32_e32 v5, 0x7fffffff, v3
	s_mov_b32 s20, 0x47800000
	v_cmp_gt_u32_e32 vcc, s20, v5
	v_mov_b32_e32 v6, 0x80
	s_and_saveexec_b64 s[20:21], vcc
	s_cbranch_execz .LBB47_327
; %bb.322:
	s_mov_b32 s24, 0x37ffffff
	v_cmp_lt_u32_e32 vcc, s24, v5
	s_mov_b64 s[24:25], 0
                                        ; implicit-def: $vgpr5
	s_and_saveexec_b64 s[26:27], vcc
	s_xor_b64 s[26:27], exec, s[26:27]
	s_cbranch_execz .LBB47_529
; %bb.323:
	v_bfe_u32 v5, v2, 21, 1
	s_mov_b32 s30, 0x88fffff
	v_add3_u32 v5, v2, v5, s30
	s_mov_b64 s[24:25], exec
	v_lshrrev_b32_e32 v5, 21, v5
	s_andn2_saveexec_b64 s[26:27], s[26:27]
	s_cbranch_execnz .LBB47_530
.LBB47_324:
	s_or_b64 exec, exec, s[26:27]
	v_mov_b32_e32 v6, 0
	s_and_saveexec_b64 s[26:27], s[24:25]
.LBB47_325:
	v_lshrrev_b32_e32 v6, 24, v2
	s_movk_i32 s24, 0x80
	v_and_or_b32 v6, v6, s24, v5
.LBB47_326:
	s_or_b64 exec, exec, s[26:27]
.LBB47_327:
	s_or_b64 exec, exec, s[20:21]
	s_mov_b64 s[20:21], 0
	global_store_byte v[0:1], v6, off
.LBB47_328:
	s_and_b64 vcc, exec, s[20:21]
	s_cbranch_vccz .LBB47_338
; %bb.329:
	v_and_b32_e32 v6, 0x7fffffff, v3
	s_mov_b32 s20, 0x43f00000
	v_cmp_gt_u32_e32 vcc, s20, v6
                                        ; implicit-def: $vgpr5
	s_and_saveexec_b64 s[20:21], vcc
	s_xor_b64 s[20:21], exec, s[20:21]
	s_cbranch_execz .LBB47_335
; %bb.330:
	s_mov_b32 s24, 0x3c7fffff
	v_cmp_lt_u32_e32 vcc, s24, v6
                                        ; implicit-def: $vgpr5
	s_and_saveexec_b64 s[24:25], vcc
	s_xor_b64 s[24:25], exec, s[24:25]
; %bb.331:
	v_bfe_u32 v5, v2, 20, 1
	s_mov_b32 s26, 0x407ffff
	v_add3_u32 v5, v2, v5, s26
	v_lshrrev_b32_e32 v6, 20, v5
	v_and_b32_e32 v5, 0xff00000, v5
	s_mov_b32 s26, 0x7f00000
	v_mov_b32_e32 v7, 0x7e
	v_cmp_ne_u32_e32 vcc, s26, v5
	v_cndmask_b32_e32 v5, v7, v6, vcc
; %bb.332:
	s_andn2_saveexec_b64 s[24:25], s[24:25]
; %bb.333:
	s_mov_b32 s26, 0x46800000
	v_add_f32_e64 v5, |v3|, s26
; %bb.334:
	s_or_b64 exec, exec, s[24:25]
                                        ; implicit-def: $vgpr6
.LBB47_335:
	s_andn2_saveexec_b64 s[20:21], s[20:21]
; %bb.336:
	s_mov_b32 s24, 0x7f800000
	v_mov_b32_e32 v5, 0x7e
	v_mov_b32_e32 v7, 0x7f
	v_cmp_lt_u32_e32 vcc, s24, v6
	v_cndmask_b32_e32 v5, v5, v7, vcc
; %bb.337:
	s_or_b64 exec, exec, s[20:21]
	v_lshrrev_b32_e32 v6, 24, v2
	s_movk_i32 s20, 0x80
	v_and_or_b32 v5, v6, s20, v5
	global_store_byte v[0:1], v5, off
.LBB47_338:
	s_mov_b64 s[20:21], 0
.LBB47_339:
	s_andn2_b64 vcc, exec, s[20:21]
	s_cbranch_vccnz .LBB47_349
; %bb.340:
	v_and_b32_e32 v6, 0x7fffffff, v3
	s_mov_b32 s20, 0x47800000
	v_cmp_gt_u32_e32 vcc, s20, v6
                                        ; implicit-def: $vgpr5
	s_and_saveexec_b64 s[20:21], vcc
	s_xor_b64 s[20:21], exec, s[20:21]
	s_cbranch_execz .LBB47_346
; %bb.341:
	s_mov_b32 s24, 0x387fffff
	v_cmp_lt_u32_e32 vcc, s24, v6
                                        ; implicit-def: $vgpr5
	s_and_saveexec_b64 s[24:25], vcc
	s_xor_b64 s[24:25], exec, s[24:25]
; %bb.342:
	v_bfe_u32 v3, v2, 21, 1
	s_mov_b32 s26, 0x80fffff
	v_add3_u32 v3, v2, v3, s26
	v_lshrrev_b32_e32 v5, 21, v3
                                        ; implicit-def: $vgpr3
; %bb.343:
	s_andn2_saveexec_b64 s[24:25], s[24:25]
; %bb.344:
	s_mov_b32 s26, 0x43000000
	v_add_f32_e64 v5, |v3|, s26
; %bb.345:
	s_or_b64 exec, exec, s[24:25]
                                        ; implicit-def: $vgpr6
.LBB47_346:
	s_andn2_saveexec_b64 s[20:21], s[20:21]
; %bb.347:
	s_mov_b32 s24, 0x7f800000
	v_mov_b32_e32 v3, 0x7c
	v_mov_b32_e32 v5, 0x7f
	v_cmp_lt_u32_e32 vcc, s24, v6
	v_cndmask_b32_e32 v5, v3, v5, vcc
; %bb.348:
	s_or_b64 exec, exec, s[20:21]
	v_lshrrev_b32_e32 v3, 24, v2
	s_movk_i32 s20, 0x80
	v_and_or_b32 v3, v3, s20, v5
	global_store_byte v[0:1], v3, off
.LBB47_349:
	s_mov_b64 s[24:25], 0
	s_mov_b64 s[20:21], -1
.LBB47_350:
	s_andn2_b64 vcc, exec, s[24:25]
	s_cbranch_vccnz .LBB47_358
; %bb.351:
	s_cmp_gt_i32 s29, 14
	s_mov_b64 s[24:25], -1
	s_cbranch_scc0 .LBB47_355
; %bb.352:
	s_cmp_eq_u32 s29, 15
	s_mov_b64 s[0:1], -1
	s_cbranch_scc0 .LBB47_354
; %bb.353:
	v_bfe_u32 v3, v2, 16, 1
	s_movk_i32 s0, 0x7fff
	v_add3_u32 v3, v2, v3, s0
	v_cmp_o_f32_e32 vcc, v2, v2
	v_mov_b32_e32 v5, 0x7fc0
	v_cndmask_b32_sdwa v3, v5, v3, vcc dst_sel:DWORD dst_unused:UNUSED_PAD src0_sel:DWORD src1_sel:WORD_1
	global_store_short v[0:1], v3, off
	s_mov_b64 s[20:21], -1
	s_mov_b64 s[0:1], 0
.LBB47_354:
	s_mov_b64 s[24:25], 0
.LBB47_355:
	s_and_b64 vcc, exec, s[24:25]
	s_cbranch_vccz .LBB47_358
; %bb.356:
	s_cmp_eq_u32 s29, 11
	s_mov_b64 s[0:1], -1
	s_cbranch_scc0 .LBB47_358
; %bb.357:
	v_cmp_neq_f32_e32 vcc, 0, v2
	v_cndmask_b32_e64 v3, 0, 1, vcc
	s_mov_b64 s[20:21], -1
	s_mov_b64 s[0:1], 0
	global_store_byte v[0:1], v3, off
.LBB47_358:
	s_mov_b64 s[24:25], 0
.LBB47_359:
	s_and_b64 vcc, exec, s[24:25]
	s_cbranch_vccz .LBB47_398
; %bb.360:
	s_and_b32 s24, 0xffff, s28
	s_cmp_lt_i32 s24, 5
	s_mov_b64 s[20:21], -1
	s_cbranch_scc1 .LBB47_381
; %bb.361:
	s_cmp_lt_i32 s24, 8
	s_cbranch_scc1 .LBB47_371
; %bb.362:
	s_cmp_lt_i32 s24, 9
	s_cbranch_scc1 .LBB47_368
; %bb.363:
	s_cmp_gt_i32 s24, 9
	s_cbranch_scc0 .LBB47_365
; %bb.364:
	v_cvt_f64_f32_e32 v[5:6], v2
	v_mov_b32_e32 v7, 0
	v_mov_b32_e32 v8, v7
	s_mov_b64 s[20:21], 0
	global_store_dwordx4 v[0:1], v[5:8], off
.LBB47_365:
	s_andn2_b64 vcc, exec, s[20:21]
	s_cbranch_vccnz .LBB47_367
; %bb.366:
	v_mov_b32_e32 v3, 0
	global_store_dwordx2 v[0:1], v[2:3], off
.LBB47_367:
	s_mov_b64 s[20:21], 0
.LBB47_368:
	s_andn2_b64 vcc, exec, s[20:21]
	s_cbranch_vccnz .LBB47_370
; %bb.369:
	v_cvt_f16_f32_e32 v3, v2
	global_store_dword v[0:1], v3, off
.LBB47_370:
	s_mov_b64 s[20:21], 0
.LBB47_371:
	s_andn2_b64 vcc, exec, s[20:21]
	s_cbranch_vccnz .LBB47_380
; %bb.372:
	s_cmp_lt_i32 s24, 6
	s_mov_b64 s[20:21], -1
	s_cbranch_scc1 .LBB47_378
; %bb.373:
	s_cmp_gt_i32 s24, 6
	s_cbranch_scc0 .LBB47_375
; %bb.374:
	v_cvt_f64_f32_e32 v[5:6], v2
	s_mov_b64 s[20:21], 0
	global_store_dwordx2 v[0:1], v[5:6], off
.LBB47_375:
	s_andn2_b64 vcc, exec, s[20:21]
	s_cbranch_vccnz .LBB47_377
; %bb.376:
	global_store_dword v[0:1], v2, off
.LBB47_377:
	s_mov_b64 s[20:21], 0
.LBB47_378:
	s_andn2_b64 vcc, exec, s[20:21]
	s_cbranch_vccnz .LBB47_380
; %bb.379:
	v_cvt_f16_f32_e32 v3, v2
	global_store_short v[0:1], v3, off
.LBB47_380:
	s_mov_b64 s[20:21], 0
.LBB47_381:
	s_andn2_b64 vcc, exec, s[20:21]
	s_cbranch_vccnz .LBB47_397
; %bb.382:
	s_cmp_lt_i32 s24, 2
	s_mov_b64 s[20:21], -1
	s_cbranch_scc1 .LBB47_392
; %bb.383:
	s_cmp_lt_i32 s24, 3
	s_cbranch_scc1 .LBB47_389
; %bb.384:
	s_cmp_gt_i32 s24, 3
	s_cbranch_scc0 .LBB47_386
; %bb.385:
	v_trunc_f32_e32 v3, v2
	s_mov_b32 s20, 0x2f800000
	v_mul_f32_e64 v5, |v3|, s20
	v_floor_f32_e32 v5, v5
	s_mov_b32 s20, 0xcf800000
	v_cvt_u32_f32_e32 v6, v5
	v_fma_f32 v5, v5, s20, |v3|
	v_cvt_u32_f32_e32 v5, v5
	v_ashrrev_i32_e32 v3, 31, v3
	v_xor_b32_e32 v6, v6, v3
	s_mov_b64 s[20:21], 0
	v_xor_b32_e32 v5, v5, v3
	v_sub_co_u32_e32 v5, vcc, v5, v3
	v_subb_co_u32_e32 v6, vcc, v6, v3, vcc
	global_store_dwordx2 v[0:1], v[5:6], off
.LBB47_386:
	s_andn2_b64 vcc, exec, s[20:21]
	s_cbranch_vccnz .LBB47_388
; %bb.387:
	v_cvt_i32_f32_e32 v3, v2
	global_store_dword v[0:1], v3, off
.LBB47_388:
	s_mov_b64 s[20:21], 0
.LBB47_389:
	s_andn2_b64 vcc, exec, s[20:21]
	s_cbranch_vccnz .LBB47_391
; %bb.390:
	v_cvt_i32_f32_e32 v3, v2
	global_store_short v[0:1], v3, off
.LBB47_391:
	s_mov_b64 s[20:21], 0
.LBB47_392:
	s_andn2_b64 vcc, exec, s[20:21]
	s_cbranch_vccnz .LBB47_397
; %bb.393:
	s_cmp_gt_i32 s24, 0
	s_mov_b64 s[20:21], -1
	s_cbranch_scc0 .LBB47_395
; %bb.394:
	v_cvt_i32_f32_e32 v3, v2
	s_mov_b64 s[20:21], 0
	global_store_byte v[0:1], v3, off
.LBB47_395:
	s_andn2_b64 vcc, exec, s[20:21]
	s_cbranch_vccnz .LBB47_397
; %bb.396:
	v_trunc_f32_e32 v2, v2
	s_mov_b32 s20, 0x2f800000
	v_mul_f32_e64 v3, |v2|, s20
	v_floor_f32_e32 v3, v3
	s_mov_b32 s20, 0xcf800000
	v_fma_f32 v3, v3, s20, |v2|
	v_cvt_u32_f32_e32 v3, v3
	v_ashrrev_i32_e32 v2, 31, v2
	v_xor_b32_e32 v3, v3, v2
	v_sub_u32_e32 v2, v3, v2
	global_store_byte v[0:1], v2, off
.LBB47_397:
	s_mov_b64 s[20:21], -1
.LBB47_398:
	s_andn2_b64 vcc, exec, s[20:21]
	s_cbranch_vccnz .LBB47_400
; %bb.399:
	v_add_u32_e32 v4, 0x80, v4
	s_mov_b64 s[24:25], -1
	s_branch .LBB47_512
.LBB47_400:
	s_mov_b64 s[24:25], 0
                                        ; implicit-def: $vgpr4
	s_branch .LBB47_512
.LBB47_401:
	s_mov_b64 s[18:19], -1
                                        ; implicit-def: $vgpr2
.LBB47_402:
	s_mov_b64 s[20:21], 0
.LBB47_403:
	s_and_b64 vcc, exec, s[20:21]
	s_cbranch_vccz .LBB47_407
; %bb.404:
	s_cmp_eq_u32 s26, 29
	s_cbranch_scc0 .LBB47_406
; %bb.405:
	global_load_dwordx2 v[2:3], v[0:1], off
	s_mov_b64 s[0:1], -1
	s_mov_b64 s[18:19], 0
	s_mov_b64 s[20:21], 0
	s_waitcnt vmcnt(0)
	v_ffbh_u32_e32 v5, v3
	v_min_u32_e32 v5, 32, v5
	v_lshlrev_b64 v[2:3], v5, v[2:3]
	v_min_u32_e32 v2, 1, v2
	v_or_b32_e32 v2, v3, v2
	v_cvt_f32_u32_e32 v2, v2
	v_sub_u32_e32 v3, 32, v5
	v_ldexp_f32 v2, v2, v3
	s_branch .LBB47_408
.LBB47_406:
	s_mov_b64 s[18:19], -1
                                        ; implicit-def: $vgpr2
.LBB47_407:
	s_mov_b64 s[20:21], 0
.LBB47_408:
	s_and_b64 vcc, exec, s[20:21]
	s_cbranch_vccz .LBB47_426
; %bb.409:
	s_cmp_lt_i32 s26, 27
	s_cbranch_scc1 .LBB47_412
; %bb.410:
	s_cmp_gt_i32 s26, 27
	s_cbranch_scc0 .LBB47_413
; %bb.411:
	global_load_dword v2, v[0:1], off
	s_mov_b64 s[0:1], 0
	s_waitcnt vmcnt(0)
	v_cvt_f32_u32_e32 v2, v2
	s_branch .LBB47_414
.LBB47_412:
	s_mov_b64 s[0:1], -1
                                        ; implicit-def: $vgpr2
	s_branch .LBB47_417
.LBB47_413:
	s_mov_b64 s[0:1], -1
                                        ; implicit-def: $vgpr2
.LBB47_414:
	s_andn2_b64 vcc, exec, s[0:1]
	s_cbranch_vccnz .LBB47_416
; %bb.415:
	global_load_ushort v2, v[0:1], off
	s_waitcnt vmcnt(0)
	v_cvt_f32_u32_e32 v2, v2
.LBB47_416:
	s_mov_b64 s[0:1], 0
.LBB47_417:
	s_andn2_b64 vcc, exec, s[0:1]
	s_cbranch_vccnz .LBB47_425
; %bb.418:
	global_load_ubyte v3, v[0:1], off
	s_movk_i32 s0, 0x7f
	s_waitcnt vmcnt(0)
	v_cmp_lt_i16_e32 vcc, s0, v3
	s_mov_b64 s[0:1], 0
	s_and_saveexec_b64 s[20:21], vcc
	s_xor_b64 s[20:21], exec, s[20:21]
	s_cbranch_execz .LBB47_439
; %bb.419:
	s_movk_i32 s0, 0x80
	v_cmp_eq_u16_e32 vcc, s0, v3
	s_mov_b64 s[0:1], -1
	s_and_saveexec_b64 s[24:25], vcc
; %bb.420:
	s_xor_b64 s[0:1], exec, -1
; %bb.421:
	s_or_b64 exec, exec, s[24:25]
	s_and_b64 s[0:1], s[0:1], exec
	s_or_saveexec_b64 s[20:21], s[20:21]
	v_mov_b32_e32 v2, 0x7f800001
	s_xor_b64 exec, exec, s[20:21]
	s_cbranch_execnz .LBB47_440
.LBB47_422:
	s_or_b64 exec, exec, s[20:21]
	s_and_saveexec_b64 s[20:21], s[0:1]
	s_cbranch_execz .LBB47_424
.LBB47_423:
	v_lshlrev_b32_e32 v2, 24, v3
	v_and_b32_e32 v3, 0xffff, v3
	v_and_b32_e32 v5, 7, v3
	v_ffbh_u32_e32 v7, v5
	v_min_u32_e32 v7, 32, v7
	v_subrev_u32_e32 v8, 28, v7
	v_bfe_u32 v6, v3, 3, 4
	v_lshlrev_b32_e32 v3, v8, v3
	v_sub_u32_e32 v7, 29, v7
	v_and_b32_e32 v3, 7, v3
	v_cmp_eq_u32_e32 vcc, 0, v6
	v_cndmask_b32_e32 v6, v6, v7, vcc
	v_cndmask_b32_e32 v3, v5, v3, vcc
	v_mov_b32_e32 v5, 0x3b800000
	v_lshlrev_b32_e32 v3, 20, v3
	v_and_b32_e32 v2, 0x80000000, v2
	v_lshl_add_u32 v5, v6, 23, v5
	v_or3_b32 v2, v2, v5, v3
.LBB47_424:
	s_or_b64 exec, exec, s[20:21]
.LBB47_425:
	s_mov_b64 s[0:1], -1
.LBB47_426:
	s_mov_b64 s[20:21], 0
.LBB47_427:
	s_and_b64 vcc, exec, s[20:21]
	s_cbranch_vccz .LBB47_462
; %bb.428:
	s_cmp_gt_i32 s26, 22
	s_cbranch_scc0 .LBB47_438
; %bb.429:
	s_cmp_lt_i32 s26, 24
	s_cbranch_scc1 .LBB47_441
; %bb.430:
	s_cmp_gt_i32 s26, 24
	s_cbranch_scc0 .LBB47_442
; %bb.431:
	global_load_ubyte v3, v[0:1], off
	s_movk_i32 s0, 0x7f
	s_waitcnt vmcnt(0)
	v_cmp_lt_i16_e32 vcc, s0, v3
	s_mov_b64 s[0:1], 0
	s_and_saveexec_b64 s[20:21], vcc
	s_xor_b64 s[20:21], exec, s[20:21]
	s_cbranch_execz .LBB47_454
; %bb.432:
	s_movk_i32 s0, 0x80
	v_cmp_eq_u16_e32 vcc, s0, v3
	s_mov_b64 s[0:1], -1
	s_and_saveexec_b64 s[24:25], vcc
; %bb.433:
	s_xor_b64 s[0:1], exec, -1
; %bb.434:
	s_or_b64 exec, exec, s[24:25]
	s_and_b64 s[0:1], s[0:1], exec
	s_or_saveexec_b64 s[20:21], s[20:21]
	v_mov_b32_e32 v2, 0x7f800001
	s_xor_b64 exec, exec, s[20:21]
	s_cbranch_execnz .LBB47_455
.LBB47_435:
	s_or_b64 exec, exec, s[20:21]
	s_and_saveexec_b64 s[20:21], s[0:1]
	s_cbranch_execz .LBB47_437
.LBB47_436:
	v_lshlrev_b32_e32 v2, 24, v3
	v_and_b32_e32 v3, 0xffff, v3
	v_and_b32_e32 v5, 3, v3
	v_ffbh_u32_e32 v7, v5
	v_min_u32_e32 v7, 32, v7
	v_subrev_u32_e32 v8, 29, v7
	v_bfe_u32 v6, v3, 2, 5
	v_lshlrev_b32_e32 v3, v8, v3
	v_sub_u32_e32 v7, 30, v7
	v_and_b32_e32 v3, 3, v3
	v_cmp_eq_u32_e32 vcc, 0, v6
	v_cndmask_b32_e32 v6, v6, v7, vcc
	v_cndmask_b32_e32 v3, v5, v3, vcc
	v_mov_b32_e32 v5, 0x37800000
	v_lshlrev_b32_e32 v3, 21, v3
	v_and_b32_e32 v2, 0x80000000, v2
	v_lshl_add_u32 v5, v6, 23, v5
	v_or3_b32 v2, v2, v5, v3
.LBB47_437:
	s_or_b64 exec, exec, s[20:21]
	s_mov_b64 s[0:1], 0
	s_branch .LBB47_443
.LBB47_438:
	s_mov_b64 s[20:21], -1
                                        ; implicit-def: $vgpr2
	s_branch .LBB47_449
.LBB47_439:
	s_or_saveexec_b64 s[20:21], s[20:21]
	v_mov_b32_e32 v2, 0x7f800001
	s_xor_b64 exec, exec, s[20:21]
	s_cbranch_execz .LBB47_422
.LBB47_440:
	v_cmp_ne_u16_e32 vcc, 0, v3
	s_andn2_b64 s[0:1], s[0:1], exec
	s_and_b64 s[24:25], vcc, exec
	v_mov_b32_e32 v2, 0
	s_or_b64 s[0:1], s[0:1], s[24:25]
	s_or_b64 exec, exec, s[20:21]
	s_and_saveexec_b64 s[20:21], s[0:1]
	s_cbranch_execnz .LBB47_423
	s_branch .LBB47_424
.LBB47_441:
	s_mov_b64 s[0:1], -1
                                        ; implicit-def: $vgpr2
	s_branch .LBB47_446
.LBB47_442:
	s_mov_b64 s[0:1], -1
                                        ; implicit-def: $vgpr2
.LBB47_443:
	s_and_b64 vcc, exec, s[0:1]
	s_cbranch_vccz .LBB47_445
; %bb.444:
	global_load_ubyte v2, v[0:1], off
	s_mov_b32 s0, 0x7f800000
	s_waitcnt vmcnt(0)
	v_lshlrev_b32_e32 v2, 24, v2
	v_and_b32_e32 v3, 0x7f000000, v2
	v_ffbh_u32_e32 v5, v3
	v_min_u32_e32 v5, 32, v5
	v_sub_u32_e64 v5, v5, 4 clamp
	v_lshlrev_b32_e32 v7, v5, v3
	v_lshlrev_b32_e32 v5, 23, v5
	v_lshrrev_b32_e32 v7, 4, v7
	v_add_u32_e32 v6, 0x1000000, v3
	v_sub_u32_e32 v5, v7, v5
	v_ashrrev_i32_e32 v6, 8, v6
	v_add_u32_e32 v5, 0x3c000000, v5
	v_and_or_b32 v5, v6, s0, v5
	v_cmp_ne_u32_e32 vcc, 0, v3
	v_cndmask_b32_e32 v3, 0, v5, vcc
	s_brev_b32 s0, 1
	v_and_or_b32 v2, v2, s0, v3
.LBB47_445:
	s_mov_b64 s[0:1], 0
.LBB47_446:
	s_andn2_b64 vcc, exec, s[0:1]
	s_cbranch_vccnz .LBB47_448
; %bb.447:
	global_load_ubyte v2, v[0:1], off
	s_movk_i32 s0, 0x7f00
	s_brev_b32 s1, 16
	s_waitcnt vmcnt(0)
	v_lshlrev_b16_e32 v3, 8, v2
	v_lshlrev_b32_e32 v2, 25, v2
	v_lshrrev_b32_e32 v5, 4, v2
	v_and_or_b32 v6, v3, s0, 0.5
	v_or_b32_e32 v5, 0x70000000, v5
	v_add_f32_e32 v6, -0.5, v6
	v_mul_f32_e32 v5, 0x7800000, v5
	v_cmp_gt_u32_e32 vcc, s1, v2
	v_bfe_i32 v3, v3, 0, 16
	v_cndmask_b32_e32 v2, v5, v6, vcc
	s_brev_b32 s0, 1
	v_and_or_b32 v2, v3, s0, v2
.LBB47_448:
	s_mov_b64 s[20:21], 0
	s_mov_b64 s[0:1], -1
.LBB47_449:
	s_andn2_b64 vcc, exec, s[20:21]
	s_cbranch_vccnz .LBB47_462
; %bb.450:
	s_cmp_gt_i32 s26, 14
	s_cbranch_scc0 .LBB47_453
; %bb.451:
	s_cmp_eq_u32 s26, 15
	s_cbranch_scc0 .LBB47_456
; %bb.452:
	global_load_ushort v2, v[0:1], off
	s_mov_b64 s[0:1], -1
	s_mov_b64 s[18:19], 0
	s_waitcnt vmcnt(0)
	v_lshlrev_b32_e32 v2, 16, v2
	s_branch .LBB47_457
.LBB47_453:
	s_mov_b64 s[20:21], -1
                                        ; implicit-def: $vgpr2
	s_branch .LBB47_458
.LBB47_454:
	s_or_saveexec_b64 s[20:21], s[20:21]
	v_mov_b32_e32 v2, 0x7f800001
	s_xor_b64 exec, exec, s[20:21]
	s_cbranch_execz .LBB47_435
.LBB47_455:
	v_cmp_ne_u16_e32 vcc, 0, v3
	s_andn2_b64 s[0:1], s[0:1], exec
	s_and_b64 s[24:25], vcc, exec
	v_mov_b32_e32 v2, 0
	s_or_b64 s[0:1], s[0:1], s[24:25]
	s_or_b64 exec, exec, s[20:21]
	s_and_saveexec_b64 s[20:21], s[0:1]
	s_cbranch_execnz .LBB47_436
	s_branch .LBB47_437
.LBB47_456:
	s_mov_b64 s[18:19], -1
                                        ; implicit-def: $vgpr2
.LBB47_457:
	s_mov_b64 s[20:21], 0
.LBB47_458:
	s_and_b64 vcc, exec, s[20:21]
	s_cbranch_vccz .LBB47_462
; %bb.459:
	s_cmp_eq_u32 s26, 11
	s_cbranch_scc0 .LBB47_461
; %bb.460:
	global_load_ubyte v2, v[0:1], off
	s_mov_b64 s[0:1], -1
	s_mov_b64 s[18:19], 0
	s_waitcnt vmcnt(0)
	v_cmp_ne_u16_e32 vcc, 0, v2
	v_cndmask_b32_e64 v2, 0, 1.0, vcc
	s_branch .LBB47_462
.LBB47_461:
	s_mov_b64 s[18:19], -1
                                        ; implicit-def: $vgpr2
.LBB47_462:
	s_branch .LBB47_265
.LBB47_463:
	s_cmp_lt_i32 s26, 5
	s_cbranch_scc1 .LBB47_468
; %bb.464:
	s_cmp_lt_i32 s26, 8
	s_cbranch_scc1 .LBB47_469
; %bb.465:
	;; [unrolled: 3-line block ×3, first 2 shown]
	s_cmp_gt_i32 s26, 9
	s_cbranch_scc0 .LBB47_471
; %bb.467:
	global_load_dwordx2 v[2:3], v[0:1], off
	s_mov_b64 s[0:1], 0
	s_waitcnt vmcnt(0)
	v_cvt_f32_f64_e32 v2, v[2:3]
	s_branch .LBB47_472
.LBB47_468:
	s_mov_b64 s[0:1], -1
                                        ; implicit-def: $vgpr2
	s_branch .LBB47_490
.LBB47_469:
	s_mov_b64 s[0:1], -1
                                        ; implicit-def: $vgpr2
	s_branch .LBB47_478
.LBB47_470:
	s_mov_b64 s[0:1], -1
                                        ; implicit-def: $vgpr2
	s_branch .LBB47_475
.LBB47_471:
	s_mov_b64 s[0:1], -1
                                        ; implicit-def: $vgpr2
.LBB47_472:
	s_andn2_b64 vcc, exec, s[0:1]
	s_cbranch_vccnz .LBB47_474
; %bb.473:
	global_load_dword v2, v[0:1], off
.LBB47_474:
	s_mov_b64 s[0:1], 0
.LBB47_475:
	s_andn2_b64 vcc, exec, s[0:1]
	s_cbranch_vccnz .LBB47_477
; %bb.476:
	global_load_dword v2, v[0:1], off
	s_waitcnt vmcnt(0)
	v_cvt_f32_f16_e32 v2, v2
.LBB47_477:
	s_mov_b64 s[0:1], 0
.LBB47_478:
	s_andn2_b64 vcc, exec, s[0:1]
	s_cbranch_vccnz .LBB47_489
; %bb.479:
	s_cmp_lt_i32 s26, 6
	s_cbranch_scc1 .LBB47_482
; %bb.480:
	s_cmp_gt_i32 s26, 6
	s_cbranch_scc0 .LBB47_483
; %bb.481:
	global_load_dwordx2 v[2:3], v[0:1], off
	s_mov_b64 s[0:1], 0
	s_waitcnt vmcnt(0)
	v_cvt_f32_f64_e32 v2, v[2:3]
	s_branch .LBB47_484
.LBB47_482:
	s_mov_b64 s[0:1], -1
                                        ; implicit-def: $vgpr2
	s_branch .LBB47_487
.LBB47_483:
	s_mov_b64 s[0:1], -1
                                        ; implicit-def: $vgpr2
.LBB47_484:
	s_andn2_b64 vcc, exec, s[0:1]
	s_cbranch_vccnz .LBB47_486
; %bb.485:
	global_load_dword v2, v[0:1], off
.LBB47_486:
	s_mov_b64 s[0:1], 0
.LBB47_487:
	s_andn2_b64 vcc, exec, s[0:1]
	s_cbranch_vccnz .LBB47_489
; %bb.488:
	global_load_ushort v2, v[0:1], off
	s_waitcnt vmcnt(0)
	v_cvt_f32_f16_e32 v2, v2
.LBB47_489:
	s_mov_b64 s[0:1], 0
.LBB47_490:
	s_andn2_b64 vcc, exec, s[0:1]
	s_cbranch_vccnz .LBB47_510
; %bb.491:
	s_cmp_lt_i32 s26, 2
	s_cbranch_scc1 .LBB47_495
; %bb.492:
	s_cmp_lt_i32 s26, 3
	s_cbranch_scc1 .LBB47_496
; %bb.493:
	s_cmp_gt_i32 s26, 3
	s_cbranch_scc0 .LBB47_497
; %bb.494:
	global_load_dwordx2 v[2:3], v[0:1], off
	s_mov_b64 s[0:1], 0
	s_waitcnt vmcnt(0)
	v_xor_b32_e32 v6, v2, v3
	v_ffbh_i32_e32 v5, v3
	v_ashrrev_i32_e32 v6, 31, v6
	v_add_u32_e32 v5, -1, v5
	v_add_u32_e32 v6, 32, v6
	v_min_u32_e32 v5, v5, v6
	v_lshlrev_b64 v[2:3], v5, v[2:3]
	v_min_u32_e32 v2, 1, v2
	v_or_b32_e32 v2, v3, v2
	v_cvt_f32_i32_e32 v2, v2
	v_sub_u32_e32 v3, 32, v5
	v_ldexp_f32 v2, v2, v3
	s_branch .LBB47_498
.LBB47_495:
	s_mov_b64 s[0:1], -1
                                        ; implicit-def: $vgpr2
	s_branch .LBB47_504
.LBB47_496:
	s_mov_b64 s[0:1], -1
                                        ; implicit-def: $vgpr2
	s_branch .LBB47_501
.LBB47_497:
	s_mov_b64 s[0:1], -1
                                        ; implicit-def: $vgpr2
.LBB47_498:
	s_andn2_b64 vcc, exec, s[0:1]
	s_cbranch_vccnz .LBB47_500
; %bb.499:
	global_load_dword v2, v[0:1], off
	s_waitcnt vmcnt(0)
	v_cvt_f32_i32_e32 v2, v2
.LBB47_500:
	s_mov_b64 s[0:1], 0
.LBB47_501:
	s_andn2_b64 vcc, exec, s[0:1]
	s_cbranch_vccnz .LBB47_503
; %bb.502:
	global_load_sshort v2, v[0:1], off
	s_waitcnt vmcnt(0)
	v_cvt_f32_i32_e32 v2, v2
.LBB47_503:
	s_mov_b64 s[0:1], 0
.LBB47_504:
	s_andn2_b64 vcc, exec, s[0:1]
	s_cbranch_vccnz .LBB47_510
; %bb.505:
	s_cmp_gt_i32 s26, 0
	s_cbranch_scc0 .LBB47_507
; %bb.506:
	global_load_sbyte v2, v[0:1], off
	s_mov_b64 s[0:1], 0
	s_waitcnt vmcnt(0)
	v_cvt_f32_i32_e32 v2, v2
	s_branch .LBB47_508
.LBB47_507:
	s_mov_b64 s[0:1], -1
                                        ; implicit-def: $vgpr2
.LBB47_508:
	s_andn2_b64 vcc, exec, s[0:1]
	s_cbranch_vccnz .LBB47_510
; %bb.509:
	global_load_ubyte v0, v[0:1], off
	s_waitcnt vmcnt(0)
	v_cvt_f32_ubyte0_e32 v2, v0
.LBB47_510:
	s_branch .LBB47_266
.LBB47_511:
	s_mov_b64 s[24:25], 0
                                        ; implicit-def: $vgpr4
	s_mov_b64 s[0:1], s[6:7]
.LBB47_512:
	s_andn2_b64 s[20:21], s[6:7], exec
	s_and_b64 s[0:1], s[0:1], exec
	s_or_b64 s[20:21], s[20:21], s[0:1]
	s_andn2_b64 s[0:1], s[14:15], exec
	s_and_b64 s[18:19], s[18:19], exec
	s_or_b64 s[18:19], s[0:1], s[18:19]
	s_orn2_b64 s[0:1], s[24:25], exec
.LBB47_513:
	s_or_b64 exec, exec, s[22:23]
	s_mov_b64 s[24:25], 0
	s_mov_b64 s[26:27], 0
	;; [unrolled: 1-line block ×3, first 2 shown]
                                        ; implicit-def: $vgpr0_vgpr1
                                        ; implicit-def: $vgpr3
	s_and_saveexec_b64 s[22:23], s[0:1]
	s_cbranch_execz .LBB47_858
; %bb.514:
	v_cmp_gt_i32_e32 vcc, s38, v4
	s_mov_b64 s[34:35], -1
	s_mov_b64 s[0:1], s[18:19]
	s_mov_b64 s[28:29], s[20:21]
	s_and_saveexec_b64 s[24:25], vcc
	s_cbranch_execz .LBB47_772
; %bb.515:
	v_mul_lo_u32 v0, v4, s3
	v_mov_b32_e32 v1, s11
	s_and_b32 s34, 0xffff, s42
	s_cmp_lt_i32 s34, 11
	s_waitcnt vmcnt(0)
	v_ashrrev_i32_e32 v2, 31, v0
	v_add_co_u32_e32 v0, vcc, s10, v0
	v_addc_co_u32_e32 v1, vcc, v1, v2, vcc
	s_cbranch_scc1 .LBB47_522
; %bb.516:
	s_cmp_gt_i32 s34, 25
	s_cbranch_scc0 .LBB47_523
; %bb.517:
	s_cmp_gt_i32 s34, 28
	s_cbranch_scc0 .LBB47_524
	;; [unrolled: 3-line block ×4, first 2 shown]
; %bb.520:
	s_cmp_eq_u32 s34, 46
	s_mov_b64 s[28:29], 0
	s_cbranch_scc0 .LBB47_531
; %bb.521:
	global_load_dword v2, v[0:1], off
	s_mov_b64 s[0:1], -1
	s_waitcnt vmcnt(0)
	v_lshlrev_b32_e32 v2, 16, v2
	s_branch .LBB47_532
.LBB47_522:
	s_mov_b64 s[28:29], -1
	s_mov_b64 s[0:1], 0
                                        ; implicit-def: $vgpr2
	s_mov_b64 s[26:27], s[18:19]
	s_branch .LBB47_597
.LBB47_523:
	s_mov_b64 s[28:29], -1
	s_mov_b64 s[0:1], 0
	s_mov_b64 s[26:27], s[18:19]
                                        ; implicit-def: $vgpr2
	s_branch .LBB47_561
.LBB47_524:
	s_mov_b64 s[28:29], -1
	s_mov_b64 s[0:1], 0
	s_mov_b64 s[26:27], s[18:19]
                                        ; implicit-def: $vgpr2
	s_branch .LBB47_542
.LBB47_525:
	s_mov_b64 s[28:29], -1
	s_mov_b64 s[0:1], 0
	s_mov_b64 s[26:27], s[18:19]
                                        ; implicit-def: $vgpr2
	s_branch .LBB47_537
.LBB47_526:
	s_andn2_saveexec_b64 s[26:27], s[26:27]
	s_cbranch_execz .LBB47_311
.LBB47_527:
	s_mov_b32 s30, 0x46000000
	v_add_f32_e64 v5, |v3|, s30
	v_and_b32_e32 v5, 0xff, v5
	v_cmp_ne_u32_e32 vcc, 0, v5
	s_andn2_b64 s[24:25], s[24:25], exec
	s_and_b64 s[30:31], vcc, exec
	s_or_b64 s[24:25], s[24:25], s[30:31]
	s_or_b64 exec, exec, s[26:27]
	v_mov_b32_e32 v6, 0
	s_and_saveexec_b64 s[26:27], s[24:25]
	s_cbranch_execnz .LBB47_312
	s_branch .LBB47_313
.LBB47_528:
	s_mov_b64 s[28:29], -1
	s_mov_b64 s[0:1], 0
	s_mov_b64 s[26:27], s[18:19]
                                        ; implicit-def: $vgpr2
	s_branch .LBB47_532
.LBB47_529:
	s_andn2_saveexec_b64 s[26:27], s[26:27]
	s_cbranch_execz .LBB47_324
.LBB47_530:
	s_mov_b32 s30, 0x42800000
	v_add_f32_e64 v5, |v3|, s30
	v_and_b32_e32 v5, 0xff, v5
	v_cmp_ne_u32_e32 vcc, 0, v5
	s_andn2_b64 s[24:25], s[24:25], exec
	s_and_b64 s[30:31], vcc, exec
	s_or_b64 s[24:25], s[24:25], s[30:31]
	s_or_b64 exec, exec, s[26:27]
	v_mov_b32_e32 v6, 0
	s_and_saveexec_b64 s[26:27], s[24:25]
	s_cbranch_execnz .LBB47_325
	s_branch .LBB47_326
.LBB47_531:
	s_mov_b64 s[26:27], -1
                                        ; implicit-def: $vgpr2
	s_mov_b64 s[0:1], 0
.LBB47_532:
	s_and_b64 vcc, exec, s[28:29]
	s_cbranch_vccz .LBB47_536
; %bb.533:
	s_cmp_eq_u32 s34, 44
	s_cbranch_scc0 .LBB47_535
; %bb.534:
	global_load_ubyte v2, v[0:1], off
	s_movk_i32 s26, 0xff
	v_mov_b32_e32 v3, 0x7f800001
	v_mov_b32_e32 v5, 0x400000
	s_mov_b64 s[0:1], -1
	s_waitcnt vmcnt(0)
	v_lshlrev_b32_e32 v6, 23, v2
	v_cmp_ne_u32_e32 vcc, s26, v2
	v_cndmask_b32_e32 v3, v3, v6, vcc
	v_cmp_ne_u32_e32 vcc, 0, v2
	v_cndmask_b32_e32 v2, v5, v3, vcc
	s_mov_b64 s[26:27], 0
	s_branch .LBB47_536
.LBB47_535:
	s_mov_b64 s[26:27], -1
                                        ; implicit-def: $vgpr2
.LBB47_536:
	s_mov_b64 s[28:29], 0
.LBB47_537:
	s_and_b64 vcc, exec, s[28:29]
	s_cbranch_vccz .LBB47_541
; %bb.538:
	s_cmp_eq_u32 s34, 29
	s_cbranch_scc0 .LBB47_540
; %bb.539:
	global_load_dwordx2 v[2:3], v[0:1], off
	s_mov_b64 s[0:1], -1
	s_mov_b64 s[26:27], 0
	s_mov_b64 s[28:29], 0
	s_waitcnt vmcnt(0)
	v_ffbh_u32_e32 v5, v3
	v_min_u32_e32 v5, 32, v5
	v_lshlrev_b64 v[2:3], v5, v[2:3]
	v_min_u32_e32 v2, 1, v2
	v_or_b32_e32 v2, v3, v2
	v_cvt_f32_u32_e32 v2, v2
	v_sub_u32_e32 v3, 32, v5
	v_ldexp_f32 v2, v2, v3
	s_branch .LBB47_542
.LBB47_540:
	s_mov_b64 s[26:27], -1
                                        ; implicit-def: $vgpr2
.LBB47_541:
	s_mov_b64 s[28:29], 0
.LBB47_542:
	s_and_b64 vcc, exec, s[28:29]
	s_cbranch_vccz .LBB47_560
; %bb.543:
	s_cmp_lt_i32 s34, 27
	s_cbranch_scc1 .LBB47_546
; %bb.544:
	s_cmp_gt_i32 s34, 27
	s_cbranch_scc0 .LBB47_547
; %bb.545:
	global_load_dword v2, v[0:1], off
	s_mov_b64 s[0:1], 0
	s_waitcnt vmcnt(0)
	v_cvt_f32_u32_e32 v2, v2
	s_branch .LBB47_548
.LBB47_546:
	s_mov_b64 s[0:1], -1
                                        ; implicit-def: $vgpr2
	s_branch .LBB47_551
.LBB47_547:
	s_mov_b64 s[0:1], -1
                                        ; implicit-def: $vgpr2
.LBB47_548:
	s_andn2_b64 vcc, exec, s[0:1]
	s_cbranch_vccnz .LBB47_550
; %bb.549:
	global_load_ushort v2, v[0:1], off
	s_waitcnt vmcnt(0)
	v_cvt_f32_u32_e32 v2, v2
.LBB47_550:
	s_mov_b64 s[0:1], 0
.LBB47_551:
	s_andn2_b64 vcc, exec, s[0:1]
	s_cbranch_vccnz .LBB47_559
; %bb.552:
	global_load_ubyte v3, v[0:1], off
	s_movk_i32 s0, 0x7f
	s_waitcnt vmcnt(0)
	v_cmp_lt_i16_e32 vcc, s0, v3
	s_mov_b64 s[0:1], 0
	s_and_saveexec_b64 s[28:29], vcc
	s_xor_b64 s[28:29], exec, s[28:29]
	s_cbranch_execz .LBB47_573
; %bb.553:
	s_movk_i32 s0, 0x80
	v_cmp_eq_u16_e32 vcc, s0, v3
	s_mov_b64 s[0:1], -1
	s_and_saveexec_b64 s[30:31], vcc
; %bb.554:
	s_xor_b64 s[0:1], exec, -1
; %bb.555:
	s_or_b64 exec, exec, s[30:31]
	s_and_b64 s[0:1], s[0:1], exec
	s_or_saveexec_b64 s[28:29], s[28:29]
	v_mov_b32_e32 v2, 0x7f800001
	s_xor_b64 exec, exec, s[28:29]
	s_cbranch_execnz .LBB47_574
.LBB47_556:
	s_or_b64 exec, exec, s[28:29]
	s_and_saveexec_b64 s[28:29], s[0:1]
	s_cbranch_execz .LBB47_558
.LBB47_557:
	v_lshlrev_b32_e32 v2, 24, v3
	v_and_b32_e32 v3, 0xffff, v3
	v_and_b32_e32 v5, 7, v3
	v_ffbh_u32_e32 v7, v5
	v_min_u32_e32 v7, 32, v7
	v_subrev_u32_e32 v8, 28, v7
	v_bfe_u32 v6, v3, 3, 4
	v_lshlrev_b32_e32 v3, v8, v3
	v_sub_u32_e32 v7, 29, v7
	v_and_b32_e32 v3, 7, v3
	v_cmp_eq_u32_e32 vcc, 0, v6
	v_cndmask_b32_e32 v6, v6, v7, vcc
	v_cndmask_b32_e32 v3, v5, v3, vcc
	v_mov_b32_e32 v5, 0x3b800000
	v_lshlrev_b32_e32 v3, 20, v3
	v_and_b32_e32 v2, 0x80000000, v2
	v_lshl_add_u32 v5, v6, 23, v5
	v_or3_b32 v2, v2, v5, v3
.LBB47_558:
	s_or_b64 exec, exec, s[28:29]
.LBB47_559:
	s_mov_b64 s[0:1], -1
.LBB47_560:
	s_mov_b64 s[28:29], 0
.LBB47_561:
	s_and_b64 vcc, exec, s[28:29]
	s_cbranch_vccz .LBB47_596
; %bb.562:
	s_cmp_gt_i32 s34, 22
	s_cbranch_scc0 .LBB47_572
; %bb.563:
	s_cmp_lt_i32 s34, 24
	s_cbranch_scc1 .LBB47_575
; %bb.564:
	s_cmp_gt_i32 s34, 24
	s_cbranch_scc0 .LBB47_576
; %bb.565:
	global_load_ubyte v3, v[0:1], off
	s_movk_i32 s0, 0x7f
	s_waitcnt vmcnt(0)
	v_cmp_lt_i16_e32 vcc, s0, v3
	s_mov_b64 s[0:1], 0
	s_and_saveexec_b64 s[28:29], vcc
	s_xor_b64 s[28:29], exec, s[28:29]
	s_cbranch_execz .LBB47_588
; %bb.566:
	s_movk_i32 s0, 0x80
	v_cmp_eq_u16_e32 vcc, s0, v3
	s_mov_b64 s[0:1], -1
	s_and_saveexec_b64 s[30:31], vcc
; %bb.567:
	s_xor_b64 s[0:1], exec, -1
; %bb.568:
	s_or_b64 exec, exec, s[30:31]
	s_and_b64 s[0:1], s[0:1], exec
	s_or_saveexec_b64 s[28:29], s[28:29]
	v_mov_b32_e32 v2, 0x7f800001
	s_xor_b64 exec, exec, s[28:29]
	s_cbranch_execnz .LBB47_589
.LBB47_569:
	s_or_b64 exec, exec, s[28:29]
	s_and_saveexec_b64 s[28:29], s[0:1]
	s_cbranch_execz .LBB47_571
.LBB47_570:
	v_lshlrev_b32_e32 v2, 24, v3
	v_and_b32_e32 v3, 0xffff, v3
	v_and_b32_e32 v5, 3, v3
	v_ffbh_u32_e32 v7, v5
	v_min_u32_e32 v7, 32, v7
	v_subrev_u32_e32 v8, 29, v7
	v_bfe_u32 v6, v3, 2, 5
	v_lshlrev_b32_e32 v3, v8, v3
	v_sub_u32_e32 v7, 30, v7
	v_and_b32_e32 v3, 3, v3
	v_cmp_eq_u32_e32 vcc, 0, v6
	v_cndmask_b32_e32 v6, v6, v7, vcc
	v_cndmask_b32_e32 v3, v5, v3, vcc
	v_mov_b32_e32 v5, 0x37800000
	v_lshlrev_b32_e32 v3, 21, v3
	v_and_b32_e32 v2, 0x80000000, v2
	v_lshl_add_u32 v5, v6, 23, v5
	v_or3_b32 v2, v2, v5, v3
.LBB47_571:
	s_or_b64 exec, exec, s[28:29]
	s_mov_b64 s[0:1], 0
	s_branch .LBB47_577
.LBB47_572:
	s_mov_b64 s[28:29], -1
                                        ; implicit-def: $vgpr2
	s_branch .LBB47_583
.LBB47_573:
	s_or_saveexec_b64 s[28:29], s[28:29]
	v_mov_b32_e32 v2, 0x7f800001
	s_xor_b64 exec, exec, s[28:29]
	s_cbranch_execz .LBB47_556
.LBB47_574:
	v_cmp_ne_u16_e32 vcc, 0, v3
	s_andn2_b64 s[0:1], s[0:1], exec
	s_and_b64 s[30:31], vcc, exec
	v_mov_b32_e32 v2, 0
	s_or_b64 s[0:1], s[0:1], s[30:31]
	s_or_b64 exec, exec, s[28:29]
	s_and_saveexec_b64 s[28:29], s[0:1]
	s_cbranch_execnz .LBB47_557
	s_branch .LBB47_558
.LBB47_575:
	s_mov_b64 s[0:1], -1
                                        ; implicit-def: $vgpr2
	s_branch .LBB47_580
.LBB47_576:
	s_mov_b64 s[0:1], -1
                                        ; implicit-def: $vgpr2
.LBB47_577:
	s_and_b64 vcc, exec, s[0:1]
	s_cbranch_vccz .LBB47_579
; %bb.578:
	global_load_ubyte v2, v[0:1], off
	s_mov_b32 s0, 0x7f800000
	s_waitcnt vmcnt(0)
	v_lshlrev_b32_e32 v2, 24, v2
	v_and_b32_e32 v3, 0x7f000000, v2
	v_ffbh_u32_e32 v5, v3
	v_min_u32_e32 v5, 32, v5
	v_sub_u32_e64 v5, v5, 4 clamp
	v_lshlrev_b32_e32 v7, v5, v3
	v_lshlrev_b32_e32 v5, 23, v5
	v_lshrrev_b32_e32 v7, 4, v7
	v_add_u32_e32 v6, 0x1000000, v3
	v_sub_u32_e32 v5, v7, v5
	v_ashrrev_i32_e32 v6, 8, v6
	v_add_u32_e32 v5, 0x3c000000, v5
	v_and_or_b32 v5, v6, s0, v5
	v_cmp_ne_u32_e32 vcc, 0, v3
	v_cndmask_b32_e32 v3, 0, v5, vcc
	s_brev_b32 s0, 1
	v_and_or_b32 v2, v2, s0, v3
.LBB47_579:
	s_mov_b64 s[0:1], 0
.LBB47_580:
	s_andn2_b64 vcc, exec, s[0:1]
	s_cbranch_vccnz .LBB47_582
; %bb.581:
	global_load_ubyte v2, v[0:1], off
	s_movk_i32 s0, 0x7f00
	s_brev_b32 s1, 16
	s_waitcnt vmcnt(0)
	v_lshlrev_b16_e32 v3, 8, v2
	v_lshlrev_b32_e32 v2, 25, v2
	v_lshrrev_b32_e32 v5, 4, v2
	v_and_or_b32 v6, v3, s0, 0.5
	v_or_b32_e32 v5, 0x70000000, v5
	v_add_f32_e32 v6, -0.5, v6
	v_mul_f32_e32 v5, 0x7800000, v5
	v_cmp_gt_u32_e32 vcc, s1, v2
	v_bfe_i32 v3, v3, 0, 16
	v_cndmask_b32_e32 v2, v5, v6, vcc
	s_brev_b32 s0, 1
	v_and_or_b32 v2, v3, s0, v2
.LBB47_582:
	s_mov_b64 s[28:29], 0
	s_mov_b64 s[0:1], -1
.LBB47_583:
	s_andn2_b64 vcc, exec, s[28:29]
	s_cbranch_vccnz .LBB47_596
; %bb.584:
	s_cmp_gt_i32 s34, 14
	s_cbranch_scc0 .LBB47_587
; %bb.585:
	s_cmp_eq_u32 s34, 15
	s_cbranch_scc0 .LBB47_590
; %bb.586:
	global_load_ushort v2, v[0:1], off
	s_mov_b64 s[0:1], -1
	s_mov_b64 s[26:27], 0
	s_waitcnt vmcnt(0)
	v_lshlrev_b32_e32 v2, 16, v2
	s_branch .LBB47_591
.LBB47_587:
	s_mov_b64 s[28:29], -1
                                        ; implicit-def: $vgpr2
	s_branch .LBB47_592
.LBB47_588:
	s_or_saveexec_b64 s[28:29], s[28:29]
	v_mov_b32_e32 v2, 0x7f800001
	s_xor_b64 exec, exec, s[28:29]
	s_cbranch_execz .LBB47_569
.LBB47_589:
	v_cmp_ne_u16_e32 vcc, 0, v3
	s_andn2_b64 s[0:1], s[0:1], exec
	s_and_b64 s[30:31], vcc, exec
	v_mov_b32_e32 v2, 0
	s_or_b64 s[0:1], s[0:1], s[30:31]
	s_or_b64 exec, exec, s[28:29]
	s_and_saveexec_b64 s[28:29], s[0:1]
	s_cbranch_execnz .LBB47_570
	s_branch .LBB47_571
.LBB47_590:
	s_mov_b64 s[26:27], -1
                                        ; implicit-def: $vgpr2
.LBB47_591:
	s_mov_b64 s[28:29], 0
.LBB47_592:
	s_and_b64 vcc, exec, s[28:29]
	s_cbranch_vccz .LBB47_596
; %bb.593:
	s_cmp_eq_u32 s34, 11
	s_cbranch_scc0 .LBB47_595
; %bb.594:
	global_load_ubyte v2, v[0:1], off
	s_mov_b64 s[0:1], -1
	s_mov_b64 s[26:27], 0
	s_waitcnt vmcnt(0)
	v_cmp_ne_u16_e32 vcc, 0, v2
	v_cndmask_b32_e64 v2, 0, 1.0, vcc
	s_branch .LBB47_596
.LBB47_595:
	s_mov_b64 s[26:27], -1
                                        ; implicit-def: $vgpr2
.LBB47_596:
	s_mov_b64 s[28:29], 0
.LBB47_597:
	s_and_b64 vcc, exec, s[28:29]
	s_cbranch_vccz .LBB47_646
; %bb.598:
	s_cmp_lt_i32 s34, 5
	s_cbranch_scc1 .LBB47_603
; %bb.599:
	s_cmp_lt_i32 s34, 8
	s_cbranch_scc1 .LBB47_604
	;; [unrolled: 3-line block ×3, first 2 shown]
; %bb.601:
	s_cmp_gt_i32 s34, 9
	s_cbranch_scc0 .LBB47_606
; %bb.602:
	global_load_dwordx2 v[2:3], v[0:1], off
	s_mov_b64 s[0:1], 0
	s_waitcnt vmcnt(0)
	v_cvt_f32_f64_e32 v2, v[2:3]
	s_branch .LBB47_607
.LBB47_603:
	s_mov_b64 s[0:1], -1
                                        ; implicit-def: $vgpr2
	s_branch .LBB47_625
.LBB47_604:
	s_mov_b64 s[0:1], -1
                                        ; implicit-def: $vgpr2
	s_branch .LBB47_613
.LBB47_605:
	s_mov_b64 s[0:1], -1
                                        ; implicit-def: $vgpr2
	s_branch .LBB47_610
.LBB47_606:
	s_mov_b64 s[0:1], -1
                                        ; implicit-def: $vgpr2
.LBB47_607:
	s_andn2_b64 vcc, exec, s[0:1]
	s_cbranch_vccnz .LBB47_609
; %bb.608:
	global_load_dword v2, v[0:1], off
.LBB47_609:
	s_mov_b64 s[0:1], 0
.LBB47_610:
	s_andn2_b64 vcc, exec, s[0:1]
	s_cbranch_vccnz .LBB47_612
; %bb.611:
	global_load_dword v2, v[0:1], off
	s_waitcnt vmcnt(0)
	v_cvt_f32_f16_e32 v2, v2
.LBB47_612:
	s_mov_b64 s[0:1], 0
.LBB47_613:
	s_andn2_b64 vcc, exec, s[0:1]
	s_cbranch_vccnz .LBB47_624
; %bb.614:
	s_cmp_lt_i32 s34, 6
	s_cbranch_scc1 .LBB47_617
; %bb.615:
	s_cmp_gt_i32 s34, 6
	s_cbranch_scc0 .LBB47_618
; %bb.616:
	global_load_dwordx2 v[2:3], v[0:1], off
	s_mov_b64 s[0:1], 0
	s_waitcnt vmcnt(0)
	v_cvt_f32_f64_e32 v2, v[2:3]
	s_branch .LBB47_619
.LBB47_617:
	s_mov_b64 s[0:1], -1
                                        ; implicit-def: $vgpr2
	s_branch .LBB47_622
.LBB47_618:
	s_mov_b64 s[0:1], -1
                                        ; implicit-def: $vgpr2
.LBB47_619:
	s_andn2_b64 vcc, exec, s[0:1]
	s_cbranch_vccnz .LBB47_621
; %bb.620:
	global_load_dword v2, v[0:1], off
.LBB47_621:
	s_mov_b64 s[0:1], 0
.LBB47_622:
	s_andn2_b64 vcc, exec, s[0:1]
	s_cbranch_vccnz .LBB47_624
; %bb.623:
	global_load_ushort v2, v[0:1], off
	s_waitcnt vmcnt(0)
	v_cvt_f32_f16_e32 v2, v2
.LBB47_624:
	s_mov_b64 s[0:1], 0
.LBB47_625:
	s_andn2_b64 vcc, exec, s[0:1]
	s_cbranch_vccnz .LBB47_645
; %bb.626:
	s_cmp_lt_i32 s34, 2
	s_cbranch_scc1 .LBB47_630
; %bb.627:
	s_cmp_lt_i32 s34, 3
	s_cbranch_scc1 .LBB47_631
; %bb.628:
	s_cmp_gt_i32 s34, 3
	s_cbranch_scc0 .LBB47_632
; %bb.629:
	global_load_dwordx2 v[2:3], v[0:1], off
	s_mov_b64 s[0:1], 0
	s_waitcnt vmcnt(0)
	v_xor_b32_e32 v6, v2, v3
	v_ffbh_i32_e32 v5, v3
	v_ashrrev_i32_e32 v6, 31, v6
	v_add_u32_e32 v5, -1, v5
	v_add_u32_e32 v6, 32, v6
	v_min_u32_e32 v5, v5, v6
	v_lshlrev_b64 v[2:3], v5, v[2:3]
	v_min_u32_e32 v2, 1, v2
	v_or_b32_e32 v2, v3, v2
	v_cvt_f32_i32_e32 v2, v2
	v_sub_u32_e32 v3, 32, v5
	v_ldexp_f32 v2, v2, v3
	s_branch .LBB47_633
.LBB47_630:
	s_mov_b64 s[0:1], -1
                                        ; implicit-def: $vgpr2
	s_branch .LBB47_639
.LBB47_631:
	s_mov_b64 s[0:1], -1
                                        ; implicit-def: $vgpr2
	s_branch .LBB47_636
.LBB47_632:
	s_mov_b64 s[0:1], -1
                                        ; implicit-def: $vgpr2
.LBB47_633:
	s_andn2_b64 vcc, exec, s[0:1]
	s_cbranch_vccnz .LBB47_635
; %bb.634:
	global_load_dword v2, v[0:1], off
	s_waitcnt vmcnt(0)
	v_cvt_f32_i32_e32 v2, v2
.LBB47_635:
	s_mov_b64 s[0:1], 0
.LBB47_636:
	s_andn2_b64 vcc, exec, s[0:1]
	s_cbranch_vccnz .LBB47_638
; %bb.637:
	global_load_sshort v2, v[0:1], off
	s_waitcnt vmcnt(0)
	v_cvt_f32_i32_e32 v2, v2
.LBB47_638:
	s_mov_b64 s[0:1], 0
.LBB47_639:
	s_andn2_b64 vcc, exec, s[0:1]
	s_cbranch_vccnz .LBB47_645
; %bb.640:
	s_cmp_gt_i32 s34, 0
	s_cbranch_scc0 .LBB47_642
; %bb.641:
	global_load_sbyte v2, v[0:1], off
	s_mov_b64 s[0:1], 0
	s_waitcnt vmcnt(0)
	v_cvt_f32_i32_e32 v2, v2
	s_branch .LBB47_643
.LBB47_642:
	s_mov_b64 s[0:1], -1
                                        ; implicit-def: $vgpr2
.LBB47_643:
	s_andn2_b64 vcc, exec, s[0:1]
	s_cbranch_vccnz .LBB47_645
; %bb.644:
	global_load_ubyte v0, v[0:1], off
	s_waitcnt vmcnt(0)
	v_cvt_f32_ubyte0_e32 v2, v0
.LBB47_645:
	s_mov_b64 s[0:1], -1
.LBB47_646:
	s_andn2_b64 vcc, exec, s[0:1]
	s_cbranch_vccnz .LBB47_654
; %bb.647:
	s_waitcnt vmcnt(0)
	v_fma_f32 v0, |v2|, -0.5, 0.5
	v_mul_f32_e32 v1, v2, v2
	v_cmp_ge_f32_e64 vcc, |v2|, 0.5
	v_cndmask_b32_e32 v0, v1, v0, vcc
	v_mov_b32_e32 v1, 0x3c5fc5da
	v_fmac_f32_e32 v1, 0x3d1c21a7, v0
	v_mov_b32_e32 v3, 0x3d034c3c
	v_fmac_f32_e32 v3, v0, v1
	;; [unrolled: 2-line block ×4, first 2 shown]
	v_sqrt_f32_e32 v1, v0
	v_mov_b32_e32 v5, 0x3e2aaaac
	v_fmac_f32_e32 v5, v0, v3
	v_mul_f32_e32 v0, v0, v5
	v_mul_lo_u32 v5, v4, s2
	v_fmac_f32_e32 v1, v1, v0
	v_add_f32_e32 v1, v1, v1
	v_sub_f32_e32 v1, 0x3fc90fdb, v1
	v_fma_f32 v0, |v2|, v0, |v2|
	v_cmp_lt_f32_e64 vcc, |v2|, 0.5
	v_cndmask_b32_e32 v3, v1, v0, vcc
	s_brev_b32 s0, -2
	v_ashrrev_i32_e32 v1, 31, v5
	v_mov_b32_e32 v6, s9
	s_and_b32 s36, s33, 0xff
	v_add_co_u32_e32 v0, vcc, s8, v5
	v_bfi_b32 v2, s0, v3, v2
	s_cmp_lt_i32 s36, 11
	v_addc_co_u32_e32 v1, vcc, v6, v1, vcc
	s_cbranch_scc1 .LBB47_655
; %bb.648:
	s_and_b32 s37, 0xffff, s36
	s_cmp_gt_i32 s37, 25
	s_cbranch_scc0 .LBB47_656
; %bb.649:
	s_cmp_gt_i32 s37, 28
	s_cbranch_scc0 .LBB47_657
; %bb.650:
	;; [unrolled: 3-line block ×4, first 2 shown]
	s_mov_b64 s[30:31], 0
	s_mov_b64 s[0:1], -1
	s_cmp_eq_u32 s37, 46
	s_mov_b64 s[28:29], 0
	s_cbranch_scc0 .LBB47_660
; %bb.653:
	v_bfe_u32 v5, v2, 16, 1
	s_movk_i32 s0, 0x7fff
	v_add3_u32 v5, v2, v5, s0
	v_cmp_o_f32_e32 vcc, v2, v2
	v_mov_b32_e32 v6, 0x7fc0
	v_cndmask_b32_sdwa v5, v6, v5, vcc dst_sel:DWORD dst_unused:UNUSED_PAD src0_sel:DWORD src1_sel:WORD_1
	global_store_dword v[0:1], v5, off
	s_mov_b64 s[28:29], -1
	s_mov_b64 s[0:1], 0
	s_branch .LBB47_660
.LBB47_654:
	s_mov_b64 s[30:31], 0
                                        ; implicit-def: $vgpr4
	s_mov_b64 s[0:1], s[20:21]
	s_branch .LBB47_771
.LBB47_655:
	s_mov_b64 s[30:31], -1
	s_mov_b64 s[28:29], 0
	s_mov_b64 s[0:1], s[20:21]
	s_branch .LBB47_729
.LBB47_656:
	s_mov_b64 s[30:31], -1
	s_mov_b64 s[28:29], 0
	s_mov_b64 s[0:1], s[20:21]
	s_branch .LBB47_687
.LBB47_657:
	s_mov_b64 s[30:31], -1
	s_mov_b64 s[28:29], 0
	s_mov_b64 s[0:1], s[20:21]
	s_branch .LBB47_670
.LBB47_658:
	s_mov_b64 s[30:31], -1
	s_mov_b64 s[28:29], 0
	s_mov_b64 s[0:1], s[20:21]
	s_branch .LBB47_666
.LBB47_659:
	s_mov_b64 s[30:31], -1
	s_mov_b64 s[28:29], 0
	s_mov_b64 s[0:1], s[20:21]
.LBB47_660:
	s_and_b64 vcc, exec, s[30:31]
	s_cbranch_vccz .LBB47_665
; %bb.661:
	s_cmp_eq_u32 s37, 44
	s_mov_b64 s[0:1], -1
	s_cbranch_scc0 .LBB47_665
; %bb.662:
	v_bfe_u32 v5, v2, 23, 8
	s_movk_i32 s0, 0xff
	v_cmp_ne_u32_e32 vcc, s0, v5
	v_mov_b32_e32 v6, 0xff
	s_and_saveexec_b64 s[28:29], vcc
; %bb.663:
	s_mov_b32 s0, 0x3fffff
	v_and_b32_e32 v7, 0x400000, v2
	v_and_or_b32 v5, v2, s0, v5
	v_cmp_ne_u32_e32 vcc, 0, v7
	v_cmp_ne_u32_e64 s[0:1], 0, v5
	s_and_b64 s[0:1], vcc, s[0:1]
	v_lshrrev_b32_e32 v6, 23, v2
	v_cndmask_b32_e64 v5, 0, 1, s[0:1]
	v_add_u32_e32 v6, v6, v5
; %bb.664:
	s_or_b64 exec, exec, s[28:29]
	s_mov_b64 s[28:29], -1
	s_mov_b64 s[0:1], 0
	global_store_byte v[0:1], v6, off
.LBB47_665:
	s_mov_b64 s[30:31], 0
.LBB47_666:
	s_and_b64 vcc, exec, s[30:31]
	s_cbranch_vccz .LBB47_669
; %bb.667:
	s_cmp_eq_u32 s37, 29
	s_mov_b64 s[0:1], -1
	s_cbranch_scc0 .LBB47_669
; %bb.668:
	v_trunc_f32_e32 v5, v2
	v_mul_f32_e32 v6, 0x2f800000, v5
	v_floor_f32_e32 v7, v6
	v_fmac_f32_e32 v5, 0xcf800000, v7
	v_cvt_u32_f32_e32 v6, v7
	v_cvt_u32_f32_e32 v5, v5
	s_mov_b64 s[28:29], -1
	s_mov_b64 s[0:1], 0
	s_mov_b64 s[30:31], 0
	global_store_dwordx2 v[0:1], v[5:6], off
	s_branch .LBB47_670
.LBB47_669:
	s_mov_b64 s[30:31], 0
.LBB47_670:
	s_and_b64 vcc, exec, s[30:31]
	s_cbranch_vccz .LBB47_686
; %bb.671:
	s_cmp_lt_i32 s37, 27
	s_mov_b64 s[28:29], -1
	s_cbranch_scc1 .LBB47_677
; %bb.672:
	v_cvt_u32_f32_e32 v5, v2
	s_cmp_gt_i32 s37, 27
	s_cbranch_scc0 .LBB47_674
; %bb.673:
	s_mov_b64 s[28:29], 0
	global_store_dword v[0:1], v5, off
.LBB47_674:
	s_andn2_b64 vcc, exec, s[28:29]
	s_cbranch_vccnz .LBB47_676
; %bb.675:
	global_store_short v[0:1], v5, off
.LBB47_676:
	s_mov_b64 s[28:29], 0
.LBB47_677:
	s_andn2_b64 vcc, exec, s[28:29]
	s_cbranch_vccnz .LBB47_685
; %bb.678:
	v_and_b32_e32 v5, 0x7fffffff, v3
	s_mov_b32 s28, 0x43800000
	v_cmp_gt_u32_e32 vcc, s28, v5
	v_mov_b32_e32 v6, 0x80
	s_and_saveexec_b64 s[28:29], vcc
	s_cbranch_execz .LBB47_684
; %bb.679:
	s_mov_b32 s30, 0x3bffffff
	v_cmp_lt_u32_e32 vcc, s30, v5
	s_mov_b64 s[30:31], 0
                                        ; implicit-def: $vgpr5
	s_and_saveexec_b64 s[34:35], vcc
	s_xor_b64 s[34:35], exec, s[34:35]
	s_cbranch_execz .LBB47_785
; %bb.680:
	v_bfe_u32 v5, v2, 20, 1
	s_mov_b32 s39, 0x487ffff
	v_add3_u32 v5, v2, v5, s39
	s_mov_b64 s[30:31], exec
	v_lshrrev_b32_e32 v5, 20, v5
	s_andn2_saveexec_b64 s[34:35], s[34:35]
	s_cbranch_execnz .LBB47_786
.LBB47_681:
	s_or_b64 exec, exec, s[34:35]
	v_mov_b32_e32 v6, 0
	s_and_saveexec_b64 s[34:35], s[30:31]
.LBB47_682:
	v_lshrrev_b32_e32 v6, 24, v2
	s_movk_i32 s30, 0x80
	v_and_or_b32 v6, v6, s30, v5
.LBB47_683:
	s_or_b64 exec, exec, s[34:35]
.LBB47_684:
	s_or_b64 exec, exec, s[28:29]
	global_store_byte v[0:1], v6, off
.LBB47_685:
	s_mov_b64 s[28:29], -1
.LBB47_686:
	s_mov_b64 s[30:31], 0
.LBB47_687:
	s_and_b64 vcc, exec, s[30:31]
	s_cbranch_vccz .LBB47_728
; %bb.688:
	s_cmp_gt_i32 s37, 22
	s_mov_b64 s[30:31], -1
	s_cbranch_scc0 .LBB47_720
; %bb.689:
	s_cmp_lt_i32 s37, 24
	s_mov_b64 s[28:29], -1
	s_cbranch_scc1 .LBB47_709
; %bb.690:
	s_cmp_gt_i32 s37, 24
	s_cbranch_scc0 .LBB47_698
; %bb.691:
	v_and_b32_e32 v5, 0x7fffffff, v3
	s_mov_b32 s28, 0x47800000
	v_cmp_gt_u32_e32 vcc, s28, v5
	v_mov_b32_e32 v6, 0x80
	s_and_saveexec_b64 s[28:29], vcc
	s_cbranch_execz .LBB47_697
; %bb.692:
	s_mov_b32 s30, 0x37ffffff
	v_cmp_lt_u32_e32 vcc, s30, v5
	s_mov_b64 s[30:31], 0
                                        ; implicit-def: $vgpr5
	s_and_saveexec_b64 s[34:35], vcc
	s_xor_b64 s[34:35], exec, s[34:35]
	s_cbranch_execz .LBB47_788
; %bb.693:
	v_bfe_u32 v5, v2, 21, 1
	s_mov_b32 s39, 0x88fffff
	v_add3_u32 v5, v2, v5, s39
	s_mov_b64 s[30:31], exec
	v_lshrrev_b32_e32 v5, 21, v5
	s_andn2_saveexec_b64 s[34:35], s[34:35]
	s_cbranch_execnz .LBB47_789
.LBB47_694:
	s_or_b64 exec, exec, s[34:35]
	v_mov_b32_e32 v6, 0
	s_and_saveexec_b64 s[34:35], s[30:31]
.LBB47_695:
	v_lshrrev_b32_e32 v6, 24, v2
	s_movk_i32 s30, 0x80
	v_and_or_b32 v6, v6, s30, v5
.LBB47_696:
	s_or_b64 exec, exec, s[34:35]
.LBB47_697:
	s_or_b64 exec, exec, s[28:29]
	s_mov_b64 s[28:29], 0
	global_store_byte v[0:1], v6, off
.LBB47_698:
	s_and_b64 vcc, exec, s[28:29]
	s_cbranch_vccz .LBB47_708
; %bb.699:
	v_and_b32_e32 v6, 0x7fffffff, v3
	s_mov_b32 s28, 0x43f00000
	v_cmp_gt_u32_e32 vcc, s28, v6
                                        ; implicit-def: $vgpr5
	s_and_saveexec_b64 s[28:29], vcc
	s_xor_b64 s[28:29], exec, s[28:29]
	s_cbranch_execz .LBB47_705
; %bb.700:
	s_mov_b32 s30, 0x3c7fffff
	v_cmp_lt_u32_e32 vcc, s30, v6
                                        ; implicit-def: $vgpr5
	s_and_saveexec_b64 s[30:31], vcc
	s_xor_b64 s[30:31], exec, s[30:31]
; %bb.701:
	v_bfe_u32 v5, v2, 20, 1
	s_mov_b32 s34, 0x407ffff
	v_add3_u32 v5, v2, v5, s34
	v_lshrrev_b32_e32 v6, 20, v5
	v_and_b32_e32 v5, 0xff00000, v5
	s_mov_b32 s34, 0x7f00000
	v_mov_b32_e32 v7, 0x7e
	v_cmp_ne_u32_e32 vcc, s34, v5
	v_cndmask_b32_e32 v5, v7, v6, vcc
; %bb.702:
	s_andn2_saveexec_b64 s[30:31], s[30:31]
; %bb.703:
	s_mov_b32 s34, 0x46800000
	v_add_f32_e64 v5, |v3|, s34
; %bb.704:
	s_or_b64 exec, exec, s[30:31]
                                        ; implicit-def: $vgpr6
.LBB47_705:
	s_andn2_saveexec_b64 s[28:29], s[28:29]
; %bb.706:
	s_mov_b32 s30, 0x7f800000
	v_mov_b32_e32 v5, 0x7e
	v_mov_b32_e32 v7, 0x7f
	v_cmp_lt_u32_e32 vcc, s30, v6
	v_cndmask_b32_e32 v5, v5, v7, vcc
; %bb.707:
	s_or_b64 exec, exec, s[28:29]
	v_lshrrev_b32_e32 v6, 24, v2
	s_movk_i32 s28, 0x80
	v_and_or_b32 v5, v6, s28, v5
	global_store_byte v[0:1], v5, off
.LBB47_708:
	s_mov_b64 s[28:29], 0
.LBB47_709:
	s_andn2_b64 vcc, exec, s[28:29]
	s_cbranch_vccnz .LBB47_719
; %bb.710:
	v_and_b32_e32 v6, 0x7fffffff, v3
	s_mov_b32 s28, 0x47800000
	v_cmp_gt_u32_e32 vcc, s28, v6
                                        ; implicit-def: $vgpr5
	s_and_saveexec_b64 s[28:29], vcc
	s_xor_b64 s[28:29], exec, s[28:29]
	s_cbranch_execz .LBB47_716
; %bb.711:
	s_mov_b32 s30, 0x387fffff
	v_cmp_lt_u32_e32 vcc, s30, v6
                                        ; implicit-def: $vgpr5
	s_and_saveexec_b64 s[30:31], vcc
	s_xor_b64 s[30:31], exec, s[30:31]
; %bb.712:
	v_bfe_u32 v3, v2, 21, 1
	s_mov_b32 s34, 0x80fffff
	v_add3_u32 v3, v2, v3, s34
	v_lshrrev_b32_e32 v5, 21, v3
                                        ; implicit-def: $vgpr3
; %bb.713:
	s_andn2_saveexec_b64 s[30:31], s[30:31]
; %bb.714:
	s_mov_b32 s34, 0x43000000
	v_add_f32_e64 v5, |v3|, s34
; %bb.715:
	s_or_b64 exec, exec, s[30:31]
                                        ; implicit-def: $vgpr6
.LBB47_716:
	s_andn2_saveexec_b64 s[28:29], s[28:29]
; %bb.717:
	s_mov_b32 s30, 0x7f800000
	v_mov_b32_e32 v3, 0x7c
	v_mov_b32_e32 v5, 0x7f
	v_cmp_lt_u32_e32 vcc, s30, v6
	v_cndmask_b32_e32 v5, v3, v5, vcc
; %bb.718:
	s_or_b64 exec, exec, s[28:29]
	v_lshrrev_b32_e32 v3, 24, v2
	s_movk_i32 s28, 0x80
	v_and_or_b32 v3, v3, s28, v5
	global_store_byte v[0:1], v3, off
.LBB47_719:
	s_mov_b64 s[30:31], 0
	s_mov_b64 s[28:29], -1
.LBB47_720:
	s_andn2_b64 vcc, exec, s[30:31]
	s_cbranch_vccnz .LBB47_728
; %bb.721:
	s_cmp_gt_i32 s37, 14
	s_mov_b64 s[30:31], -1
	s_cbranch_scc0 .LBB47_725
; %bb.722:
	s_cmp_eq_u32 s37, 15
	s_mov_b64 s[0:1], -1
	s_cbranch_scc0 .LBB47_724
; %bb.723:
	v_bfe_u32 v3, v2, 16, 1
	s_movk_i32 s0, 0x7fff
	v_add3_u32 v3, v2, v3, s0
	v_cmp_o_f32_e32 vcc, v2, v2
	v_mov_b32_e32 v5, 0x7fc0
	v_cndmask_b32_sdwa v3, v5, v3, vcc dst_sel:DWORD dst_unused:UNUSED_PAD src0_sel:DWORD src1_sel:WORD_1
	global_store_short v[0:1], v3, off
	s_mov_b64 s[28:29], -1
	s_mov_b64 s[0:1], 0
.LBB47_724:
	s_mov_b64 s[30:31], 0
.LBB47_725:
	s_and_b64 vcc, exec, s[30:31]
	s_cbranch_vccz .LBB47_728
; %bb.726:
	s_cmp_eq_u32 s37, 11
	s_mov_b64 s[0:1], -1
	s_cbranch_scc0 .LBB47_728
; %bb.727:
	v_cmp_neq_f32_e32 vcc, 0, v2
	v_cndmask_b32_e64 v3, 0, 1, vcc
	s_mov_b64 s[28:29], -1
	s_mov_b64 s[0:1], 0
	global_store_byte v[0:1], v3, off
.LBB47_728:
	s_mov_b64 s[30:31], 0
.LBB47_729:
	s_and_b64 vcc, exec, s[30:31]
	s_cbranch_vccz .LBB47_768
; %bb.730:
	s_and_b32 s30, 0xffff, s36
	s_cmp_lt_i32 s30, 5
	s_mov_b64 s[28:29], -1
	s_cbranch_scc1 .LBB47_751
; %bb.731:
	s_cmp_lt_i32 s30, 8
	s_cbranch_scc1 .LBB47_741
; %bb.732:
	s_cmp_lt_i32 s30, 9
	s_cbranch_scc1 .LBB47_738
; %bb.733:
	s_cmp_gt_i32 s30, 9
	s_cbranch_scc0 .LBB47_735
; %bb.734:
	v_cvt_f64_f32_e32 v[5:6], v2
	v_mov_b32_e32 v7, 0
	v_mov_b32_e32 v8, v7
	s_mov_b64 s[28:29], 0
	global_store_dwordx4 v[0:1], v[5:8], off
.LBB47_735:
	s_andn2_b64 vcc, exec, s[28:29]
	s_cbranch_vccnz .LBB47_737
; %bb.736:
	v_mov_b32_e32 v3, 0
	global_store_dwordx2 v[0:1], v[2:3], off
.LBB47_737:
	s_mov_b64 s[28:29], 0
.LBB47_738:
	s_andn2_b64 vcc, exec, s[28:29]
	s_cbranch_vccnz .LBB47_740
; %bb.739:
	v_cvt_f16_f32_e32 v3, v2
	global_store_dword v[0:1], v3, off
.LBB47_740:
	s_mov_b64 s[28:29], 0
.LBB47_741:
	s_andn2_b64 vcc, exec, s[28:29]
	s_cbranch_vccnz .LBB47_750
; %bb.742:
	s_cmp_lt_i32 s30, 6
	s_mov_b64 s[28:29], -1
	s_cbranch_scc1 .LBB47_748
; %bb.743:
	s_cmp_gt_i32 s30, 6
	s_cbranch_scc0 .LBB47_745
; %bb.744:
	v_cvt_f64_f32_e32 v[5:6], v2
	s_mov_b64 s[28:29], 0
	global_store_dwordx2 v[0:1], v[5:6], off
.LBB47_745:
	s_andn2_b64 vcc, exec, s[28:29]
	s_cbranch_vccnz .LBB47_747
; %bb.746:
	global_store_dword v[0:1], v2, off
.LBB47_747:
	s_mov_b64 s[28:29], 0
.LBB47_748:
	s_andn2_b64 vcc, exec, s[28:29]
	s_cbranch_vccnz .LBB47_750
; %bb.749:
	v_cvt_f16_f32_e32 v3, v2
	global_store_short v[0:1], v3, off
.LBB47_750:
	s_mov_b64 s[28:29], 0
.LBB47_751:
	s_andn2_b64 vcc, exec, s[28:29]
	s_cbranch_vccnz .LBB47_767
; %bb.752:
	s_cmp_lt_i32 s30, 2
	s_mov_b64 s[28:29], -1
	s_cbranch_scc1 .LBB47_762
; %bb.753:
	s_cmp_lt_i32 s30, 3
	s_cbranch_scc1 .LBB47_759
; %bb.754:
	s_cmp_gt_i32 s30, 3
	s_cbranch_scc0 .LBB47_756
; %bb.755:
	v_trunc_f32_e32 v3, v2
	s_mov_b32 s28, 0x2f800000
	v_mul_f32_e64 v5, |v3|, s28
	v_floor_f32_e32 v5, v5
	s_mov_b32 s28, 0xcf800000
	v_cvt_u32_f32_e32 v6, v5
	v_fma_f32 v5, v5, s28, |v3|
	v_cvt_u32_f32_e32 v5, v5
	v_ashrrev_i32_e32 v3, 31, v3
	v_xor_b32_e32 v6, v6, v3
	s_mov_b64 s[28:29], 0
	v_xor_b32_e32 v5, v5, v3
	v_sub_co_u32_e32 v5, vcc, v5, v3
	v_subb_co_u32_e32 v6, vcc, v6, v3, vcc
	global_store_dwordx2 v[0:1], v[5:6], off
.LBB47_756:
	s_andn2_b64 vcc, exec, s[28:29]
	s_cbranch_vccnz .LBB47_758
; %bb.757:
	v_cvt_i32_f32_e32 v3, v2
	global_store_dword v[0:1], v3, off
.LBB47_758:
	s_mov_b64 s[28:29], 0
.LBB47_759:
	s_andn2_b64 vcc, exec, s[28:29]
	s_cbranch_vccnz .LBB47_761
; %bb.760:
	v_cvt_i32_f32_e32 v3, v2
	global_store_short v[0:1], v3, off
.LBB47_761:
	s_mov_b64 s[28:29], 0
.LBB47_762:
	s_andn2_b64 vcc, exec, s[28:29]
	s_cbranch_vccnz .LBB47_767
; %bb.763:
	s_cmp_gt_i32 s30, 0
	s_mov_b64 s[28:29], -1
	s_cbranch_scc0 .LBB47_765
; %bb.764:
	v_cvt_i32_f32_e32 v3, v2
	s_mov_b64 s[28:29], 0
	global_store_byte v[0:1], v3, off
.LBB47_765:
	s_andn2_b64 vcc, exec, s[28:29]
	s_cbranch_vccnz .LBB47_767
; %bb.766:
	v_trunc_f32_e32 v2, v2
	s_mov_b32 s28, 0x2f800000
	v_mul_f32_e64 v3, |v2|, s28
	v_floor_f32_e32 v3, v3
	s_mov_b32 s28, 0xcf800000
	v_fma_f32 v3, v3, s28, |v2|
	v_cvt_u32_f32_e32 v3, v3
	v_ashrrev_i32_e32 v2, 31, v2
	v_xor_b32_e32 v3, v3, v2
	v_sub_u32_e32 v2, v3, v2
	global_store_byte v[0:1], v2, off
.LBB47_767:
	s_mov_b64 s[28:29], -1
.LBB47_768:
	s_andn2_b64 vcc, exec, s[28:29]
	s_cbranch_vccnz .LBB47_770
; %bb.769:
	v_add_u32_e32 v4, 0x80, v4
	s_mov_b64 s[30:31], -1
	s_branch .LBB47_771
.LBB47_770:
	s_mov_b64 s[30:31], 0
                                        ; implicit-def: $vgpr4
.LBB47_771:
	s_andn2_b64 s[28:29], s[20:21], exec
	s_and_b64 s[0:1], s[0:1], exec
	s_or_b64 s[28:29], s[28:29], s[0:1]
	s_andn2_b64 s[0:1], s[18:19], exec
	s_and_b64 s[26:27], s[26:27], exec
	s_or_b64 s[0:1], s[0:1], s[26:27]
	s_orn2_b64 s[34:35], s[30:31], exec
.LBB47_772:
	s_or_b64 exec, exec, s[24:25]
	s_mov_b64 s[30:31], 0
	s_mov_b64 s[26:27], 0
	;; [unrolled: 1-line block ×3, first 2 shown]
                                        ; implicit-def: $vgpr0_vgpr1
                                        ; implicit-def: $vgpr3
	s_and_saveexec_b64 s[24:25], s[34:35]
	s_cbranch_execz .LBB47_857
; %bb.773:
	v_cmp_gt_i32_e32 vcc, s38, v4
	s_mov_b64 s[34:35], 0
	s_mov_b64 s[38:39], s[0:1]
	;; [unrolled: 1-line block ×3, first 2 shown]
                                        ; implicit-def: $vgpr0_vgpr1
                                        ; implicit-def: $vgpr3
	s_and_saveexec_b64 s[26:27], vcc
	s_cbranch_execz .LBB47_856
; %bb.774:
	v_mul_lo_u32 v0, v4, s3
	v_mov_b32_e32 v1, s11
	s_and_b32 s43, 0xffff, s42
	s_cmp_lt_i32 s43, 11
	s_waitcnt vmcnt(0)
	v_ashrrev_i32_e32 v2, 31, v0
	v_add_co_u32_e32 v0, vcc, s10, v0
	v_addc_co_u32_e32 v1, vcc, v1, v2, vcc
	s_cbranch_scc1 .LBB47_781
; %bb.775:
	s_cmp_gt_i32 s43, 25
	s_cbranch_scc0 .LBB47_782
; %bb.776:
	s_cmp_gt_i32 s43, 28
	s_cbranch_scc0 .LBB47_783
	;; [unrolled: 3-line block ×4, first 2 shown]
; %bb.779:
	s_cmp_eq_u32 s43, 46
	s_mov_b64 s[38:39], 0
	s_cbranch_scc0 .LBB47_790
; %bb.780:
	global_load_dword v2, v[0:1], off
	s_mov_b64 s[36:37], -1
	s_waitcnt vmcnt(0)
	v_lshlrev_b32_e32 v3, 16, v2
	s_branch .LBB47_792
.LBB47_781:
	s_mov_b64 s[38:39], -1
                                        ; implicit-def: $vgpr3
	s_mov_b64 s[30:31], s[0:1]
	s_branch .LBB47_855
.LBB47_782:
	s_mov_b64 s[38:39], -1
	s_mov_b64 s[30:31], s[0:1]
                                        ; implicit-def: $vgpr3
	s_branch .LBB47_821
.LBB47_783:
	s_mov_b64 s[38:39], -1
	s_mov_b64 s[30:31], s[0:1]
                                        ; implicit-def: $vgpr3
	s_branch .LBB47_802
.LBB47_784:
	s_mov_b64 s[38:39], -1
	s_mov_b64 s[30:31], s[0:1]
                                        ; implicit-def: $vgpr3
	s_branch .LBB47_797
.LBB47_785:
	s_andn2_saveexec_b64 s[34:35], s[34:35]
	s_cbranch_execz .LBB47_681
.LBB47_786:
	s_mov_b32 s39, 0x46000000
	v_add_f32_e64 v5, |v3|, s39
	v_and_b32_e32 v5, 0xff, v5
	v_cmp_ne_u32_e32 vcc, 0, v5
	s_andn2_b64 s[30:31], s[30:31], exec
	s_and_b64 s[40:41], vcc, exec
	s_or_b64 s[30:31], s[30:31], s[40:41]
	s_or_b64 exec, exec, s[34:35]
	v_mov_b32_e32 v6, 0
	s_and_saveexec_b64 s[34:35], s[30:31]
	s_cbranch_execnz .LBB47_682
	s_branch .LBB47_683
.LBB47_787:
	s_mov_b64 s[38:39], -1
	s_mov_b64 s[30:31], s[0:1]
	s_branch .LBB47_791
.LBB47_788:
	s_andn2_saveexec_b64 s[34:35], s[34:35]
	s_cbranch_execz .LBB47_694
.LBB47_789:
	s_mov_b32 s39, 0x42800000
	v_add_f32_e64 v5, |v3|, s39
	v_and_b32_e32 v5, 0xff, v5
	v_cmp_ne_u32_e32 vcc, 0, v5
	s_andn2_b64 s[30:31], s[30:31], exec
	s_and_b64 s[40:41], vcc, exec
	s_or_b64 s[30:31], s[30:31], s[40:41]
	s_or_b64 exec, exec, s[34:35]
	v_mov_b32_e32 v6, 0
	s_and_saveexec_b64 s[34:35], s[30:31]
	s_cbranch_execnz .LBB47_695
	s_branch .LBB47_696
.LBB47_790:
	s_mov_b64 s[30:31], -1
.LBB47_791:
                                        ; implicit-def: $vgpr3
.LBB47_792:
	s_and_b64 vcc, exec, s[38:39]
	s_cbranch_vccz .LBB47_796
; %bb.793:
	s_cmp_eq_u32 s43, 44
	s_cbranch_scc0 .LBB47_795
; %bb.794:
	global_load_ubyte v2, v[0:1], off
	s_movk_i32 s36, 0xff
	v_mov_b32_e32 v3, 0x7f800001
	v_mov_b32_e32 v5, 0x400000
	s_mov_b64 s[30:31], 0
	s_waitcnt vmcnt(0)
	v_lshlrev_b32_e32 v6, 23, v2
	v_cmp_ne_u32_e32 vcc, s36, v2
	v_cndmask_b32_e32 v3, v3, v6, vcc
	v_cmp_ne_u32_e32 vcc, 0, v2
	v_cndmask_b32_e32 v3, v5, v3, vcc
	s_mov_b64 s[36:37], -1
	s_branch .LBB47_796
.LBB47_795:
	s_mov_b64 s[30:31], -1
                                        ; implicit-def: $vgpr3
.LBB47_796:
	s_mov_b64 s[38:39], 0
.LBB47_797:
	s_and_b64 vcc, exec, s[38:39]
	s_cbranch_vccz .LBB47_801
; %bb.798:
	s_cmp_eq_u32 s43, 29
	s_cbranch_scc0 .LBB47_800
; %bb.799:
	global_load_dwordx2 v[2:3], v[0:1], off
	s_mov_b64 s[30:31], 0
	s_mov_b64 s[36:37], -1
	s_mov_b64 s[38:39], 0
	s_waitcnt vmcnt(0)
	v_ffbh_u32_e32 v5, v3
	v_min_u32_e32 v5, 32, v5
	v_lshlrev_b64 v[2:3], v5, v[2:3]
	v_min_u32_e32 v2, 1, v2
	v_or_b32_e32 v2, v3, v2
	v_cvt_f32_u32_e32 v2, v2
	v_sub_u32_e32 v3, 32, v5
	v_ldexp_f32 v3, v2, v3
	s_branch .LBB47_802
.LBB47_800:
	s_mov_b64 s[30:31], -1
                                        ; implicit-def: $vgpr3
.LBB47_801:
	s_mov_b64 s[38:39], 0
.LBB47_802:
	s_and_b64 vcc, exec, s[38:39]
	s_cbranch_vccz .LBB47_820
; %bb.803:
	s_cmp_lt_i32 s43, 27
	s_cbranch_scc1 .LBB47_806
; %bb.804:
	s_cmp_gt_i32 s43, 27
	s_cbranch_scc0 .LBB47_807
; %bb.805:
	global_load_dword v2, v[0:1], off
	s_mov_b64 s[36:37], 0
	s_waitcnt vmcnt(0)
	v_cvt_f32_u32_e32 v3, v2
	s_branch .LBB47_808
.LBB47_806:
	s_mov_b64 s[36:37], -1
                                        ; implicit-def: $vgpr3
	s_branch .LBB47_811
.LBB47_807:
	s_mov_b64 s[36:37], -1
                                        ; implicit-def: $vgpr3
.LBB47_808:
	s_andn2_b64 vcc, exec, s[36:37]
	s_cbranch_vccnz .LBB47_810
; %bb.809:
	global_load_ushort v2, v[0:1], off
	s_waitcnt vmcnt(0)
	v_cvt_f32_u32_e32 v3, v2
.LBB47_810:
	s_mov_b64 s[36:37], 0
.LBB47_811:
	s_andn2_b64 vcc, exec, s[36:37]
	s_cbranch_vccnz .LBB47_819
; %bb.812:
	global_load_ubyte v2, v[0:1], off
	s_movk_i32 s36, 0x7f
	s_waitcnt vmcnt(0)
	v_cmp_lt_i16_e32 vcc, s36, v2
	s_mov_b64 s[36:37], 0
	s_and_saveexec_b64 s[38:39], vcc
	s_xor_b64 s[38:39], exec, s[38:39]
	s_cbranch_execz .LBB47_833
; %bb.813:
	s_movk_i32 s36, 0x80
	v_cmp_eq_u16_e32 vcc, s36, v2
	s_mov_b64 s[36:37], -1
	s_and_saveexec_b64 s[40:41], vcc
; %bb.814:
	s_xor_b64 s[36:37], exec, -1
; %bb.815:
	s_or_b64 exec, exec, s[40:41]
	s_and_b64 s[36:37], s[36:37], exec
	s_or_saveexec_b64 s[38:39], s[38:39]
	v_mov_b32_e32 v3, 0x7f800001
	s_xor_b64 exec, exec, s[38:39]
	s_cbranch_execnz .LBB47_834
.LBB47_816:
	s_or_b64 exec, exec, s[38:39]
	s_and_saveexec_b64 s[38:39], s[36:37]
	s_cbranch_execz .LBB47_818
.LBB47_817:
	v_lshlrev_b32_e32 v3, 24, v2
	v_and_b32_e32 v2, 0xffff, v2
	v_and_b32_e32 v5, 7, v2
	v_ffbh_u32_e32 v7, v5
	v_min_u32_e32 v7, 32, v7
	v_subrev_u32_e32 v8, 28, v7
	v_bfe_u32 v6, v2, 3, 4
	v_lshlrev_b32_e32 v2, v8, v2
	v_sub_u32_e32 v7, 29, v7
	v_and_b32_e32 v2, 7, v2
	v_cmp_eq_u32_e32 vcc, 0, v6
	v_cndmask_b32_e32 v6, v6, v7, vcc
	v_cndmask_b32_e32 v2, v5, v2, vcc
	v_mov_b32_e32 v5, 0x3b800000
	v_lshlrev_b32_e32 v2, 20, v2
	v_and_b32_e32 v3, 0x80000000, v3
	v_lshl_add_u32 v5, v6, 23, v5
	v_or3_b32 v3, v3, v5, v2
.LBB47_818:
	s_or_b64 exec, exec, s[38:39]
.LBB47_819:
	s_mov_b64 s[36:37], -1
.LBB47_820:
	s_mov_b64 s[38:39], 0
.LBB47_821:
	s_and_b64 vcc, exec, s[38:39]
	s_cbranch_vccz .LBB47_854
; %bb.822:
	s_cmp_gt_i32 s43, 22
	s_cbranch_scc0 .LBB47_832
; %bb.823:
	s_cmp_lt_i32 s43, 24
	s_cbranch_scc1 .LBB47_835
; %bb.824:
	s_cmp_gt_i32 s43, 24
	s_cbranch_scc0 .LBB47_836
; %bb.825:
	global_load_ubyte v2, v[0:1], off
	s_movk_i32 s34, 0x7f
	s_waitcnt vmcnt(0)
	v_cmp_lt_i16_e32 vcc, s34, v2
	s_mov_b64 s[34:35], 0
	s_and_saveexec_b64 s[36:37], vcc
	s_xor_b64 s[36:37], exec, s[36:37]
	s_cbranch_execz .LBB47_848
; %bb.826:
	s_movk_i32 s34, 0x80
	v_cmp_eq_u16_e32 vcc, s34, v2
	s_mov_b64 s[34:35], -1
	s_and_saveexec_b64 s[38:39], vcc
; %bb.827:
	s_xor_b64 s[34:35], exec, -1
; %bb.828:
	s_or_b64 exec, exec, s[38:39]
	s_and_b64 s[34:35], s[34:35], exec
	s_or_saveexec_b64 s[36:37], s[36:37]
	v_mov_b32_e32 v3, 0x7f800001
	s_xor_b64 exec, exec, s[36:37]
	s_cbranch_execnz .LBB47_849
.LBB47_829:
	s_or_b64 exec, exec, s[36:37]
	s_and_saveexec_b64 s[36:37], s[34:35]
	s_cbranch_execz .LBB47_831
.LBB47_830:
	v_lshlrev_b32_e32 v3, 24, v2
	v_and_b32_e32 v2, 0xffff, v2
	v_and_b32_e32 v5, 3, v2
	v_ffbh_u32_e32 v7, v5
	v_min_u32_e32 v7, 32, v7
	v_subrev_u32_e32 v8, 29, v7
	v_bfe_u32 v6, v2, 2, 5
	v_lshlrev_b32_e32 v2, v8, v2
	v_sub_u32_e32 v7, 30, v7
	v_and_b32_e32 v2, 3, v2
	v_cmp_eq_u32_e32 vcc, 0, v6
	v_cndmask_b32_e32 v6, v6, v7, vcc
	v_cndmask_b32_e32 v2, v5, v2, vcc
	v_mov_b32_e32 v5, 0x37800000
	v_lshlrev_b32_e32 v2, 21, v2
	v_and_b32_e32 v3, 0x80000000, v3
	v_lshl_add_u32 v5, v6, 23, v5
	v_or3_b32 v3, v3, v5, v2
.LBB47_831:
	s_or_b64 exec, exec, s[36:37]
	s_mov_b64 s[34:35], 0
	s_branch .LBB47_837
.LBB47_832:
	s_mov_b64 s[34:35], -1
                                        ; implicit-def: $vgpr3
	s_branch .LBB47_843
.LBB47_833:
	s_or_saveexec_b64 s[38:39], s[38:39]
	v_mov_b32_e32 v3, 0x7f800001
	s_xor_b64 exec, exec, s[38:39]
	s_cbranch_execz .LBB47_816
.LBB47_834:
	v_cmp_ne_u16_e32 vcc, 0, v2
	s_andn2_b64 s[36:37], s[36:37], exec
	s_and_b64 s[40:41], vcc, exec
	v_mov_b32_e32 v3, 0
	s_or_b64 s[36:37], s[36:37], s[40:41]
	s_or_b64 exec, exec, s[38:39]
	s_and_saveexec_b64 s[38:39], s[36:37]
	s_cbranch_execnz .LBB47_817
	s_branch .LBB47_818
.LBB47_835:
	s_mov_b64 s[34:35], -1
                                        ; implicit-def: $vgpr3
	s_branch .LBB47_840
.LBB47_836:
	s_mov_b64 s[34:35], -1
                                        ; implicit-def: $vgpr3
.LBB47_837:
	s_and_b64 vcc, exec, s[34:35]
	s_cbranch_vccz .LBB47_839
; %bb.838:
	global_load_ubyte v2, v[0:1], off
	s_mov_b32 s34, 0x7f800000
	s_waitcnt vmcnt(0)
	v_lshlrev_b32_e32 v2, 24, v2
	v_and_b32_e32 v3, 0x7f000000, v2
	v_ffbh_u32_e32 v5, v3
	v_min_u32_e32 v5, 32, v5
	v_sub_u32_e64 v5, v5, 4 clamp
	v_lshlrev_b32_e32 v7, v5, v3
	v_lshlrev_b32_e32 v5, 23, v5
	v_lshrrev_b32_e32 v7, 4, v7
	v_add_u32_e32 v6, 0x1000000, v3
	v_sub_u32_e32 v5, v7, v5
	v_ashrrev_i32_e32 v6, 8, v6
	v_add_u32_e32 v5, 0x3c000000, v5
	v_and_or_b32 v5, v6, s34, v5
	v_cmp_ne_u32_e32 vcc, 0, v3
	v_cndmask_b32_e32 v3, 0, v5, vcc
	s_brev_b32 s34, 1
	v_and_or_b32 v3, v2, s34, v3
.LBB47_839:
	s_mov_b64 s[34:35], 0
.LBB47_840:
	s_andn2_b64 vcc, exec, s[34:35]
	s_cbranch_vccnz .LBB47_842
; %bb.841:
	global_load_ubyte v2, v[0:1], off
	s_movk_i32 s34, 0x7f00
	s_brev_b32 s35, 16
	s_waitcnt vmcnt(0)
	v_lshlrev_b16_e32 v3, 8, v2
	v_lshlrev_b32_e32 v2, 25, v2
	v_lshrrev_b32_e32 v5, 4, v2
	v_and_or_b32 v6, v3, s34, 0.5
	v_or_b32_e32 v5, 0x70000000, v5
	v_add_f32_e32 v6, -0.5, v6
	v_mul_f32_e32 v5, 0x7800000, v5
	v_cmp_gt_u32_e32 vcc, s35, v2
	v_bfe_i32 v3, v3, 0, 16
	v_cndmask_b32_e32 v2, v5, v6, vcc
	s_brev_b32 s34, 1
	v_and_or_b32 v3, v3, s34, v2
.LBB47_842:
	s_mov_b64 s[34:35], 0
	s_mov_b64 s[36:37], -1
.LBB47_843:
	s_andn2_b64 vcc, exec, s[34:35]
	s_mov_b64 s[34:35], 0
	s_cbranch_vccnz .LBB47_854
; %bb.844:
	s_cmp_gt_i32 s43, 14
	s_cbranch_scc0 .LBB47_847
; %bb.845:
	s_cmp_eq_u32 s43, 15
	s_cbranch_scc0 .LBB47_850
; %bb.846:
	global_load_ushort v2, v[0:1], off
	s_mov_b64 s[30:31], 0
	s_mov_b64 s[36:37], -1
	s_waitcnt vmcnt(0)
	v_lshlrev_b32_e32 v3, 16, v2
	s_branch .LBB47_851
.LBB47_847:
	s_mov_b64 s[38:39], -1
                                        ; implicit-def: $vgpr3
	s_branch .LBB47_852
.LBB47_848:
	s_or_saveexec_b64 s[36:37], s[36:37]
	v_mov_b32_e32 v3, 0x7f800001
	s_xor_b64 exec, exec, s[36:37]
	s_cbranch_execz .LBB47_829
.LBB47_849:
	v_cmp_ne_u16_e32 vcc, 0, v2
	s_andn2_b64 s[34:35], s[34:35], exec
	s_and_b64 s[38:39], vcc, exec
	v_mov_b32_e32 v3, 0
	s_or_b64 s[34:35], s[34:35], s[38:39]
	s_or_b64 exec, exec, s[36:37]
	s_and_saveexec_b64 s[36:37], s[34:35]
	s_cbranch_execnz .LBB47_830
	s_branch .LBB47_831
.LBB47_850:
	s_mov_b64 s[30:31], -1
                                        ; implicit-def: $vgpr3
.LBB47_851:
	s_mov_b64 s[38:39], 0
.LBB47_852:
	s_and_b64 vcc, exec, s[38:39]
	s_cbranch_vccz .LBB47_854
; %bb.853:
	s_cmp_lg_u32 s43, 11
	s_cselect_b64 s[38:39], -1, 0
	s_andn2_b64 s[30:31], s[30:31], exec
	s_and_b64 s[38:39], s[38:39], exec
	s_mov_b64 s[34:35], -1
	s_or_b64 s[30:31], s[30:31], s[38:39]
.LBB47_854:
	s_mov_b64 s[38:39], 0
.LBB47_855:
	s_and_b64 s[40:41], s[38:39], exec
	s_andn2_b64 s[38:39], s[0:1], exec
	s_and_b64 s[30:31], s[30:31], exec
	s_and_b64 s[36:37], s[36:37], exec
	;; [unrolled: 1-line block ×3, first 2 shown]
	s_or_b64 s[38:39], s[38:39], s[30:31]
.LBB47_856:
	s_or_b64 exec, exec, s[26:27]
	s_and_b64 s[30:31], s[34:35], exec
	s_andn2_b64 s[0:1], s[0:1], exec
	s_and_b64 s[34:35], s[38:39], exec
	s_and_b64 s[36:37], s[36:37], exec
	;; [unrolled: 1-line block ×3, first 2 shown]
	s_or_b64 s[0:1], s[0:1], s[34:35]
.LBB47_857:
	s_or_b64 exec, exec, s[24:25]
	s_andn2_b64 s[20:21], s[20:21], exec
	s_and_b64 s[24:25], s[28:29], exec
	s_andn2_b64 s[18:19], s[18:19], exec
	s_and_b64 s[0:1], s[0:1], exec
	s_or_b64 s[20:21], s[20:21], s[24:25]
	s_and_b64 s[28:29], s[36:37], exec
	s_and_b64 s[26:27], s[26:27], exec
	;; [unrolled: 1-line block ×3, first 2 shown]
	s_or_b64 s[18:19], s[18:19], s[0:1]
.LBB47_858:
	s_or_b64 exec, exec, s[22:23]
	s_andn2_b64 s[0:1], s[6:7], exec
	s_and_b64 s[6:7], s[20:21], exec
	s_andn2_b64 s[14:15], s[14:15], exec
	s_and_b64 s[18:19], s[18:19], exec
	s_or_b64 s[6:7], s[0:1], s[6:7]
	s_and_b64 s[0:1], s[28:29], exec
	s_and_b64 s[22:23], s[26:27], exec
	;; [unrolled: 1-line block ×3, first 2 shown]
	s_or_b64 s[14:15], s[14:15], s[18:19]
	s_or_b64 exec, exec, s[16:17]
	s_mov_b64 s[16:17], 0
	s_and_saveexec_b64 s[18:19], s[14:15]
	s_cbranch_execz .LBB47_262
.LBB47_859:
	s_mov_b64 s[16:17], exec
	s_andn2_b64 s[20:21], s[20:21], exec
	s_trap 2
	s_or_b64 exec, exec, s[18:19]
	s_and_saveexec_b64 s[14:15], s[20:21]
	s_xor_b64 s[14:15], exec, s[14:15]
	s_cbranch_execnz .LBB47_263
.LBB47_860:
	s_or_b64 exec, exec, s[14:15]
	s_and_saveexec_b64 s[14:15], s[22:23]
	s_cbranch_execz .LBB47_906
.LBB47_861:
	s_sext_i32_i16 s18, s42
	s_cmp_lt_i32 s18, 5
	s_cbranch_scc1 .LBB47_866
; %bb.862:
	s_cmp_lt_i32 s18, 8
	s_cbranch_scc1 .LBB47_867
; %bb.863:
	;; [unrolled: 3-line block ×3, first 2 shown]
	s_cmp_gt_i32 s18, 9
	s_cbranch_scc0 .LBB47_869
; %bb.865:
	global_load_dwordx2 v[2:3], v[0:1], off
	s_mov_b64 s[18:19], 0
	s_waitcnt vmcnt(0)
	v_cvt_f32_f64_e32 v3, v[2:3]
	s_branch .LBB47_870
.LBB47_866:
                                        ; implicit-def: $vgpr3
	s_branch .LBB47_887
.LBB47_867:
                                        ; implicit-def: $vgpr3
	s_branch .LBB47_876
.LBB47_868:
	s_mov_b64 s[18:19], -1
                                        ; implicit-def: $vgpr3
	s_branch .LBB47_873
.LBB47_869:
	s_mov_b64 s[18:19], -1
                                        ; implicit-def: $vgpr3
.LBB47_870:
	s_andn2_b64 vcc, exec, s[18:19]
	s_cbranch_vccnz .LBB47_872
; %bb.871:
	global_load_dword v3, v[0:1], off
.LBB47_872:
	s_mov_b64 s[18:19], 0
.LBB47_873:
	s_andn2_b64 vcc, exec, s[18:19]
	s_cbranch_vccnz .LBB47_875
; %bb.874:
	global_load_dword v2, v[0:1], off
	s_waitcnt vmcnt(0)
	v_cvt_f32_f16_e32 v3, v2
.LBB47_875:
	s_cbranch_execnz .LBB47_886
.LBB47_876:
	s_sext_i32_i16 s18, s42
	s_cmp_lt_i32 s18, 6
	s_cbranch_scc1 .LBB47_879
; %bb.877:
	s_cmp_gt_i32 s18, 6
	s_cbranch_scc0 .LBB47_880
; %bb.878:
	global_load_dwordx2 v[2:3], v[0:1], off
	s_mov_b64 s[18:19], 0
	s_waitcnt vmcnt(0)
	v_cvt_f32_f64_e32 v3, v[2:3]
	s_branch .LBB47_881
.LBB47_879:
	s_mov_b64 s[18:19], -1
                                        ; implicit-def: $vgpr3
	s_branch .LBB47_884
.LBB47_880:
	s_mov_b64 s[18:19], -1
                                        ; implicit-def: $vgpr3
.LBB47_881:
	s_andn2_b64 vcc, exec, s[18:19]
	s_cbranch_vccnz .LBB47_883
; %bb.882:
	global_load_dword v3, v[0:1], off
.LBB47_883:
	s_mov_b64 s[18:19], 0
.LBB47_884:
	s_andn2_b64 vcc, exec, s[18:19]
	s_cbranch_vccnz .LBB47_886
; %bb.885:
	global_load_ushort v2, v[0:1], off
	s_waitcnt vmcnt(0)
	v_cvt_f32_f16_e32 v3, v2
.LBB47_886:
	s_cbranch_execnz .LBB47_905
.LBB47_887:
	s_sext_i32_i16 s18, s42
	s_cmp_lt_i32 s18, 2
	s_cbranch_scc1 .LBB47_891
; %bb.888:
	s_cmp_lt_i32 s18, 3
	s_cbranch_scc1 .LBB47_892
; %bb.889:
	s_cmp_gt_i32 s18, 3
	s_cbranch_scc0 .LBB47_893
; %bb.890:
	global_load_dwordx2 v[2:3], v[0:1], off
	s_mov_b64 s[18:19], 0
	s_waitcnt vmcnt(0)
	v_xor_b32_e32 v6, v2, v3
	v_ffbh_i32_e32 v5, v3
	v_ashrrev_i32_e32 v6, 31, v6
	v_add_u32_e32 v5, -1, v5
	v_add_u32_e32 v6, 32, v6
	v_min_u32_e32 v5, v5, v6
	v_lshlrev_b64 v[2:3], v5, v[2:3]
	v_min_u32_e32 v2, 1, v2
	v_or_b32_e32 v2, v3, v2
	v_cvt_f32_i32_e32 v2, v2
	v_sub_u32_e32 v3, 32, v5
	v_ldexp_f32 v3, v2, v3
	s_branch .LBB47_894
.LBB47_891:
                                        ; implicit-def: $vgpr3
	s_branch .LBB47_900
.LBB47_892:
	s_mov_b64 s[18:19], -1
                                        ; implicit-def: $vgpr3
	s_branch .LBB47_897
.LBB47_893:
	s_mov_b64 s[18:19], -1
                                        ; implicit-def: $vgpr3
.LBB47_894:
	s_andn2_b64 vcc, exec, s[18:19]
	s_cbranch_vccnz .LBB47_896
; %bb.895:
	global_load_dword v2, v[0:1], off
	s_waitcnt vmcnt(0)
	v_cvt_f32_i32_e32 v3, v2
.LBB47_896:
	s_mov_b64 s[18:19], 0
.LBB47_897:
	s_andn2_b64 vcc, exec, s[18:19]
	s_cbranch_vccnz .LBB47_899
; %bb.898:
	global_load_sshort v2, v[0:1], off
	s_waitcnt vmcnt(0)
	v_cvt_f32_i32_e32 v3, v2
.LBB47_899:
	s_cbranch_execnz .LBB47_905
.LBB47_900:
	s_sext_i32_i16 s18, s42
	s_cmp_gt_i32 s18, 0
	s_cbranch_scc0 .LBB47_902
; %bb.901:
	global_load_sbyte v2, v[0:1], off
	s_mov_b64 s[18:19], 0
	s_waitcnt vmcnt(0)
	v_cvt_f32_i32_e32 v3, v2
	s_branch .LBB47_903
.LBB47_902:
	s_mov_b64 s[18:19], -1
                                        ; implicit-def: $vgpr3
.LBB47_903:
	s_andn2_b64 vcc, exec, s[18:19]
	s_cbranch_vccnz .LBB47_905
; %bb.904:
	global_load_ubyte v0, v[0:1], off
	s_waitcnt vmcnt(0)
	v_cvt_f32_ubyte0_e32 v3, v0
.LBB47_905:
	s_or_b64 s[0:1], s[0:1], exec
.LBB47_906:
	s_or_b64 exec, exec, s[14:15]
	s_mov_b64 s[20:21], 0
	s_mov_b64 s[18:19], 0
                                        ; implicit-def: $sgpr26
                                        ; implicit-def: $vgpr0_vgpr1
                                        ; implicit-def: $vgpr2
	s_and_saveexec_b64 s[14:15], s[0:1]
	s_cbranch_execz .LBB47_924
; %bb.907:
	s_waitcnt vmcnt(0)
	v_fma_f32 v0, |v3|, -0.5, 0.5
	v_mul_f32_e32 v1, v3, v3
	v_cmp_ge_f32_e64 vcc, |v3|, 0.5
	v_cndmask_b32_e32 v0, v1, v0, vcc
	v_mov_b32_e32 v1, 0x3c5fc5da
	v_fmac_f32_e32 v1, 0x3d1c21a7, v0
	v_mov_b32_e32 v2, 0x3d034c3c
	v_fmac_f32_e32 v2, v0, v1
	;; [unrolled: 2-line block ×4, first 2 shown]
	v_sqrt_f32_e32 v1, v0
	v_mov_b32_e32 v5, 0x3e2aaaac
	v_fmac_f32_e32 v5, v0, v2
	v_mul_f32_e32 v0, v0, v5
	v_fmac_f32_e32 v1, v1, v0
	v_mul_lo_u32 v5, v4, s2
	v_add_f32_e32 v1, v1, v1
	v_sub_f32_e32 v1, 0x3fc90fdb, v1
	v_fma_f32 v0, |v3|, v0, |v3|
	v_cmp_lt_f32_e64 vcc, |v3|, 0.5
	v_cndmask_b32_e32 v4, v1, v0, vcc
	s_brev_b32 s0, -2
	v_bfi_b32 v2, s0, v4, v3
	v_ashrrev_i32_e32 v1, 31, v5
	v_mov_b32_e32 v3, s9
	s_and_b32 s26, s33, 0xff
	v_add_co_u32_e32 v0, vcc, s8, v5
	s_cmp_lt_i32 s26, 11
	v_addc_co_u32_e32 v1, vcc, v3, v1, vcc
	s_cbranch_scc1 .LBB47_927
; %bb.908:
	s_and_b32 s27, 0xffff, s26
	s_mov_b64 s[20:21], -1
	s_cmp_gt_i32 s27, 25
	s_mov_b64 s[0:1], s[6:7]
	s_cbranch_scc0 .LBB47_945
; %bb.909:
	s_mov_b64 s[18:19], -1
	s_cmp_gt_i32 s27, 28
	s_mov_b64 s[0:1], s[6:7]
	s_cbranch_scc0 .LBB47_929
; %bb.910:
	s_cmp_gt_i32 s27, 43
	s_mov_b64 s[0:1], s[6:7]
	s_cbranch_scc0 .LBB47_921
; %bb.911:
	;; [unrolled: 4-line block ×3, first 2 shown]
	s_cmp_eq_u32 s27, 46
	s_mov_b64 s[0:1], -1
	s_cbranch_scc0 .LBB47_914
; %bb.913:
	v_bfe_u32 v3, v2, 16, 1
	s_movk_i32 s0, 0x7fff
	v_add3_u32 v3, v2, v3, s0
	v_cmp_o_f32_e32 vcc, v2, v2
	v_mov_b32_e32 v5, 0x7fc0
	v_cndmask_b32_sdwa v3, v5, v3, vcc dst_sel:DWORD dst_unused:UNUSED_PAD src0_sel:DWORD src1_sel:WORD_1
	global_store_dword v[0:1], v3, off
	s_mov_b64 s[0:1], 0
.LBB47_914:
	s_mov_b64 s[18:19], 0
.LBB47_915:
	s_and_b64 vcc, exec, s[18:19]
	s_cbranch_vccz .LBB47_920
; %bb.916:
	s_cmp_eq_u32 s27, 44
	s_mov_b64 s[0:1], -1
	s_cbranch_scc0 .LBB47_920
; %bb.917:
	v_bfe_u32 v3, v2, 23, 8
	s_movk_i32 s0, 0xff
	v_cmp_ne_u32_e32 vcc, s0, v3
	v_mov_b32_e32 v5, 0xff
	s_and_saveexec_b64 s[18:19], vcc
; %bb.918:
	s_mov_b32 s0, 0x3fffff
	v_and_b32_e32 v6, 0x400000, v2
	v_and_or_b32 v3, v2, s0, v3
	v_cmp_ne_u32_e32 vcc, 0, v6
	v_cmp_ne_u32_e64 s[0:1], 0, v3
	s_and_b64 s[0:1], vcc, s[0:1]
	v_lshrrev_b32_e32 v5, 23, v2
	v_cndmask_b32_e64 v3, 0, 1, s[0:1]
	v_add_u32_e32 v5, v5, v3
; %bb.919:
	s_or_b64 exec, exec, s[18:19]
	s_mov_b64 s[0:1], 0
	global_store_byte v[0:1], v5, off
.LBB47_920:
	s_mov_b64 s[18:19], 0
.LBB47_921:
	s_and_b64 vcc, exec, s[18:19]
	s_cbranch_vccz .LBB47_928
; %bb.922:
	s_cmp_eq_u32 s27, 29
	s_mov_b64 s[0:1], -1
	s_cbranch_scc0 .LBB47_928
; %bb.923:
	v_trunc_f32_e32 v3, v2
	v_mul_f32_e32 v5, 0x2f800000, v3
	v_floor_f32_e32 v5, v5
	v_fmac_f32_e32 v3, 0xcf800000, v5
	v_cvt_u32_f32_e32 v6, v5
	v_cvt_u32_f32_e32 v5, v3
	s_mov_b64 s[0:1], 0
	s_mov_b64 s[18:19], 0
	global_store_dwordx2 v[0:1], v[5:6], off
	s_branch .LBB47_929
.LBB47_924:
	s_or_b64 exec, exec, s[14:15]
	s_and_saveexec_b64 s[0:1], s[6:7]
	s_cbranch_execnz .LBB47_987
.LBB47_925:
	s_or_b64 exec, exec, s[0:1]
	s_and_saveexec_b64 s[0:1], s[20:21]
	s_xor_b64 s[0:1], exec, s[0:1]
	s_cbranch_execz .LBB47_988
.LBB47_926:
	s_waitcnt vmcnt(0)
	v_cmp_neq_f32_e32 vcc, 0, v2
	v_cndmask_b32_e64 v3, 0, 1, vcc
	global_store_byte v[0:1], v3, off
	s_or_b64 exec, exec, s[0:1]
	s_and_saveexec_b64 s[0:1], s[18:19]
	s_xor_b64 s[0:1], exec, s[0:1]
	s_cbranch_execz .LBB47_1026
	s_branch .LBB47_989
.LBB47_927:
	s_mov_b64 s[18:19], -1
	s_mov_b64 s[0:1], s[6:7]
	s_branch .LBB47_986
.LBB47_928:
	s_mov_b64 s[18:19], 0
.LBB47_929:
	s_and_b64 vcc, exec, s[18:19]
	s_cbranch_vccz .LBB47_944
; %bb.930:
	s_cmp_lt_i32 s27, 27
	s_mov_b64 s[18:19], -1
	s_cbranch_scc1 .LBB47_936
; %bb.931:
	v_cvt_u32_f32_e32 v3, v2
	s_cmp_gt_i32 s27, 27
	s_cbranch_scc0 .LBB47_933
; %bb.932:
	s_mov_b64 s[18:19], 0
	global_store_dword v[0:1], v3, off
.LBB47_933:
	s_andn2_b64 vcc, exec, s[18:19]
	s_cbranch_vccnz .LBB47_935
; %bb.934:
	global_store_short v[0:1], v3, off
.LBB47_935:
	s_mov_b64 s[18:19], 0
.LBB47_936:
	s_andn2_b64 vcc, exec, s[18:19]
	s_cbranch_vccnz .LBB47_944
; %bb.937:
	v_and_b32_e32 v3, 0x7fffffff, v4
	s_mov_b32 s18, 0x43800000
	v_cmp_gt_u32_e32 vcc, s18, v3
	v_mov_b32_e32 v5, 0x80
	s_and_saveexec_b64 s[18:19], vcc
	s_cbranch_execz .LBB47_943
; %bb.938:
	s_mov_b32 s20, 0x3bffffff
	v_cmp_lt_u32_e32 vcc, s20, v3
	s_mov_b64 s[20:21], 0
                                        ; implicit-def: $vgpr3
	s_and_saveexec_b64 s[22:23], vcc
	s_xor_b64 s[22:23], exec, s[22:23]
	s_cbranch_execz .LBB47_1041
; %bb.939:
	v_bfe_u32 v3, v2, 20, 1
	s_mov_b32 s24, 0x487ffff
	v_add3_u32 v3, v2, v3, s24
	s_mov_b64 s[20:21], exec
	v_lshrrev_b32_e32 v3, 20, v3
	s_andn2_saveexec_b64 s[22:23], s[22:23]
	s_cbranch_execnz .LBB47_1042
.LBB47_940:
	s_or_b64 exec, exec, s[22:23]
	v_mov_b32_e32 v5, 0
	s_and_saveexec_b64 s[22:23], s[20:21]
.LBB47_941:
	v_lshrrev_b32_e32 v5, 24, v2
	s_movk_i32 s20, 0x80
	v_and_or_b32 v5, v5, s20, v3
.LBB47_942:
	s_or_b64 exec, exec, s[22:23]
.LBB47_943:
	s_or_b64 exec, exec, s[18:19]
	global_store_byte v[0:1], v5, off
.LBB47_944:
	s_mov_b64 s[20:21], 0
.LBB47_945:
	s_mov_b64 s[18:19], 0
	s_and_b64 vcc, exec, s[20:21]
	s_cbranch_vccz .LBB47_985
; %bb.946:
	s_cmp_gt_i32 s27, 22
	s_mov_b64 s[20:21], -1
	s_cbranch_scc0 .LBB47_978
; %bb.947:
	s_cmp_lt_i32 s27, 24
	s_cbranch_scc1 .LBB47_967
; %bb.948:
	s_cmp_gt_i32 s27, 24
	s_cbranch_scc0 .LBB47_956
; %bb.949:
	v_and_b32_e32 v3, 0x7fffffff, v4
	s_mov_b32 s20, 0x47800000
	v_cmp_gt_u32_e32 vcc, s20, v3
	v_mov_b32_e32 v5, 0x80
	s_and_saveexec_b64 s[20:21], vcc
	s_cbranch_execz .LBB47_955
; %bb.950:
	s_mov_b32 s22, 0x37ffffff
	v_cmp_lt_u32_e32 vcc, s22, v3
	s_mov_b64 s[22:23], 0
                                        ; implicit-def: $vgpr3
	s_and_saveexec_b64 s[24:25], vcc
	s_xor_b64 s[24:25], exec, s[24:25]
	s_cbranch_execz .LBB47_1166
; %bb.951:
	v_bfe_u32 v3, v2, 21, 1
	s_mov_b32 s28, 0x88fffff
	v_add3_u32 v3, v2, v3, s28
	s_mov_b64 s[22:23], exec
	v_lshrrev_b32_e32 v3, 21, v3
	s_andn2_saveexec_b64 s[24:25], s[24:25]
	s_cbranch_execnz .LBB47_1167
.LBB47_952:
	s_or_b64 exec, exec, s[24:25]
	v_mov_b32_e32 v5, 0
	s_and_saveexec_b64 s[24:25], s[22:23]
.LBB47_953:
	v_lshrrev_b32_e32 v5, 24, v2
	s_movk_i32 s22, 0x80
	v_and_or_b32 v5, v5, s22, v3
.LBB47_954:
	s_or_b64 exec, exec, s[24:25]
.LBB47_955:
	s_or_b64 exec, exec, s[20:21]
	s_mov_b64 s[20:21], 0
	global_store_byte v[0:1], v5, off
.LBB47_956:
	s_and_b64 vcc, exec, s[20:21]
	s_cbranch_vccz .LBB47_966
; %bb.957:
	v_and_b32_e32 v5, 0x7fffffff, v4
	s_mov_b32 s20, 0x43f00000
	v_cmp_gt_u32_e32 vcc, s20, v5
                                        ; implicit-def: $vgpr3
	s_and_saveexec_b64 s[20:21], vcc
	s_xor_b64 s[20:21], exec, s[20:21]
	s_cbranch_execz .LBB47_963
; %bb.958:
	s_mov_b32 s22, 0x3c7fffff
	v_cmp_lt_u32_e32 vcc, s22, v5
                                        ; implicit-def: $vgpr3
	s_and_saveexec_b64 s[22:23], vcc
	s_xor_b64 s[22:23], exec, s[22:23]
; %bb.959:
	v_bfe_u32 v3, v2, 20, 1
	s_mov_b32 s24, 0x407ffff
	v_add3_u32 v3, v2, v3, s24
	v_lshrrev_b32_e32 v5, 20, v3
	v_and_b32_e32 v3, 0xff00000, v3
	s_mov_b32 s24, 0x7f00000
	v_mov_b32_e32 v6, 0x7e
	v_cmp_ne_u32_e32 vcc, s24, v3
	v_cndmask_b32_e32 v3, v6, v5, vcc
; %bb.960:
	s_andn2_saveexec_b64 s[22:23], s[22:23]
; %bb.961:
	s_mov_b32 s24, 0x46800000
	v_add_f32_e64 v3, |v4|, s24
; %bb.962:
	s_or_b64 exec, exec, s[22:23]
                                        ; implicit-def: $vgpr5
.LBB47_963:
	s_andn2_saveexec_b64 s[20:21], s[20:21]
; %bb.964:
	s_mov_b32 s22, 0x7f800000
	v_mov_b32_e32 v3, 0x7e
	v_mov_b32_e32 v6, 0x7f
	v_cmp_lt_u32_e32 vcc, s22, v5
	v_cndmask_b32_e32 v3, v3, v6, vcc
; %bb.965:
	s_or_b64 exec, exec, s[20:21]
	v_lshrrev_b32_e32 v5, 24, v2
	s_movk_i32 s20, 0x80
	v_and_or_b32 v3, v5, s20, v3
	global_store_byte v[0:1], v3, off
.LBB47_966:
	s_mov_b64 s[20:21], 0
.LBB47_967:
	s_andn2_b64 vcc, exec, s[20:21]
	s_cbranch_vccnz .LBB47_977
; %bb.968:
	v_and_b32_e32 v5, 0x7fffffff, v4
	s_mov_b32 s20, 0x47800000
	v_cmp_gt_u32_e32 vcc, s20, v5
                                        ; implicit-def: $vgpr3
	s_and_saveexec_b64 s[20:21], vcc
	s_xor_b64 s[20:21], exec, s[20:21]
	s_cbranch_execz .LBB47_974
; %bb.969:
	s_mov_b32 s22, 0x387fffff
	v_cmp_lt_u32_e32 vcc, s22, v5
                                        ; implicit-def: $vgpr3
	s_and_saveexec_b64 s[22:23], vcc
	s_xor_b64 s[22:23], exec, s[22:23]
; %bb.970:
	v_bfe_u32 v3, v2, 21, 1
	s_mov_b32 s24, 0x80fffff
	v_add3_u32 v3, v2, v3, s24
	v_lshrrev_b32_e32 v3, 21, v3
                                        ; implicit-def: $vgpr4
; %bb.971:
	s_andn2_saveexec_b64 s[22:23], s[22:23]
; %bb.972:
	s_mov_b32 s24, 0x43000000
	v_add_f32_e64 v3, |v4|, s24
; %bb.973:
	s_or_b64 exec, exec, s[22:23]
                                        ; implicit-def: $vgpr5
.LBB47_974:
	s_andn2_saveexec_b64 s[20:21], s[20:21]
; %bb.975:
	s_mov_b32 s22, 0x7f800000
	v_mov_b32_e32 v3, 0x7c
	v_mov_b32_e32 v4, 0x7f
	v_cmp_lt_u32_e32 vcc, s22, v5
	v_cndmask_b32_e32 v3, v3, v4, vcc
; %bb.976:
	s_or_b64 exec, exec, s[20:21]
	v_lshrrev_b32_e32 v4, 24, v2
	s_movk_i32 s20, 0x80
	v_and_or_b32 v3, v4, s20, v3
	global_store_byte v[0:1], v3, off
.LBB47_977:
	s_mov_b64 s[20:21], 0
.LBB47_978:
	s_andn2_b64 vcc, exec, s[20:21]
	s_mov_b64 s[20:21], 0
	s_cbranch_vccnz .LBB47_986
; %bb.979:
	s_cmp_gt_i32 s27, 14
	s_mov_b64 s[22:23], -1
	s_cbranch_scc0 .LBB47_983
; %bb.980:
	s_cmp_eq_u32 s27, 15
	s_mov_b64 s[0:1], -1
	s_cbranch_scc0 .LBB47_982
; %bb.981:
	v_bfe_u32 v3, v2, 16, 1
	s_movk_i32 s0, 0x7fff
	v_add3_u32 v3, v2, v3, s0
	v_cmp_o_f32_e32 vcc, v2, v2
	v_mov_b32_e32 v4, 0x7fc0
	v_cndmask_b32_sdwa v3, v4, v3, vcc dst_sel:DWORD dst_unused:UNUSED_PAD src0_sel:DWORD src1_sel:WORD_1
	global_store_short v[0:1], v3, off
	s_mov_b64 s[0:1], 0
.LBB47_982:
	s_mov_b64 s[22:23], 0
.LBB47_983:
	s_and_b64 vcc, exec, s[22:23]
	s_cbranch_vccz .LBB47_986
; %bb.984:
	s_cmp_lg_u32 s27, 11
	s_cselect_b64 s[22:23], -1, 0
	s_andn2_b64 s[0:1], s[0:1], exec
	s_and_b64 s[22:23], s[22:23], exec
	s_mov_b64 s[20:21], -1
	s_or_b64 s[0:1], s[0:1], s[22:23]
	s_branch .LBB47_986
.LBB47_985:
	s_mov_b64 s[20:21], 0
.LBB47_986:
	s_andn2_b64 s[6:7], s[6:7], exec
	s_and_b64 s[0:1], s[0:1], exec
	s_and_b64 s[18:19], s[18:19], exec
	;; [unrolled: 1-line block ×3, first 2 shown]
	s_or_b64 s[6:7], s[6:7], s[0:1]
	s_or_b64 exec, exec, s[14:15]
	s_and_saveexec_b64 s[0:1], s[6:7]
	s_cbranch_execz .LBB47_925
.LBB47_987:
	s_or_b64 s[16:17], s[16:17], exec
	s_andn2_b64 s[20:21], s[20:21], exec
	s_trap 2
	s_or_b64 exec, exec, s[0:1]
	s_and_saveexec_b64 s[0:1], s[20:21]
	s_xor_b64 s[0:1], exec, s[0:1]
	s_cbranch_execnz .LBB47_926
.LBB47_988:
	s_or_b64 exec, exec, s[0:1]
	s_and_saveexec_b64 s[0:1], s[18:19]
	s_xor_b64 s[0:1], exec, s[0:1]
	s_cbranch_execz .LBB47_1026
.LBB47_989:
	s_sext_i32_i16 s14, s26
	s_cmp_lt_i32 s14, 5
	s_mov_b64 s[6:7], -1
	s_cbranch_scc1 .LBB47_1010
; %bb.990:
	s_cmp_lt_i32 s14, 8
	s_cbranch_scc1 .LBB47_1000
; %bb.991:
	s_cmp_lt_i32 s14, 9
	s_cbranch_scc1 .LBB47_997
; %bb.992:
	s_cmp_gt_i32 s14, 9
	s_cbranch_scc0 .LBB47_994
; %bb.993:
	s_waitcnt vmcnt(0)
	v_cvt_f64_f32_e32 v[3:4], v2
	v_mov_b32_e32 v5, 0
	v_mov_b32_e32 v6, v5
	s_mov_b64 s[6:7], 0
	global_store_dwordx4 v[0:1], v[3:6], off
.LBB47_994:
	s_andn2_b64 vcc, exec, s[6:7]
	s_cbranch_vccnz .LBB47_996
; %bb.995:
	s_waitcnt vmcnt(0)
	v_mov_b32_e32 v3, 0
	global_store_dwordx2 v[0:1], v[2:3], off
.LBB47_996:
	s_mov_b64 s[6:7], 0
.LBB47_997:
	s_andn2_b64 vcc, exec, s[6:7]
	s_cbranch_vccnz .LBB47_999
; %bb.998:
	s_waitcnt vmcnt(0)
	v_cvt_f16_f32_e32 v3, v2
	global_store_dword v[0:1], v3, off
.LBB47_999:
	s_mov_b64 s[6:7], 0
.LBB47_1000:
	s_andn2_b64 vcc, exec, s[6:7]
	s_cbranch_vccnz .LBB47_1009
; %bb.1001:
	s_sext_i32_i16 s14, s26
	s_cmp_lt_i32 s14, 6
	s_mov_b64 s[6:7], -1
	s_cbranch_scc1 .LBB47_1007
; %bb.1002:
	s_cmp_gt_i32 s14, 6
	s_cbranch_scc0 .LBB47_1004
; %bb.1003:
	s_waitcnt vmcnt(0)
	v_cvt_f64_f32_e32 v[3:4], v2
	s_mov_b64 s[6:7], 0
	global_store_dwordx2 v[0:1], v[3:4], off
.LBB47_1004:
	s_andn2_b64 vcc, exec, s[6:7]
	s_cbranch_vccnz .LBB47_1006
; %bb.1005:
	s_waitcnt vmcnt(0)
	global_store_dword v[0:1], v2, off
.LBB47_1006:
	s_mov_b64 s[6:7], 0
.LBB47_1007:
	s_andn2_b64 vcc, exec, s[6:7]
	s_cbranch_vccnz .LBB47_1009
; %bb.1008:
	s_waitcnt vmcnt(0)
	v_cvt_f16_f32_e32 v3, v2
	global_store_short v[0:1], v3, off
.LBB47_1009:
	s_mov_b64 s[6:7], 0
.LBB47_1010:
	s_andn2_b64 vcc, exec, s[6:7]
	s_cbranch_vccnz .LBB47_1026
; %bb.1011:
	s_sext_i32_i16 s14, s26
	s_cmp_lt_i32 s14, 2
	s_mov_b64 s[6:7], -1
	s_cbranch_scc1 .LBB47_1021
; %bb.1012:
	s_cmp_lt_i32 s14, 3
	s_cbranch_scc1 .LBB47_1018
; %bb.1013:
	s_cmp_gt_i32 s14, 3
	s_cbranch_scc0 .LBB47_1015
; %bb.1014:
	s_waitcnt vmcnt(0)
	v_trunc_f32_e32 v3, v2
	s_mov_b32 s6, 0x2f800000
	v_mul_f32_e64 v4, |v3|, s6
	v_floor_f32_e32 v4, v4
	s_mov_b32 s6, 0xcf800000
	v_cvt_u32_f32_e32 v5, v4
	v_fma_f32 v4, v4, s6, |v3|
	v_cvt_u32_f32_e32 v4, v4
	v_ashrrev_i32_e32 v6, 31, v3
	v_xor_b32_e32 v5, v5, v6
	s_mov_b64 s[6:7], 0
	v_xor_b32_e32 v3, v4, v6
	v_sub_co_u32_e32 v3, vcc, v3, v6
	v_subb_co_u32_e32 v4, vcc, v5, v6, vcc
	global_store_dwordx2 v[0:1], v[3:4], off
.LBB47_1015:
	s_andn2_b64 vcc, exec, s[6:7]
	s_cbranch_vccnz .LBB47_1017
; %bb.1016:
	s_waitcnt vmcnt(0)
	v_cvt_i32_f32_e32 v3, v2
	global_store_dword v[0:1], v3, off
.LBB47_1017:
	s_mov_b64 s[6:7], 0
.LBB47_1018:
	s_andn2_b64 vcc, exec, s[6:7]
	s_cbranch_vccnz .LBB47_1020
; %bb.1019:
	s_waitcnt vmcnt(0)
	v_cvt_i32_f32_e32 v3, v2
	global_store_short v[0:1], v3, off
.LBB47_1020:
	s_mov_b64 s[6:7], 0
.LBB47_1021:
	s_andn2_b64 vcc, exec, s[6:7]
	s_cbranch_vccnz .LBB47_1026
; %bb.1022:
	s_sext_i32_i16 s6, s26
	s_cmp_gt_i32 s6, 0
	s_mov_b64 s[6:7], -1
	s_cbranch_scc0 .LBB47_1024
; %bb.1023:
	s_waitcnt vmcnt(0)
	v_cvt_i32_f32_e32 v3, v2
	s_mov_b64 s[6:7], 0
	global_store_byte v[0:1], v3, off
.LBB47_1024:
	s_andn2_b64 vcc, exec, s[6:7]
	s_cbranch_vccnz .LBB47_1026
; %bb.1025:
	s_waitcnt vmcnt(0)
	v_trunc_f32_e32 v2, v2
	s_mov_b32 s6, 0x2f800000
	v_mul_f32_e64 v3, |v2|, s6
	v_floor_f32_e32 v3, v3
	s_mov_b32 s6, 0xcf800000
	v_fma_f32 v3, v3, s6, |v2|
	v_cvt_u32_f32_e32 v3, v3
	v_ashrrev_i32_e32 v2, 31, v2
	v_xor_b32_e32 v3, v3, v2
	v_sub_u32_e32 v2, v3, v2
	global_store_byte v[0:1], v2, off
.LBB47_1026:
	s_or_b64 exec, exec, s[0:1]
	s_and_b64 s[6:7], s[16:17], exec
                                        ; implicit-def: $vgpr4
.LBB47_1027:
	s_or_saveexec_b64 s[4:5], s[4:5]
	s_mov_b64 s[0:1], 0
                                        ; implicit-def: $sgpr20
                                        ; implicit-def: $vgpr0_vgpr1
                                        ; implicit-def: $vgpr2
	s_xor_b64 exec, exec, s[4:5]
	s_cbranch_execz .LBB47_1975
; %bb.1028:
	s_waitcnt vmcnt(0)
	v_mul_lo_u32 v3, s3, v4
	v_mov_b32_e32 v1, s11
	s_and_b32 s22, 0xffff, s42
	s_cmp_lt_i32 s22, 11
	v_ashrrev_i32_e32 v2, 31, v3
	v_add_co_u32_e32 v0, vcc, s10, v3
	v_addc_co_u32_e32 v1, vcc, v1, v2, vcc
	s_cbranch_scc1 .LBB47_1035
; %bb.1029:
	s_cmp_gt_i32 s22, 25
	s_cbranch_scc0 .LBB47_1037
; %bb.1030:
	s_cmp_gt_i32 s22, 28
	s_cbranch_scc0 .LBB47_1038
	;; [unrolled: 3-line block ×4, first 2 shown]
; %bb.1033:
	s_cmp_eq_u32 s22, 46
	s_mov_b64 s[14:15], 0
	s_cbranch_scc0 .LBB47_1043
; %bb.1034:
	global_load_dword v2, v[0:1], off
	s_mov_b64 s[16:17], -1
	s_waitcnt vmcnt(0)
	v_lshlrev_b32_e32 v2, 16, v2
	s_branch .LBB47_1044
.LBB47_1035:
	s_mov_b64 s[16:17], 0
                                        ; implicit-def: $vgpr2
	s_mov_b64 s[14:15], s[6:7]
	s_cbranch_execnz .LBB47_1107
.LBB47_1036:
	s_andn2_b64 vcc, exec, s[16:17]
	s_cbranch_vccz .LBB47_1152
	s_branch .LBB47_1973
.LBB47_1037:
	s_mov_b64 s[16:17], 0
                                        ; implicit-def: $vgpr2
	s_cbranch_execnz .LBB47_1072
	s_branch .LBB47_1103
.LBB47_1038:
	s_mov_b64 s[14:15], -1
	s_mov_b64 s[16:17], 0
                                        ; implicit-def: $vgpr2
	s_branch .LBB47_1053
.LBB47_1039:
	s_mov_b64 s[16:17], 0
                                        ; implicit-def: $vgpr2
	s_cbranch_execnz .LBB47_1049
	s_branch .LBB47_1052
.LBB47_1040:
	s_mov_b64 s[14:15], -1
	s_mov_b64 s[16:17], 0
                                        ; implicit-def: $vgpr2
	s_branch .LBB47_1044
.LBB47_1041:
	s_andn2_saveexec_b64 s[22:23], s[22:23]
	s_cbranch_execz .LBB47_940
.LBB47_1042:
	s_mov_b32 s24, 0x46000000
	v_add_f32_e64 v3, |v4|, s24
	v_and_b32_e32 v3, 0xff, v3
	v_cmp_ne_u32_e32 vcc, 0, v3
	s_andn2_b64 s[20:21], s[20:21], exec
	s_and_b64 s[24:25], vcc, exec
	s_or_b64 s[20:21], s[20:21], s[24:25]
	s_or_b64 exec, exec, s[22:23]
	v_mov_b32_e32 v5, 0
	s_and_saveexec_b64 s[22:23], s[20:21]
	s_cbranch_execnz .LBB47_941
	s_branch .LBB47_942
.LBB47_1043:
	s_mov_b64 s[0:1], -1
                                        ; implicit-def: $vgpr2
	s_mov_b64 s[16:17], 0
.LBB47_1044:
	s_and_b64 vcc, exec, s[14:15]
	s_cbranch_vccz .LBB47_1047
; %bb.1045:
	s_cmp_eq_u32 s22, 44
	s_cbranch_scc0 .LBB47_1048
; %bb.1046:
	global_load_ubyte v2, v[0:1], off
	s_movk_i32 s14, 0xff
	v_mov_b32_e32 v5, 0x7f800001
	v_mov_b32_e32 v6, 0x400000
	s_mov_b64 s[0:1], 0
	s_mov_b64 s[16:17], -1
	s_waitcnt vmcnt(0)
	v_lshlrev_b32_e32 v7, 23, v2
	v_cmp_ne_u32_e32 vcc, s14, v2
	v_cndmask_b32_e32 v5, v5, v7, vcc
	v_cmp_ne_u32_e32 vcc, 0, v2
	v_cndmask_b32_e32 v2, v6, v5, vcc
.LBB47_1047:
	s_branch .LBB47_1052
.LBB47_1048:
	s_mov_b64 s[0:1], -1
                                        ; implicit-def: $vgpr2
	s_branch .LBB47_1052
.LBB47_1049:
	s_cmp_eq_u32 s22, 29
	s_cbranch_scc0 .LBB47_1051
; %bb.1050:
	global_load_dwordx2 v[5:6], v[0:1], off
	s_mov_b64 s[0:1], 0
	s_mov_b64 s[16:17], -1
	s_mov_b64 s[14:15], 0
	s_waitcnt vmcnt(0)
	v_ffbh_u32_e32 v2, v6
	v_min_u32_e32 v2, 32, v2
	v_lshlrev_b64 v[5:6], v2, v[5:6]
	v_sub_u32_e32 v2, 32, v2
	v_min_u32_e32 v5, 1, v5
	v_or_b32_e32 v5, v6, v5
	v_cvt_f32_u32_e32 v5, v5
	v_ldexp_f32 v2, v5, v2
	s_branch .LBB47_1053
.LBB47_1051:
	s_mov_b64 s[0:1], -1
                                        ; implicit-def: $vgpr2
.LBB47_1052:
	s_mov_b64 s[14:15], 0
.LBB47_1053:
	s_and_b64 vcc, exec, s[14:15]
	s_cbranch_vccz .LBB47_1071
; %bb.1054:
	s_cmp_lt_i32 s22, 27
	s_cbranch_scc1 .LBB47_1057
; %bb.1055:
	s_cmp_gt_i32 s22, 27
	s_cbranch_scc0 .LBB47_1058
; %bb.1056:
	global_load_dword v2, v[0:1], off
	s_mov_b64 s[14:15], 0
	s_waitcnt vmcnt(0)
	v_cvt_f32_u32_e32 v2, v2
	s_branch .LBB47_1059
.LBB47_1057:
	s_mov_b64 s[14:15], -1
                                        ; implicit-def: $vgpr2
	s_branch .LBB47_1062
.LBB47_1058:
	s_mov_b64 s[14:15], -1
                                        ; implicit-def: $vgpr2
.LBB47_1059:
	s_andn2_b64 vcc, exec, s[14:15]
	s_cbranch_vccnz .LBB47_1061
; %bb.1060:
	global_load_ushort v2, v[0:1], off
	s_waitcnt vmcnt(0)
	v_cvt_f32_u32_e32 v2, v2
.LBB47_1061:
	s_mov_b64 s[14:15], 0
.LBB47_1062:
	s_andn2_b64 vcc, exec, s[14:15]
	s_cbranch_vccnz .LBB47_1070
; %bb.1063:
	global_load_ubyte v5, v[0:1], off
	s_movk_i32 s14, 0x7f
	s_waitcnt vmcnt(0)
	v_cmp_lt_i16_e32 vcc, s14, v5
	s_mov_b64 s[14:15], 0
	s_and_saveexec_b64 s[16:17], vcc
	s_xor_b64 s[16:17], exec, s[16:17]
	s_cbranch_execz .LBB47_1083
; %bb.1064:
	s_movk_i32 s14, 0x80
	v_cmp_eq_u16_e32 vcc, s14, v5
	s_mov_b64 s[14:15], -1
	s_and_saveexec_b64 s[18:19], vcc
; %bb.1065:
	s_xor_b64 s[14:15], exec, -1
; %bb.1066:
	s_or_b64 exec, exec, s[18:19]
	s_and_b64 s[14:15], s[14:15], exec
	s_or_saveexec_b64 s[16:17], s[16:17]
	v_mov_b32_e32 v2, 0x7f800001
	s_xor_b64 exec, exec, s[16:17]
	s_cbranch_execnz .LBB47_1084
.LBB47_1067:
	s_or_b64 exec, exec, s[16:17]
	s_and_saveexec_b64 s[16:17], s[14:15]
	s_cbranch_execz .LBB47_1069
.LBB47_1068:
	v_lshlrev_b32_e32 v2, 24, v5
	v_and_b32_e32 v5, 0xffff, v5
	v_and_b32_e32 v6, 7, v5
	v_ffbh_u32_e32 v8, v6
	v_min_u32_e32 v8, 32, v8
	v_subrev_u32_e32 v9, 28, v8
	v_bfe_u32 v7, v5, 3, 4
	v_lshlrev_b32_e32 v5, v9, v5
	v_sub_u32_e32 v8, 29, v8
	v_and_b32_e32 v5, 7, v5
	v_cmp_eq_u32_e32 vcc, 0, v7
	v_cndmask_b32_e32 v7, v7, v8, vcc
	v_cndmask_b32_e32 v5, v6, v5, vcc
	v_mov_b32_e32 v6, 0x3b800000
	v_lshlrev_b32_e32 v5, 20, v5
	v_and_b32_e32 v2, 0x80000000, v2
	v_lshl_add_u32 v6, v7, 23, v6
	v_or3_b32 v2, v2, v6, v5
.LBB47_1069:
	s_or_b64 exec, exec, s[16:17]
.LBB47_1070:
	s_mov_b64 s[16:17], -1
.LBB47_1071:
	s_branch .LBB47_1103
.LBB47_1072:
	s_cmp_gt_i32 s22, 22
	s_cbranch_scc0 .LBB47_1082
; %bb.1073:
	s_cmp_lt_i32 s22, 24
	s_cbranch_scc1 .LBB47_1085
; %bb.1074:
	s_cmp_gt_i32 s22, 24
	s_cbranch_scc0 .LBB47_1086
; %bb.1075:
	global_load_ubyte v5, v[0:1], off
	s_movk_i32 s12, 0x7f
	s_waitcnt vmcnt(0)
	v_cmp_lt_i16_e32 vcc, s12, v5
	s_mov_b64 s[12:13], 0
	s_and_saveexec_b64 s[14:15], vcc
	s_xor_b64 s[14:15], exec, s[14:15]
	s_cbranch_execz .LBB47_1097
; %bb.1076:
	s_movk_i32 s12, 0x80
	v_cmp_eq_u16_e32 vcc, s12, v5
	s_mov_b64 s[12:13], -1
	s_and_saveexec_b64 s[16:17], vcc
; %bb.1077:
	s_xor_b64 s[12:13], exec, -1
; %bb.1078:
	s_or_b64 exec, exec, s[16:17]
	s_and_b64 s[12:13], s[12:13], exec
	s_or_saveexec_b64 s[14:15], s[14:15]
	v_mov_b32_e32 v2, 0x7f800001
	s_xor_b64 exec, exec, s[14:15]
	s_cbranch_execnz .LBB47_1098
.LBB47_1079:
	s_or_b64 exec, exec, s[14:15]
	s_and_saveexec_b64 s[14:15], s[12:13]
	s_cbranch_execz .LBB47_1081
.LBB47_1080:
	v_lshlrev_b32_e32 v2, 24, v5
	v_and_b32_e32 v5, 0xffff, v5
	v_and_b32_e32 v6, 3, v5
	v_ffbh_u32_e32 v8, v6
	v_min_u32_e32 v8, 32, v8
	v_subrev_u32_e32 v9, 29, v8
	v_bfe_u32 v7, v5, 2, 5
	v_lshlrev_b32_e32 v5, v9, v5
	v_sub_u32_e32 v8, 30, v8
	v_and_b32_e32 v5, 3, v5
	v_cmp_eq_u32_e32 vcc, 0, v7
	v_cndmask_b32_e32 v7, v7, v8, vcc
	v_cndmask_b32_e32 v5, v6, v5, vcc
	v_mov_b32_e32 v6, 0x37800000
	v_lshlrev_b32_e32 v5, 21, v5
	v_and_b32_e32 v2, 0x80000000, v2
	v_lshl_add_u32 v6, v7, 23, v6
	v_or3_b32 v2, v2, v6, v5
.LBB47_1081:
	s_or_b64 exec, exec, s[14:15]
	s_mov_b64 s[12:13], 0
	s_branch .LBB47_1087
.LBB47_1082:
                                        ; implicit-def: $vgpr2
	s_mov_b64 s[12:13], 0
	s_branch .LBB47_1093
.LBB47_1083:
	s_or_saveexec_b64 s[16:17], s[16:17]
	v_mov_b32_e32 v2, 0x7f800001
	s_xor_b64 exec, exec, s[16:17]
	s_cbranch_execz .LBB47_1067
.LBB47_1084:
	v_cmp_ne_u16_e32 vcc, 0, v5
	s_andn2_b64 s[14:15], s[14:15], exec
	s_and_b64 s[18:19], vcc, exec
	v_mov_b32_e32 v2, 0
	s_or_b64 s[14:15], s[14:15], s[18:19]
	s_or_b64 exec, exec, s[16:17]
	s_and_saveexec_b64 s[16:17], s[14:15]
	s_cbranch_execnz .LBB47_1068
	s_branch .LBB47_1069
.LBB47_1085:
	s_mov_b64 s[12:13], -1
                                        ; implicit-def: $vgpr2
	s_branch .LBB47_1090
.LBB47_1086:
	s_mov_b64 s[12:13], -1
                                        ; implicit-def: $vgpr2
.LBB47_1087:
	s_and_b64 vcc, exec, s[12:13]
	s_cbranch_vccz .LBB47_1089
; %bb.1088:
	global_load_ubyte v2, v[0:1], off
	s_mov_b32 s12, 0x7f800000
	s_waitcnt vmcnt(0)
	v_lshlrev_b32_e32 v2, 24, v2
	v_and_b32_e32 v5, 0x7f000000, v2
	v_ffbh_u32_e32 v6, v5
	v_min_u32_e32 v6, 32, v6
	v_sub_u32_e64 v6, v6, 4 clamp
	v_lshlrev_b32_e32 v8, v6, v5
	v_lshlrev_b32_e32 v6, 23, v6
	v_lshrrev_b32_e32 v8, 4, v8
	v_add_u32_e32 v7, 0x1000000, v5
	v_sub_u32_e32 v6, v8, v6
	v_ashrrev_i32_e32 v7, 8, v7
	v_add_u32_e32 v6, 0x3c000000, v6
	v_and_or_b32 v6, v7, s12, v6
	v_cmp_ne_u32_e32 vcc, 0, v5
	v_cndmask_b32_e32 v5, 0, v6, vcc
	s_brev_b32 s12, 1
	v_and_or_b32 v2, v2, s12, v5
.LBB47_1089:
	s_mov_b64 s[12:13], 0
.LBB47_1090:
	s_andn2_b64 vcc, exec, s[12:13]
	s_cbranch_vccnz .LBB47_1092
; %bb.1091:
	global_load_ubyte v2, v[0:1], off
	s_movk_i32 s12, 0x7f00
	s_brev_b32 s13, 16
	s_waitcnt vmcnt(0)
	v_lshlrev_b16_e32 v5, 8, v2
	v_lshlrev_b32_e32 v2, 25, v2
	v_lshrrev_b32_e32 v6, 4, v2
	v_and_or_b32 v7, v5, s12, 0.5
	v_or_b32_e32 v6, 0x70000000, v6
	v_add_f32_e32 v7, -0.5, v7
	v_mul_f32_e32 v6, 0x7800000, v6
	v_cmp_gt_u32_e32 vcc, s13, v2
	v_bfe_i32 v5, v5, 0, 16
	v_cndmask_b32_e32 v2, v6, v7, vcc
	s_brev_b32 s12, 1
	v_and_or_b32 v2, v5, s12, v2
.LBB47_1092:
	s_mov_b64 s[16:17], -1
	s_mov_b64 s[12:13], 0
	s_cbranch_execnz .LBB47_1103
.LBB47_1093:
	s_cmp_gt_i32 s22, 14
	s_cbranch_scc0 .LBB47_1096
; %bb.1094:
	s_cmp_eq_u32 s22, 15
	s_cbranch_scc0 .LBB47_1099
; %bb.1095:
	global_load_ushort v2, v[0:1], off
	s_mov_b64 s[0:1], 0
	s_mov_b64 s[16:17], -1
	s_waitcnt vmcnt(0)
	v_lshlrev_b32_e32 v2, 16, v2
	s_branch .LBB47_1100
.LBB47_1096:
	s_mov_b64 s[14:15], -1
                                        ; implicit-def: $vgpr2
	s_branch .LBB47_1101
.LBB47_1097:
	s_or_saveexec_b64 s[14:15], s[14:15]
	v_mov_b32_e32 v2, 0x7f800001
	s_xor_b64 exec, exec, s[14:15]
	s_cbranch_execz .LBB47_1079
.LBB47_1098:
	v_cmp_ne_u16_e32 vcc, 0, v5
	s_andn2_b64 s[12:13], s[12:13], exec
	s_and_b64 s[16:17], vcc, exec
	v_mov_b32_e32 v2, 0
	s_or_b64 s[12:13], s[12:13], s[16:17]
	s_or_b64 exec, exec, s[14:15]
	s_and_saveexec_b64 s[14:15], s[12:13]
	s_cbranch_execnz .LBB47_1080
	s_branch .LBB47_1081
.LBB47_1099:
	s_mov_b64 s[0:1], -1
                                        ; implicit-def: $vgpr2
.LBB47_1100:
	s_mov_b64 s[14:15], 0
.LBB47_1101:
	s_and_b64 vcc, exec, s[14:15]
	s_cbranch_vccz .LBB47_1103
; %bb.1102:
	s_cmp_lg_u32 s22, 11
	s_mov_b64 s[12:13], -1
	s_cselect_b64 s[0:1], -1, 0
.LBB47_1103:
	s_and_b64 vcc, exec, s[0:1]
	s_mov_b64 s[14:15], s[6:7]
	s_cbranch_vccnz .LBB47_1164
; %bb.1104:
	s_andn2_b64 vcc, exec, s[12:13]
	s_cbranch_vccnz .LBB47_1106
.LBB47_1105:
	global_load_ubyte v2, v[0:1], off
	s_mov_b64 s[16:17], -1
	s_waitcnt vmcnt(0)
	v_cmp_ne_u16_e32 vcc, 0, v2
	v_cndmask_b32_e64 v2, 0, 1.0, vcc
.LBB47_1106:
	s_branch .LBB47_1036
.LBB47_1107:
	s_cmp_lt_i32 s22, 5
	s_cbranch_scc1 .LBB47_1112
; %bb.1108:
	s_cmp_lt_i32 s22, 8
	s_cbranch_scc1 .LBB47_1113
; %bb.1109:
	;; [unrolled: 3-line block ×3, first 2 shown]
	s_cmp_gt_i32 s22, 9
	s_cbranch_scc0 .LBB47_1115
; %bb.1111:
	global_load_dwordx2 v[5:6], v[0:1], off
	s_mov_b64 s[0:1], 0
	s_waitcnt vmcnt(0)
	v_cvt_f32_f64_e32 v2, v[5:6]
	s_branch .LBB47_1116
.LBB47_1112:
                                        ; implicit-def: $vgpr2
	s_branch .LBB47_1133
.LBB47_1113:
                                        ; implicit-def: $vgpr2
	s_branch .LBB47_1122
.LBB47_1114:
	s_mov_b64 s[0:1], -1
                                        ; implicit-def: $vgpr2
	s_branch .LBB47_1119
.LBB47_1115:
	s_mov_b64 s[0:1], -1
                                        ; implicit-def: $vgpr2
.LBB47_1116:
	s_andn2_b64 vcc, exec, s[0:1]
	s_cbranch_vccnz .LBB47_1118
; %bb.1117:
	global_load_dword v2, v[0:1], off
.LBB47_1118:
	s_mov_b64 s[0:1], 0
.LBB47_1119:
	s_andn2_b64 vcc, exec, s[0:1]
	s_cbranch_vccnz .LBB47_1121
; %bb.1120:
	global_load_dword v2, v[0:1], off
	s_waitcnt vmcnt(0)
	v_cvt_f32_f16_e32 v2, v2
.LBB47_1121:
	s_cbranch_execnz .LBB47_1132
.LBB47_1122:
	s_cmp_lt_i32 s22, 6
	s_cbranch_scc1 .LBB47_1125
; %bb.1123:
	s_cmp_gt_i32 s22, 6
	s_cbranch_scc0 .LBB47_1126
; %bb.1124:
	global_load_dwordx2 v[5:6], v[0:1], off
	s_mov_b64 s[0:1], 0
	s_waitcnt vmcnt(0)
	v_cvt_f32_f64_e32 v2, v[5:6]
	s_branch .LBB47_1127
.LBB47_1125:
	s_mov_b64 s[0:1], -1
                                        ; implicit-def: $vgpr2
	s_branch .LBB47_1130
.LBB47_1126:
	s_mov_b64 s[0:1], -1
                                        ; implicit-def: $vgpr2
.LBB47_1127:
	s_andn2_b64 vcc, exec, s[0:1]
	s_cbranch_vccnz .LBB47_1129
; %bb.1128:
	global_load_dword v2, v[0:1], off
.LBB47_1129:
	s_mov_b64 s[0:1], 0
.LBB47_1130:
	s_andn2_b64 vcc, exec, s[0:1]
	s_cbranch_vccnz .LBB47_1132
; %bb.1131:
	global_load_ushort v2, v[0:1], off
	s_waitcnt vmcnt(0)
	v_cvt_f32_f16_e32 v2, v2
.LBB47_1132:
	s_cbranch_execnz .LBB47_1151
.LBB47_1133:
	s_cmp_lt_i32 s22, 2
	s_cbranch_scc1 .LBB47_1137
; %bb.1134:
	s_cmp_lt_i32 s22, 3
	s_cbranch_scc1 .LBB47_1138
; %bb.1135:
	s_cmp_gt_i32 s22, 3
	s_cbranch_scc0 .LBB47_1139
; %bb.1136:
	global_load_dwordx2 v[5:6], v[0:1], off
	s_mov_b64 s[0:1], 0
	s_waitcnt vmcnt(0)
	v_xor_b32_e32 v7, v5, v6
	v_ffbh_i32_e32 v2, v6
	v_ashrrev_i32_e32 v7, 31, v7
	v_add_u32_e32 v2, -1, v2
	v_add_u32_e32 v7, 32, v7
	v_min_u32_e32 v2, v2, v7
	v_lshlrev_b64 v[5:6], v2, v[5:6]
	v_sub_u32_e32 v2, 32, v2
	v_min_u32_e32 v5, 1, v5
	v_or_b32_e32 v5, v6, v5
	v_cvt_f32_i32_e32 v5, v5
	v_ldexp_f32 v2, v5, v2
	s_branch .LBB47_1140
.LBB47_1137:
                                        ; implicit-def: $vgpr2
	s_branch .LBB47_1146
.LBB47_1138:
	s_mov_b64 s[0:1], -1
                                        ; implicit-def: $vgpr2
	s_branch .LBB47_1143
.LBB47_1139:
	s_mov_b64 s[0:1], -1
                                        ; implicit-def: $vgpr2
.LBB47_1140:
	s_andn2_b64 vcc, exec, s[0:1]
	s_cbranch_vccnz .LBB47_1142
; %bb.1141:
	global_load_dword v2, v[0:1], off
	s_waitcnt vmcnt(0)
	v_cvt_f32_i32_e32 v2, v2
.LBB47_1142:
	s_mov_b64 s[0:1], 0
.LBB47_1143:
	s_andn2_b64 vcc, exec, s[0:1]
	s_cbranch_vccnz .LBB47_1145
; %bb.1144:
	global_load_sshort v2, v[0:1], off
	s_waitcnt vmcnt(0)
	v_cvt_f32_i32_e32 v2, v2
.LBB47_1145:
	s_cbranch_execnz .LBB47_1151
.LBB47_1146:
	s_cmp_gt_i32 s22, 0
	s_cbranch_scc0 .LBB47_1148
; %bb.1147:
	global_load_sbyte v2, v[0:1], off
	s_mov_b64 s[0:1], 0
	s_waitcnt vmcnt(0)
	v_cvt_f32_i32_e32 v2, v2
	s_branch .LBB47_1149
.LBB47_1148:
	s_mov_b64 s[0:1], -1
                                        ; implicit-def: $vgpr2
.LBB47_1149:
	s_andn2_b64 vcc, exec, s[0:1]
	s_cbranch_vccnz .LBB47_1151
; %bb.1150:
	global_load_ubyte v0, v[0:1], off
	s_waitcnt vmcnt(0)
	v_cvt_f32_ubyte0_e32 v2, v0
.LBB47_1151:
.LBB47_1152:
	s_lshl_b32 s3, s3, 7
	v_add_u32_e32 v3, s3, v3
	v_ashrrev_i32_e32 v1, 31, v3
	v_mov_b32_e32 v5, s11
	v_add_co_u32_e32 v0, vcc, s10, v3
	s_cmp_lt_i32 s22, 11
	v_addc_co_u32_e32 v1, vcc, v5, v1, vcc
	s_cbranch_scc1 .LBB47_1159
; %bb.1153:
	s_cmp_gt_i32 s22, 25
	s_mov_b64 s[12:13], 0
	s_cbranch_scc0 .LBB47_1161
; %bb.1154:
	s_cmp_gt_i32 s22, 28
	s_cbranch_scc0 .LBB47_1162
; %bb.1155:
	s_cmp_gt_i32 s22, 43
	;; [unrolled: 3-line block ×3, first 2 shown]
	s_cbranch_scc0 .LBB47_1165
; %bb.1157:
	s_cmp_eq_u32 s22, 46
	s_mov_b64 s[18:19], 0
	s_cbranch_scc0 .LBB47_1168
; %bb.1158:
	global_load_dword v5, v[0:1], off
	s_mov_b64 s[0:1], 0
	s_mov_b64 s[16:17], -1
	s_waitcnt vmcnt(0)
	v_lshlrev_b32_e32 v7, 16, v5
	s_branch .LBB47_1169
.LBB47_1159:
	s_mov_b64 s[16:17], 0
                                        ; implicit-def: $vgpr7
	s_cbranch_execnz .LBB47_1234
.LBB47_1160:
	s_andn2_b64 vcc, exec, s[16:17]
	s_cbranch_vccnz .LBB47_1973
	s_branch .LBB47_1281
.LBB47_1161:
	s_mov_b64 s[16:17], 0
	s_mov_b64 s[0:1], 0
                                        ; implicit-def: $vgpr7
	s_cbranch_execnz .LBB47_1198
	s_branch .LBB47_1230
.LBB47_1162:
	s_mov_b64 s[18:19], -1
	s_mov_b64 s[16:17], 0
	s_mov_b64 s[0:1], 0
                                        ; implicit-def: $vgpr7
	s_branch .LBB47_1179
.LBB47_1163:
	s_mov_b64 s[18:19], -1
	s_mov_b64 s[16:17], 0
	s_mov_b64 s[0:1], 0
                                        ; implicit-def: $vgpr7
	s_branch .LBB47_1174
.LBB47_1164:
	s_or_b64 s[14:15], s[6:7], exec
	s_trap 2
	s_cbranch_execz .LBB47_1105
	s_branch .LBB47_1106
.LBB47_1165:
	s_mov_b64 s[18:19], -1
	s_mov_b64 s[16:17], 0
	s_mov_b64 s[0:1], 0
                                        ; implicit-def: $vgpr7
	s_branch .LBB47_1169
.LBB47_1166:
	s_andn2_saveexec_b64 s[24:25], s[24:25]
	s_cbranch_execz .LBB47_952
.LBB47_1167:
	s_mov_b32 s28, 0x42800000
	v_add_f32_e64 v3, |v4|, s28
	v_and_b32_e32 v3, 0xff, v3
	v_cmp_ne_u32_e32 vcc, 0, v3
	s_andn2_b64 s[22:23], s[22:23], exec
	s_and_b64 s[28:29], vcc, exec
	s_or_b64 s[22:23], s[22:23], s[28:29]
	s_or_b64 exec, exec, s[24:25]
	v_mov_b32_e32 v5, 0
	s_and_saveexec_b64 s[24:25], s[22:23]
	s_cbranch_execnz .LBB47_953
	s_branch .LBB47_954
.LBB47_1168:
	s_mov_b64 s[0:1], -1
                                        ; implicit-def: $vgpr7
	s_mov_b64 s[16:17], 0
.LBB47_1169:
	s_and_b64 vcc, exec, s[18:19]
	s_cbranch_vccz .LBB47_1173
; %bb.1170:
	s_cmp_eq_u32 s22, 44
	s_cbranch_scc0 .LBB47_1172
; %bb.1171:
	global_load_ubyte v5, v[0:1], off
	s_movk_i32 s16, 0xff
	v_mov_b32_e32 v6, 0x7f800001
	v_mov_b32_e32 v7, 0x400000
	s_mov_b64 s[0:1], 0
	s_waitcnt vmcnt(0)
	v_lshlrev_b32_e32 v8, 23, v5
	v_cmp_ne_u32_e32 vcc, s16, v5
	v_cndmask_b32_e32 v6, v6, v8, vcc
	v_cmp_ne_u32_e32 vcc, 0, v5
	v_cndmask_b32_e32 v7, v7, v6, vcc
	s_mov_b64 s[16:17], -1
	s_branch .LBB47_1173
.LBB47_1172:
	s_mov_b64 s[0:1], -1
                                        ; implicit-def: $vgpr7
.LBB47_1173:
	s_mov_b64 s[18:19], 0
.LBB47_1174:
	s_and_b64 vcc, exec, s[18:19]
	s_cbranch_vccz .LBB47_1178
; %bb.1175:
	s_cmp_eq_u32 s22, 29
	s_cbranch_scc0 .LBB47_1177
; %bb.1176:
	global_load_dwordx2 v[5:6], v[0:1], off
	s_mov_b64 s[0:1], 0
	s_mov_b64 s[16:17], -1
	s_mov_b64 s[18:19], 0
	s_waitcnt vmcnt(0)
	v_ffbh_u32_e32 v7, v6
	v_min_u32_e32 v7, 32, v7
	v_lshlrev_b64 v[5:6], v7, v[5:6]
	v_min_u32_e32 v5, 1, v5
	v_or_b32_e32 v5, v6, v5
	v_cvt_f32_u32_e32 v5, v5
	v_sub_u32_e32 v6, 32, v7
	v_ldexp_f32 v7, v5, v6
	s_branch .LBB47_1179
.LBB47_1177:
	s_mov_b64 s[0:1], -1
                                        ; implicit-def: $vgpr7
.LBB47_1178:
	s_mov_b64 s[18:19], 0
.LBB47_1179:
	s_and_b64 vcc, exec, s[18:19]
	s_cbranch_vccz .LBB47_1197
; %bb.1180:
	s_cmp_lt_i32 s22, 27
	s_cbranch_scc1 .LBB47_1183
; %bb.1181:
	s_cmp_gt_i32 s22, 27
	s_cbranch_scc0 .LBB47_1184
; %bb.1182:
	global_load_dword v5, v[0:1], off
	s_mov_b64 s[16:17], 0
	s_waitcnt vmcnt(0)
	v_cvt_f32_u32_e32 v7, v5
	s_branch .LBB47_1185
.LBB47_1183:
	s_mov_b64 s[16:17], -1
                                        ; implicit-def: $vgpr7
	s_branch .LBB47_1188
.LBB47_1184:
	s_mov_b64 s[16:17], -1
                                        ; implicit-def: $vgpr7
.LBB47_1185:
	s_andn2_b64 vcc, exec, s[16:17]
	s_cbranch_vccnz .LBB47_1187
; %bb.1186:
	global_load_ushort v5, v[0:1], off
	s_waitcnt vmcnt(0)
	v_cvt_f32_u32_e32 v7, v5
.LBB47_1187:
	s_mov_b64 s[16:17], 0
.LBB47_1188:
	s_andn2_b64 vcc, exec, s[16:17]
	s_cbranch_vccnz .LBB47_1196
; %bb.1189:
	global_load_ubyte v5, v[0:1], off
	s_movk_i32 s16, 0x7f
	s_waitcnt vmcnt(0)
	v_cmp_lt_i16_e32 vcc, s16, v5
	s_mov_b64 s[16:17], 0
	s_and_saveexec_b64 s[18:19], vcc
	s_xor_b64 s[18:19], exec, s[18:19]
	s_cbranch_execz .LBB47_1209
; %bb.1190:
	s_movk_i32 s16, 0x80
	v_cmp_eq_u16_e32 vcc, s16, v5
	s_mov_b64 s[16:17], -1
	s_and_saveexec_b64 s[20:21], vcc
; %bb.1191:
	s_xor_b64 s[16:17], exec, -1
; %bb.1192:
	s_or_b64 exec, exec, s[20:21]
	s_and_b64 s[16:17], s[16:17], exec
	s_or_saveexec_b64 s[18:19], s[18:19]
	v_mov_b32_e32 v7, 0x7f800001
	s_xor_b64 exec, exec, s[18:19]
	s_cbranch_execnz .LBB47_1210
.LBB47_1193:
	s_or_b64 exec, exec, s[18:19]
	s_and_saveexec_b64 s[18:19], s[16:17]
	s_cbranch_execz .LBB47_1195
.LBB47_1194:
	v_lshlrev_b32_e32 v6, 24, v5
	v_and_b32_e32 v5, 0xffff, v5
	v_and_b32_e32 v7, 7, v5
	v_ffbh_u32_e32 v9, v7
	v_min_u32_e32 v9, 32, v9
	v_subrev_u32_e32 v10, 28, v9
	v_bfe_u32 v8, v5, 3, 4
	v_lshlrev_b32_e32 v5, v10, v5
	v_sub_u32_e32 v9, 29, v9
	v_and_b32_e32 v5, 7, v5
	v_cmp_eq_u32_e32 vcc, 0, v8
	v_cndmask_b32_e32 v8, v8, v9, vcc
	v_cndmask_b32_e32 v5, v7, v5, vcc
	v_mov_b32_e32 v7, 0x3b800000
	v_lshlrev_b32_e32 v5, 20, v5
	v_and_b32_e32 v6, 0x80000000, v6
	v_lshl_add_u32 v7, v8, 23, v7
	v_or3_b32 v7, v6, v7, v5
.LBB47_1195:
	s_or_b64 exec, exec, s[18:19]
.LBB47_1196:
	s_mov_b64 s[16:17], -1
.LBB47_1197:
	s_branch .LBB47_1230
.LBB47_1198:
	s_cmp_gt_i32 s22, 22
	s_cbranch_scc0 .LBB47_1208
; %bb.1199:
	s_cmp_lt_i32 s22, 24
	s_cbranch_scc1 .LBB47_1211
; %bb.1200:
	s_cmp_gt_i32 s22, 24
	s_cbranch_scc0 .LBB47_1212
; %bb.1201:
	global_load_ubyte v5, v[0:1], off
	s_movk_i32 s12, 0x7f
	s_waitcnt vmcnt(0)
	v_cmp_lt_i16_e32 vcc, s12, v5
	s_mov_b64 s[12:13], 0
	s_and_saveexec_b64 s[16:17], vcc
	s_xor_b64 s[16:17], exec, s[16:17]
	s_cbranch_execz .LBB47_1224
; %bb.1202:
	s_movk_i32 s12, 0x80
	v_cmp_eq_u16_e32 vcc, s12, v5
	s_mov_b64 s[12:13], -1
	s_and_saveexec_b64 s[18:19], vcc
; %bb.1203:
	s_xor_b64 s[12:13], exec, -1
; %bb.1204:
	s_or_b64 exec, exec, s[18:19]
	s_and_b64 s[12:13], s[12:13], exec
	s_or_saveexec_b64 s[16:17], s[16:17]
	v_mov_b32_e32 v7, 0x7f800001
	s_xor_b64 exec, exec, s[16:17]
	s_cbranch_execnz .LBB47_1225
.LBB47_1205:
	s_or_b64 exec, exec, s[16:17]
	s_and_saveexec_b64 s[16:17], s[12:13]
	s_cbranch_execz .LBB47_1207
.LBB47_1206:
	v_lshlrev_b32_e32 v6, 24, v5
	v_and_b32_e32 v5, 0xffff, v5
	v_and_b32_e32 v7, 3, v5
	v_ffbh_u32_e32 v9, v7
	v_min_u32_e32 v9, 32, v9
	v_subrev_u32_e32 v10, 29, v9
	v_bfe_u32 v8, v5, 2, 5
	v_lshlrev_b32_e32 v5, v10, v5
	v_sub_u32_e32 v9, 30, v9
	v_and_b32_e32 v5, 3, v5
	v_cmp_eq_u32_e32 vcc, 0, v8
	v_cndmask_b32_e32 v8, v8, v9, vcc
	v_cndmask_b32_e32 v5, v7, v5, vcc
	v_mov_b32_e32 v7, 0x37800000
	v_lshlrev_b32_e32 v5, 21, v5
	v_and_b32_e32 v6, 0x80000000, v6
	v_lshl_add_u32 v7, v8, 23, v7
	v_or3_b32 v7, v6, v7, v5
.LBB47_1207:
	s_or_b64 exec, exec, s[16:17]
	s_mov_b64 s[12:13], 0
	s_branch .LBB47_1213
.LBB47_1208:
	s_mov_b64 s[12:13], -1
                                        ; implicit-def: $vgpr7
	s_branch .LBB47_1219
.LBB47_1209:
	s_or_saveexec_b64 s[18:19], s[18:19]
	v_mov_b32_e32 v7, 0x7f800001
	s_xor_b64 exec, exec, s[18:19]
	s_cbranch_execz .LBB47_1193
.LBB47_1210:
	v_cmp_ne_u16_e32 vcc, 0, v5
	s_andn2_b64 s[16:17], s[16:17], exec
	s_and_b64 s[20:21], vcc, exec
	v_mov_b32_e32 v7, 0
	s_or_b64 s[16:17], s[16:17], s[20:21]
	s_or_b64 exec, exec, s[18:19]
	s_and_saveexec_b64 s[18:19], s[16:17]
	s_cbranch_execnz .LBB47_1194
	s_branch .LBB47_1195
.LBB47_1211:
	s_mov_b64 s[12:13], -1
                                        ; implicit-def: $vgpr7
	s_branch .LBB47_1216
.LBB47_1212:
	s_mov_b64 s[12:13], -1
                                        ; implicit-def: $vgpr7
.LBB47_1213:
	s_and_b64 vcc, exec, s[12:13]
	s_cbranch_vccz .LBB47_1215
; %bb.1214:
	global_load_ubyte v5, v[0:1], off
	s_mov_b32 s12, 0x7f800000
	s_waitcnt vmcnt(0)
	v_lshlrev_b32_e32 v5, 24, v5
	v_and_b32_e32 v6, 0x7f000000, v5
	v_ffbh_u32_e32 v7, v6
	v_min_u32_e32 v7, 32, v7
	v_sub_u32_e64 v7, v7, 4 clamp
	v_lshlrev_b32_e32 v9, v7, v6
	v_lshlrev_b32_e32 v7, 23, v7
	v_lshrrev_b32_e32 v9, 4, v9
	v_add_u32_e32 v8, 0x1000000, v6
	v_sub_u32_e32 v7, v9, v7
	v_ashrrev_i32_e32 v8, 8, v8
	v_add_u32_e32 v7, 0x3c000000, v7
	v_and_or_b32 v7, v8, s12, v7
	v_cmp_ne_u32_e32 vcc, 0, v6
	v_cndmask_b32_e32 v6, 0, v7, vcc
	s_brev_b32 s12, 1
	v_and_or_b32 v7, v5, s12, v6
.LBB47_1215:
	s_mov_b64 s[12:13], 0
.LBB47_1216:
	s_andn2_b64 vcc, exec, s[12:13]
	s_cbranch_vccnz .LBB47_1218
; %bb.1217:
	global_load_ubyte v5, v[0:1], off
	s_movk_i32 s12, 0x7f00
	s_brev_b32 s13, 16
	s_waitcnt vmcnt(0)
	v_lshlrev_b16_e32 v6, 8, v5
	v_lshlrev_b32_e32 v5, 25, v5
	v_lshrrev_b32_e32 v7, 4, v5
	v_and_or_b32 v8, v6, s12, 0.5
	v_or_b32_e32 v7, 0x70000000, v7
	v_add_f32_e32 v8, -0.5, v8
	v_mul_f32_e32 v7, 0x7800000, v7
	v_cmp_gt_u32_e32 vcc, s13, v5
	v_bfe_i32 v6, v6, 0, 16
	v_cndmask_b32_e32 v5, v7, v8, vcc
	s_brev_b32 s12, 1
	v_and_or_b32 v7, v6, s12, v5
.LBB47_1218:
	s_mov_b64 s[12:13], 0
	s_mov_b64 s[16:17], -1
.LBB47_1219:
	s_andn2_b64 vcc, exec, s[12:13]
	s_mov_b64 s[12:13], 0
	s_cbranch_vccnz .LBB47_1230
; %bb.1220:
	s_cmp_gt_i32 s22, 14
	s_cbranch_scc0 .LBB47_1223
; %bb.1221:
	s_cmp_eq_u32 s22, 15
	s_cbranch_scc0 .LBB47_1226
; %bb.1222:
	global_load_ushort v5, v[0:1], off
	s_mov_b64 s[0:1], 0
	s_mov_b64 s[16:17], -1
	s_waitcnt vmcnt(0)
	v_lshlrev_b32_e32 v7, 16, v5
	s_branch .LBB47_1227
.LBB47_1223:
	s_mov_b64 s[18:19], -1
                                        ; implicit-def: $vgpr7
	s_branch .LBB47_1228
.LBB47_1224:
	s_or_saveexec_b64 s[16:17], s[16:17]
	v_mov_b32_e32 v7, 0x7f800001
	s_xor_b64 exec, exec, s[16:17]
	s_cbranch_execz .LBB47_1205
.LBB47_1225:
	v_cmp_ne_u16_e32 vcc, 0, v5
	s_andn2_b64 s[12:13], s[12:13], exec
	s_and_b64 s[18:19], vcc, exec
	v_mov_b32_e32 v7, 0
	s_or_b64 s[12:13], s[12:13], s[18:19]
	s_or_b64 exec, exec, s[16:17]
	s_and_saveexec_b64 s[16:17], s[12:13]
	s_cbranch_execnz .LBB47_1206
	s_branch .LBB47_1207
.LBB47_1226:
	s_mov_b64 s[0:1], -1
                                        ; implicit-def: $vgpr7
.LBB47_1227:
	s_mov_b64 s[18:19], 0
.LBB47_1228:
	s_and_b64 vcc, exec, s[18:19]
	s_cbranch_vccz .LBB47_1230
; %bb.1229:
	s_cmp_lg_u32 s22, 11
	s_mov_b64 s[12:13], -1
	s_cselect_b64 s[0:1], -1, 0
.LBB47_1230:
	s_and_b64 vcc, exec, s[0:1]
	s_cbranch_vccnz .LBB47_1293
; %bb.1231:
	s_andn2_b64 vcc, exec, s[12:13]
	s_cbranch_vccnz .LBB47_1233
.LBB47_1232:
	global_load_ubyte v5, v[0:1], off
	s_mov_b64 s[16:17], -1
	s_waitcnt vmcnt(0)
	v_cmp_ne_u16_e32 vcc, 0, v5
	v_cndmask_b32_e64 v7, 0, 1.0, vcc
.LBB47_1233:
	s_branch .LBB47_1160
.LBB47_1234:
	s_cmp_lt_i32 s22, 5
	s_cbranch_scc1 .LBB47_1239
; %bb.1235:
	s_cmp_lt_i32 s22, 8
	s_cbranch_scc1 .LBB47_1240
; %bb.1236:
	;; [unrolled: 3-line block ×3, first 2 shown]
	s_cmp_gt_i32 s22, 9
	s_cbranch_scc0 .LBB47_1242
; %bb.1238:
	global_load_dwordx2 v[5:6], v[0:1], off
	s_mov_b64 s[0:1], 0
	s_waitcnt vmcnt(0)
	v_cvt_f32_f64_e32 v7, v[5:6]
	s_branch .LBB47_1243
.LBB47_1239:
                                        ; implicit-def: $vgpr7
	s_branch .LBB47_1261
.LBB47_1240:
	s_mov_b64 s[0:1], -1
                                        ; implicit-def: $vgpr7
	s_branch .LBB47_1249
.LBB47_1241:
	s_mov_b64 s[0:1], -1
                                        ; implicit-def: $vgpr7
	s_branch .LBB47_1246
.LBB47_1242:
	s_mov_b64 s[0:1], -1
                                        ; implicit-def: $vgpr7
.LBB47_1243:
	s_andn2_b64 vcc, exec, s[0:1]
	s_cbranch_vccnz .LBB47_1245
; %bb.1244:
	global_load_dword v7, v[0:1], off
.LBB47_1245:
	s_mov_b64 s[0:1], 0
.LBB47_1246:
	s_andn2_b64 vcc, exec, s[0:1]
	s_cbranch_vccnz .LBB47_1248
; %bb.1247:
	global_load_dword v5, v[0:1], off
	s_waitcnt vmcnt(0)
	v_cvt_f32_f16_e32 v7, v5
.LBB47_1248:
	s_mov_b64 s[0:1], 0
.LBB47_1249:
	s_andn2_b64 vcc, exec, s[0:1]
	s_cbranch_vccnz .LBB47_1260
; %bb.1250:
	s_cmp_lt_i32 s22, 6
	s_cbranch_scc1 .LBB47_1253
; %bb.1251:
	s_cmp_gt_i32 s22, 6
	s_cbranch_scc0 .LBB47_1254
; %bb.1252:
	global_load_dwordx2 v[5:6], v[0:1], off
	s_mov_b64 s[0:1], 0
	s_waitcnt vmcnt(0)
	v_cvt_f32_f64_e32 v7, v[5:6]
	s_branch .LBB47_1255
.LBB47_1253:
	s_mov_b64 s[0:1], -1
                                        ; implicit-def: $vgpr7
	s_branch .LBB47_1258
.LBB47_1254:
	s_mov_b64 s[0:1], -1
                                        ; implicit-def: $vgpr7
.LBB47_1255:
	s_andn2_b64 vcc, exec, s[0:1]
	s_cbranch_vccnz .LBB47_1257
; %bb.1256:
	global_load_dword v7, v[0:1], off
.LBB47_1257:
	s_mov_b64 s[0:1], 0
.LBB47_1258:
	s_andn2_b64 vcc, exec, s[0:1]
	s_cbranch_vccnz .LBB47_1260
; %bb.1259:
	global_load_ushort v5, v[0:1], off
	s_waitcnt vmcnt(0)
	v_cvt_f32_f16_e32 v7, v5
.LBB47_1260:
	s_cbranch_execnz .LBB47_1280
.LBB47_1261:
	s_cmp_lt_i32 s22, 2
	s_cbranch_scc1 .LBB47_1265
; %bb.1262:
	s_cmp_lt_i32 s22, 3
	s_cbranch_scc1 .LBB47_1266
; %bb.1263:
	s_cmp_gt_i32 s22, 3
	s_cbranch_scc0 .LBB47_1267
; %bb.1264:
	global_load_dwordx2 v[5:6], v[0:1], off
	s_mov_b64 s[0:1], 0
	s_waitcnt vmcnt(0)
	v_xor_b32_e32 v8, v5, v6
	v_ffbh_i32_e32 v7, v6
	v_ashrrev_i32_e32 v8, 31, v8
	v_add_u32_e32 v7, -1, v7
	v_add_u32_e32 v8, 32, v8
	v_min_u32_e32 v7, v7, v8
	v_lshlrev_b64 v[5:6], v7, v[5:6]
	v_min_u32_e32 v5, 1, v5
	v_or_b32_e32 v5, v6, v5
	v_cvt_f32_i32_e32 v5, v5
	v_sub_u32_e32 v6, 32, v7
	v_ldexp_f32 v7, v5, v6
	s_branch .LBB47_1268
.LBB47_1265:
	s_mov_b64 s[0:1], -1
                                        ; implicit-def: $vgpr7
	s_branch .LBB47_1274
.LBB47_1266:
	s_mov_b64 s[0:1], -1
                                        ; implicit-def: $vgpr7
	s_branch .LBB47_1271
.LBB47_1267:
	s_mov_b64 s[0:1], -1
                                        ; implicit-def: $vgpr7
.LBB47_1268:
	s_andn2_b64 vcc, exec, s[0:1]
	s_cbranch_vccnz .LBB47_1270
; %bb.1269:
	global_load_dword v5, v[0:1], off
	s_waitcnt vmcnt(0)
	v_cvt_f32_i32_e32 v7, v5
.LBB47_1270:
	s_mov_b64 s[0:1], 0
.LBB47_1271:
	s_andn2_b64 vcc, exec, s[0:1]
	s_cbranch_vccnz .LBB47_1273
; %bb.1272:
	global_load_sshort v5, v[0:1], off
	s_waitcnt vmcnt(0)
	v_cvt_f32_i32_e32 v7, v5
.LBB47_1273:
	s_mov_b64 s[0:1], 0
.LBB47_1274:
	s_andn2_b64 vcc, exec, s[0:1]
	s_cbranch_vccnz .LBB47_1280
; %bb.1275:
	s_cmp_gt_i32 s22, 0
	s_cbranch_scc0 .LBB47_1277
; %bb.1276:
	global_load_sbyte v5, v[0:1], off
	s_mov_b64 s[0:1], 0
	s_waitcnt vmcnt(0)
	v_cvt_f32_i32_e32 v7, v5
	s_branch .LBB47_1278
.LBB47_1277:
	s_mov_b64 s[0:1], -1
                                        ; implicit-def: $vgpr7
.LBB47_1278:
	s_andn2_b64 vcc, exec, s[0:1]
	s_cbranch_vccnz .LBB47_1280
; %bb.1279:
	global_load_ubyte v0, v[0:1], off
	s_waitcnt vmcnt(0)
	v_cvt_f32_ubyte0_e32 v7, v0
.LBB47_1280:
.LBB47_1281:
	v_add_u32_e32 v3, s3, v3
	v_ashrrev_i32_e32 v1, 31, v3
	v_mov_b32_e32 v5, s11
	v_add_co_u32_e32 v0, vcc, s10, v3
	s_cmp_lt_i32 s22, 11
	v_addc_co_u32_e32 v1, vcc, v5, v1, vcc
	s_cbranch_scc1 .LBB47_1288
; %bb.1282:
	s_cmp_gt_i32 s22, 25
	s_mov_b64 s[12:13], 0
	s_cbranch_scc0 .LBB47_1290
; %bb.1283:
	s_cmp_gt_i32 s22, 28
	s_cbranch_scc0 .LBB47_1291
; %bb.1284:
	s_cmp_gt_i32 s22, 43
	;; [unrolled: 3-line block ×3, first 2 shown]
	s_cbranch_scc0 .LBB47_1294
; %bb.1286:
	s_cmp_eq_u32 s22, 46
	s_mov_b64 s[18:19], 0
	s_cbranch_scc0 .LBB47_1295
; %bb.1287:
	global_load_dword v5, v[0:1], off
	s_mov_b64 s[0:1], 0
	s_mov_b64 s[16:17], -1
	s_waitcnt vmcnt(0)
	v_lshlrev_b32_e32 v6, 16, v5
	s_branch .LBB47_1296
.LBB47_1288:
	s_mov_b64 s[16:17], 0
                                        ; implicit-def: $vgpr6
	s_cbranch_execnz .LBB47_1362
.LBB47_1289:
	s_andn2_b64 vcc, exec, s[16:17]
	s_cbranch_vccnz .LBB47_1973
	s_branch .LBB47_1410
.LBB47_1290:
	s_mov_b64 s[18:19], -1
	s_mov_b64 s[16:17], 0
	s_mov_b64 s[0:1], 0
                                        ; implicit-def: $vgpr6
	s_branch .LBB47_1325
.LBB47_1291:
	s_mov_b64 s[18:19], -1
	s_mov_b64 s[16:17], 0
	s_mov_b64 s[0:1], 0
                                        ; implicit-def: $vgpr6
	s_branch .LBB47_1306
.LBB47_1292:
	s_mov_b64 s[18:19], -1
	s_mov_b64 s[16:17], 0
	s_mov_b64 s[0:1], 0
                                        ; implicit-def: $vgpr6
	s_branch .LBB47_1301
.LBB47_1293:
	s_trap 2
	s_or_b64 s[14:15], s[14:15], exec
	s_cbranch_execz .LBB47_1232
	s_branch .LBB47_1233
.LBB47_1294:
	s_mov_b64 s[18:19], -1
	s_mov_b64 s[16:17], 0
	s_mov_b64 s[0:1], 0
                                        ; implicit-def: $vgpr6
	s_branch .LBB47_1296
.LBB47_1295:
	s_mov_b64 s[0:1], -1
                                        ; implicit-def: $vgpr6
	s_mov_b64 s[16:17], 0
.LBB47_1296:
	s_and_b64 vcc, exec, s[18:19]
	s_cbranch_vccz .LBB47_1300
; %bb.1297:
	s_cmp_eq_u32 s22, 44
	s_cbranch_scc0 .LBB47_1299
; %bb.1298:
	global_load_ubyte v5, v[0:1], off
	s_movk_i32 s16, 0xff
	v_mov_b32_e32 v6, 0x7f800001
	v_mov_b32_e32 v8, 0x400000
	s_mov_b64 s[0:1], 0
	s_waitcnt vmcnt(0)
	v_lshlrev_b32_e32 v9, 23, v5
	v_cmp_ne_u32_e32 vcc, s16, v5
	v_cndmask_b32_e32 v6, v6, v9, vcc
	v_cmp_ne_u32_e32 vcc, 0, v5
	v_cndmask_b32_e32 v6, v8, v6, vcc
	s_mov_b64 s[16:17], -1
	s_branch .LBB47_1300
.LBB47_1299:
	s_mov_b64 s[0:1], -1
                                        ; implicit-def: $vgpr6
.LBB47_1300:
	s_mov_b64 s[18:19], 0
.LBB47_1301:
	s_and_b64 vcc, exec, s[18:19]
	s_cbranch_vccz .LBB47_1305
; %bb.1302:
	s_cmp_eq_u32 s22, 29
	s_cbranch_scc0 .LBB47_1304
; %bb.1303:
	global_load_dwordx2 v[5:6], v[0:1], off
	s_mov_b64 s[0:1], 0
	s_mov_b64 s[16:17], -1
	s_mov_b64 s[18:19], 0
	s_waitcnt vmcnt(0)
	v_ffbh_u32_e32 v8, v6
	v_min_u32_e32 v8, 32, v8
	v_lshlrev_b64 v[5:6], v8, v[5:6]
	v_min_u32_e32 v5, 1, v5
	v_or_b32_e32 v5, v6, v5
	v_cvt_f32_u32_e32 v5, v5
	v_sub_u32_e32 v6, 32, v8
	v_ldexp_f32 v6, v5, v6
	s_branch .LBB47_1306
.LBB47_1304:
	s_mov_b64 s[0:1], -1
                                        ; implicit-def: $vgpr6
.LBB47_1305:
	s_mov_b64 s[18:19], 0
.LBB47_1306:
	s_and_b64 vcc, exec, s[18:19]
	s_cbranch_vccz .LBB47_1324
; %bb.1307:
	s_cmp_lt_i32 s22, 27
	s_cbranch_scc1 .LBB47_1310
; %bb.1308:
	s_cmp_gt_i32 s22, 27
	s_cbranch_scc0 .LBB47_1311
; %bb.1309:
	global_load_dword v5, v[0:1], off
	s_mov_b64 s[16:17], 0
	s_waitcnt vmcnt(0)
	v_cvt_f32_u32_e32 v6, v5
	s_branch .LBB47_1312
.LBB47_1310:
	s_mov_b64 s[16:17], -1
                                        ; implicit-def: $vgpr6
	s_branch .LBB47_1315
.LBB47_1311:
	s_mov_b64 s[16:17], -1
                                        ; implicit-def: $vgpr6
.LBB47_1312:
	s_andn2_b64 vcc, exec, s[16:17]
	s_cbranch_vccnz .LBB47_1314
; %bb.1313:
	global_load_ushort v5, v[0:1], off
	s_waitcnt vmcnt(0)
	v_cvt_f32_u32_e32 v6, v5
.LBB47_1314:
	s_mov_b64 s[16:17], 0
.LBB47_1315:
	s_andn2_b64 vcc, exec, s[16:17]
	s_cbranch_vccnz .LBB47_1323
; %bb.1316:
	global_load_ubyte v5, v[0:1], off
	s_movk_i32 s16, 0x7f
	s_waitcnt vmcnt(0)
	v_cmp_lt_i16_e32 vcc, s16, v5
	s_mov_b64 s[16:17], 0
	s_and_saveexec_b64 s[18:19], vcc
	s_xor_b64 s[18:19], exec, s[18:19]
	s_cbranch_execz .LBB47_1337
; %bb.1317:
	s_movk_i32 s16, 0x80
	v_cmp_eq_u16_e32 vcc, s16, v5
	s_mov_b64 s[16:17], -1
	s_and_saveexec_b64 s[20:21], vcc
; %bb.1318:
	s_xor_b64 s[16:17], exec, -1
; %bb.1319:
	s_or_b64 exec, exec, s[20:21]
	s_and_b64 s[16:17], s[16:17], exec
	s_or_saveexec_b64 s[18:19], s[18:19]
	v_mov_b32_e32 v6, 0x7f800001
	s_xor_b64 exec, exec, s[18:19]
	s_cbranch_execnz .LBB47_1338
.LBB47_1320:
	s_or_b64 exec, exec, s[18:19]
	s_and_saveexec_b64 s[18:19], s[16:17]
	s_cbranch_execz .LBB47_1322
.LBB47_1321:
	v_lshlrev_b32_e32 v6, 24, v5
	v_and_b32_e32 v5, 0xffff, v5
	v_and_b32_e32 v8, 7, v5
	v_ffbh_u32_e32 v10, v8
	v_min_u32_e32 v10, 32, v10
	v_subrev_u32_e32 v11, 28, v10
	v_bfe_u32 v9, v5, 3, 4
	v_lshlrev_b32_e32 v5, v11, v5
	v_sub_u32_e32 v10, 29, v10
	v_and_b32_e32 v5, 7, v5
	v_cmp_eq_u32_e32 vcc, 0, v9
	v_cndmask_b32_e32 v9, v9, v10, vcc
	v_cndmask_b32_e32 v5, v8, v5, vcc
	v_mov_b32_e32 v8, 0x3b800000
	v_lshlrev_b32_e32 v5, 20, v5
	v_and_b32_e32 v6, 0x80000000, v6
	v_lshl_add_u32 v8, v9, 23, v8
	v_or3_b32 v6, v6, v8, v5
.LBB47_1322:
	s_or_b64 exec, exec, s[18:19]
.LBB47_1323:
	s_mov_b64 s[16:17], -1
.LBB47_1324:
	s_mov_b64 s[18:19], 0
.LBB47_1325:
	s_and_b64 vcc, exec, s[18:19]
	s_cbranch_vccz .LBB47_1358
; %bb.1326:
	s_cmp_gt_i32 s22, 22
	s_cbranch_scc0 .LBB47_1336
; %bb.1327:
	s_cmp_lt_i32 s22, 24
	s_cbranch_scc1 .LBB47_1339
; %bb.1328:
	s_cmp_gt_i32 s22, 24
	s_cbranch_scc0 .LBB47_1340
; %bb.1329:
	global_load_ubyte v5, v[0:1], off
	s_movk_i32 s12, 0x7f
	s_waitcnt vmcnt(0)
	v_cmp_lt_i16_e32 vcc, s12, v5
	s_mov_b64 s[12:13], 0
	s_and_saveexec_b64 s[16:17], vcc
	s_xor_b64 s[16:17], exec, s[16:17]
	s_cbranch_execz .LBB47_1352
; %bb.1330:
	s_movk_i32 s12, 0x80
	v_cmp_eq_u16_e32 vcc, s12, v5
	s_mov_b64 s[12:13], -1
	s_and_saveexec_b64 s[18:19], vcc
; %bb.1331:
	s_xor_b64 s[12:13], exec, -1
; %bb.1332:
	s_or_b64 exec, exec, s[18:19]
	s_and_b64 s[12:13], s[12:13], exec
	s_or_saveexec_b64 s[16:17], s[16:17]
	v_mov_b32_e32 v6, 0x7f800001
	s_xor_b64 exec, exec, s[16:17]
	s_cbranch_execnz .LBB47_1353
.LBB47_1333:
	s_or_b64 exec, exec, s[16:17]
	s_and_saveexec_b64 s[16:17], s[12:13]
	s_cbranch_execz .LBB47_1335
.LBB47_1334:
	v_lshlrev_b32_e32 v6, 24, v5
	v_and_b32_e32 v5, 0xffff, v5
	v_and_b32_e32 v8, 3, v5
	v_ffbh_u32_e32 v10, v8
	v_min_u32_e32 v10, 32, v10
	v_subrev_u32_e32 v11, 29, v10
	v_bfe_u32 v9, v5, 2, 5
	v_lshlrev_b32_e32 v5, v11, v5
	v_sub_u32_e32 v10, 30, v10
	v_and_b32_e32 v5, 3, v5
	v_cmp_eq_u32_e32 vcc, 0, v9
	v_cndmask_b32_e32 v9, v9, v10, vcc
	v_cndmask_b32_e32 v5, v8, v5, vcc
	v_mov_b32_e32 v8, 0x37800000
	v_lshlrev_b32_e32 v5, 21, v5
	v_and_b32_e32 v6, 0x80000000, v6
	v_lshl_add_u32 v8, v9, 23, v8
	v_or3_b32 v6, v6, v8, v5
.LBB47_1335:
	s_or_b64 exec, exec, s[16:17]
	s_mov_b64 s[12:13], 0
	s_branch .LBB47_1341
.LBB47_1336:
	s_mov_b64 s[12:13], -1
                                        ; implicit-def: $vgpr6
	s_branch .LBB47_1347
.LBB47_1337:
	s_or_saveexec_b64 s[18:19], s[18:19]
	v_mov_b32_e32 v6, 0x7f800001
	s_xor_b64 exec, exec, s[18:19]
	s_cbranch_execz .LBB47_1320
.LBB47_1338:
	v_cmp_ne_u16_e32 vcc, 0, v5
	s_andn2_b64 s[16:17], s[16:17], exec
	s_and_b64 s[20:21], vcc, exec
	v_mov_b32_e32 v6, 0
	s_or_b64 s[16:17], s[16:17], s[20:21]
	s_or_b64 exec, exec, s[18:19]
	s_and_saveexec_b64 s[18:19], s[16:17]
	s_cbranch_execnz .LBB47_1321
	s_branch .LBB47_1322
.LBB47_1339:
	s_mov_b64 s[12:13], -1
                                        ; implicit-def: $vgpr6
	s_branch .LBB47_1344
.LBB47_1340:
	s_mov_b64 s[12:13], -1
                                        ; implicit-def: $vgpr6
.LBB47_1341:
	s_and_b64 vcc, exec, s[12:13]
	s_cbranch_vccz .LBB47_1343
; %bb.1342:
	global_load_ubyte v5, v[0:1], off
	s_mov_b32 s12, 0x7f800000
	s_waitcnt vmcnt(0)
	v_lshlrev_b32_e32 v5, 24, v5
	v_and_b32_e32 v6, 0x7f000000, v5
	v_ffbh_u32_e32 v8, v6
	v_min_u32_e32 v8, 32, v8
	v_sub_u32_e64 v8, v8, 4 clamp
	v_lshlrev_b32_e32 v10, v8, v6
	v_lshlrev_b32_e32 v8, 23, v8
	v_lshrrev_b32_e32 v10, 4, v10
	v_add_u32_e32 v9, 0x1000000, v6
	v_sub_u32_e32 v8, v10, v8
	v_ashrrev_i32_e32 v9, 8, v9
	v_add_u32_e32 v8, 0x3c000000, v8
	v_and_or_b32 v8, v9, s12, v8
	v_cmp_ne_u32_e32 vcc, 0, v6
	v_cndmask_b32_e32 v6, 0, v8, vcc
	s_brev_b32 s12, 1
	v_and_or_b32 v6, v5, s12, v6
.LBB47_1343:
	s_mov_b64 s[12:13], 0
.LBB47_1344:
	s_andn2_b64 vcc, exec, s[12:13]
	s_cbranch_vccnz .LBB47_1346
; %bb.1345:
	global_load_ubyte v5, v[0:1], off
	s_movk_i32 s12, 0x7f00
	s_brev_b32 s13, 16
	s_waitcnt vmcnt(0)
	v_lshlrev_b16_e32 v6, 8, v5
	v_lshlrev_b32_e32 v5, 25, v5
	v_lshrrev_b32_e32 v8, 4, v5
	v_and_or_b32 v9, v6, s12, 0.5
	v_or_b32_e32 v8, 0x70000000, v8
	v_add_f32_e32 v9, -0.5, v9
	v_mul_f32_e32 v8, 0x7800000, v8
	v_cmp_gt_u32_e32 vcc, s13, v5
	v_bfe_i32 v6, v6, 0, 16
	v_cndmask_b32_e32 v5, v8, v9, vcc
	s_brev_b32 s12, 1
	v_and_or_b32 v6, v6, s12, v5
.LBB47_1346:
	s_mov_b64 s[12:13], 0
	s_mov_b64 s[16:17], -1
.LBB47_1347:
	s_andn2_b64 vcc, exec, s[12:13]
	s_mov_b64 s[12:13], 0
	s_cbranch_vccnz .LBB47_1358
; %bb.1348:
	s_cmp_gt_i32 s22, 14
	s_cbranch_scc0 .LBB47_1351
; %bb.1349:
	s_cmp_eq_u32 s22, 15
	s_cbranch_scc0 .LBB47_1354
; %bb.1350:
	global_load_ushort v5, v[0:1], off
	s_mov_b64 s[0:1], 0
	s_mov_b64 s[16:17], -1
	s_waitcnt vmcnt(0)
	v_lshlrev_b32_e32 v6, 16, v5
	s_branch .LBB47_1355
.LBB47_1351:
	s_mov_b64 s[18:19], -1
                                        ; implicit-def: $vgpr6
	s_branch .LBB47_1356
.LBB47_1352:
	s_or_saveexec_b64 s[16:17], s[16:17]
	v_mov_b32_e32 v6, 0x7f800001
	s_xor_b64 exec, exec, s[16:17]
	s_cbranch_execz .LBB47_1333
.LBB47_1353:
	v_cmp_ne_u16_e32 vcc, 0, v5
	s_andn2_b64 s[12:13], s[12:13], exec
	s_and_b64 s[18:19], vcc, exec
	v_mov_b32_e32 v6, 0
	s_or_b64 s[12:13], s[12:13], s[18:19]
	s_or_b64 exec, exec, s[16:17]
	s_and_saveexec_b64 s[16:17], s[12:13]
	s_cbranch_execnz .LBB47_1334
	s_branch .LBB47_1335
.LBB47_1354:
	s_mov_b64 s[0:1], -1
                                        ; implicit-def: $vgpr6
.LBB47_1355:
	s_mov_b64 s[18:19], 0
.LBB47_1356:
	s_and_b64 vcc, exec, s[18:19]
	s_cbranch_vccz .LBB47_1358
; %bb.1357:
	s_cmp_lg_u32 s22, 11
	s_mov_b64 s[12:13], -1
	s_cselect_b64 s[0:1], -1, 0
.LBB47_1358:
	s_and_b64 vcc, exec, s[0:1]
	s_cbranch_vccnz .LBB47_1421
; %bb.1359:
	s_andn2_b64 vcc, exec, s[12:13]
	s_cbranch_vccnz .LBB47_1361
.LBB47_1360:
	global_load_ubyte v5, v[0:1], off
	s_mov_b64 s[16:17], -1
	s_waitcnt vmcnt(0)
	v_cmp_ne_u16_e32 vcc, 0, v5
	v_cndmask_b32_e64 v6, 0, 1.0, vcc
.LBB47_1361:
	s_branch .LBB47_1289
.LBB47_1362:
	s_cmp_lt_i32 s22, 5
	s_cbranch_scc1 .LBB47_1367
; %bb.1363:
	s_cmp_lt_i32 s22, 8
	s_cbranch_scc1 .LBB47_1368
; %bb.1364:
	;; [unrolled: 3-line block ×3, first 2 shown]
	s_cmp_gt_i32 s22, 9
	s_cbranch_scc0 .LBB47_1370
; %bb.1366:
	global_load_dwordx2 v[5:6], v[0:1], off
	s_mov_b64 s[0:1], 0
	s_waitcnt vmcnt(0)
	v_cvt_f32_f64_e32 v6, v[5:6]
	s_branch .LBB47_1371
.LBB47_1367:
	s_mov_b64 s[0:1], -1
                                        ; implicit-def: $vgpr6
	s_branch .LBB47_1389
.LBB47_1368:
	s_mov_b64 s[0:1], -1
                                        ; implicit-def: $vgpr6
	s_branch .LBB47_1377
.LBB47_1369:
	s_mov_b64 s[0:1], -1
                                        ; implicit-def: $vgpr6
	s_branch .LBB47_1374
.LBB47_1370:
	s_mov_b64 s[0:1], -1
                                        ; implicit-def: $vgpr6
.LBB47_1371:
	s_andn2_b64 vcc, exec, s[0:1]
	s_cbranch_vccnz .LBB47_1373
; %bb.1372:
	global_load_dword v6, v[0:1], off
.LBB47_1373:
	s_mov_b64 s[0:1], 0
.LBB47_1374:
	s_andn2_b64 vcc, exec, s[0:1]
	s_cbranch_vccnz .LBB47_1376
; %bb.1375:
	global_load_dword v5, v[0:1], off
	s_waitcnt vmcnt(0)
	v_cvt_f32_f16_e32 v6, v5
.LBB47_1376:
	s_mov_b64 s[0:1], 0
.LBB47_1377:
	s_andn2_b64 vcc, exec, s[0:1]
	s_cbranch_vccnz .LBB47_1388
; %bb.1378:
	s_cmp_lt_i32 s22, 6
	s_cbranch_scc1 .LBB47_1381
; %bb.1379:
	s_cmp_gt_i32 s22, 6
	s_cbranch_scc0 .LBB47_1382
; %bb.1380:
	global_load_dwordx2 v[5:6], v[0:1], off
	s_mov_b64 s[0:1], 0
	s_waitcnt vmcnt(0)
	v_cvt_f32_f64_e32 v6, v[5:6]
	s_branch .LBB47_1383
.LBB47_1381:
	s_mov_b64 s[0:1], -1
                                        ; implicit-def: $vgpr6
	s_branch .LBB47_1386
.LBB47_1382:
	s_mov_b64 s[0:1], -1
                                        ; implicit-def: $vgpr6
.LBB47_1383:
	s_andn2_b64 vcc, exec, s[0:1]
	s_cbranch_vccnz .LBB47_1385
; %bb.1384:
	global_load_dword v6, v[0:1], off
.LBB47_1385:
	s_mov_b64 s[0:1], 0
.LBB47_1386:
	s_andn2_b64 vcc, exec, s[0:1]
	s_cbranch_vccnz .LBB47_1388
; %bb.1387:
	global_load_ushort v5, v[0:1], off
	s_waitcnt vmcnt(0)
	v_cvt_f32_f16_e32 v6, v5
.LBB47_1388:
	s_mov_b64 s[0:1], 0
.LBB47_1389:
	s_andn2_b64 vcc, exec, s[0:1]
	s_cbranch_vccnz .LBB47_1409
; %bb.1390:
	s_cmp_lt_i32 s22, 2
	s_cbranch_scc1 .LBB47_1394
; %bb.1391:
	s_cmp_lt_i32 s22, 3
	s_cbranch_scc1 .LBB47_1395
; %bb.1392:
	s_cmp_gt_i32 s22, 3
	s_cbranch_scc0 .LBB47_1396
; %bb.1393:
	global_load_dwordx2 v[5:6], v[0:1], off
	s_mov_b64 s[0:1], 0
	s_waitcnt vmcnt(0)
	v_xor_b32_e32 v9, v5, v6
	v_ffbh_i32_e32 v8, v6
	v_ashrrev_i32_e32 v9, 31, v9
	v_add_u32_e32 v8, -1, v8
	v_add_u32_e32 v9, 32, v9
	v_min_u32_e32 v8, v8, v9
	v_lshlrev_b64 v[5:6], v8, v[5:6]
	v_min_u32_e32 v5, 1, v5
	v_or_b32_e32 v5, v6, v5
	v_cvt_f32_i32_e32 v5, v5
	v_sub_u32_e32 v6, 32, v8
	v_ldexp_f32 v6, v5, v6
	s_branch .LBB47_1397
.LBB47_1394:
	s_mov_b64 s[0:1], -1
                                        ; implicit-def: $vgpr6
	s_branch .LBB47_1403
.LBB47_1395:
	s_mov_b64 s[0:1], -1
                                        ; implicit-def: $vgpr6
	s_branch .LBB47_1400
.LBB47_1396:
	s_mov_b64 s[0:1], -1
                                        ; implicit-def: $vgpr6
.LBB47_1397:
	s_andn2_b64 vcc, exec, s[0:1]
	s_cbranch_vccnz .LBB47_1399
; %bb.1398:
	global_load_dword v5, v[0:1], off
	s_waitcnt vmcnt(0)
	v_cvt_f32_i32_e32 v6, v5
.LBB47_1399:
	s_mov_b64 s[0:1], 0
.LBB47_1400:
	s_andn2_b64 vcc, exec, s[0:1]
	s_cbranch_vccnz .LBB47_1402
; %bb.1401:
	global_load_sshort v5, v[0:1], off
	s_waitcnt vmcnt(0)
	v_cvt_f32_i32_e32 v6, v5
.LBB47_1402:
	s_mov_b64 s[0:1], 0
.LBB47_1403:
	s_andn2_b64 vcc, exec, s[0:1]
	s_cbranch_vccnz .LBB47_1409
; %bb.1404:
	s_cmp_gt_i32 s22, 0
	s_cbranch_scc0 .LBB47_1406
; %bb.1405:
	global_load_sbyte v5, v[0:1], off
	s_mov_b64 s[0:1], 0
	s_waitcnt vmcnt(0)
	v_cvt_f32_i32_e32 v6, v5
	s_branch .LBB47_1407
.LBB47_1406:
	s_mov_b64 s[0:1], -1
                                        ; implicit-def: $vgpr6
.LBB47_1407:
	s_andn2_b64 vcc, exec, s[0:1]
	s_cbranch_vccnz .LBB47_1409
; %bb.1408:
	global_load_ubyte v0, v[0:1], off
	s_waitcnt vmcnt(0)
	v_cvt_f32_ubyte0_e32 v6, v0
.LBB47_1409:
.LBB47_1410:
	v_add_u32_e32 v0, s3, v3
	v_ashrrev_i32_e32 v1, 31, v0
	v_mov_b32_e32 v3, s11
	v_add_co_u32_e32 v0, vcc, s10, v0
	s_cmp_lt_i32 s22, 11
	v_addc_co_u32_e32 v1, vcc, v3, v1, vcc
	s_cbranch_scc1 .LBB47_1417
; %bb.1411:
	s_cmp_gt_i32 s22, 25
	s_mov_b64 s[10:11], 0
	s_cbranch_scc0 .LBB47_1418
; %bb.1412:
	s_cmp_gt_i32 s22, 28
	s_cbranch_scc0 .LBB47_1419
; %bb.1413:
	s_cmp_gt_i32 s22, 43
	;; [unrolled: 3-line block ×3, first 2 shown]
	s_cbranch_scc0 .LBB47_1422
; %bb.1415:
	s_cmp_eq_u32 s22, 46
	s_mov_b64 s[16:17], 0
	s_cbranch_scc0 .LBB47_1423
; %bb.1416:
	global_load_dword v3, v[0:1], off
	s_mov_b64 s[0:1], 0
	s_mov_b64 s[12:13], -1
	s_waitcnt vmcnt(0)
	v_lshlrev_b32_e32 v5, 16, v3
	s_branch .LBB47_1424
.LBB47_1417:
	s_mov_b64 s[0:1], -1
	s_mov_b64 s[12:13], 0
                                        ; implicit-def: $vgpr5
	s_branch .LBB47_1490
.LBB47_1418:
	s_mov_b64 s[16:17], -1
	s_mov_b64 s[12:13], 0
	s_mov_b64 s[0:1], 0
                                        ; implicit-def: $vgpr5
	s_branch .LBB47_1453
.LBB47_1419:
	s_mov_b64 s[16:17], -1
	s_mov_b64 s[12:13], 0
	s_mov_b64 s[0:1], 0
                                        ; implicit-def: $vgpr5
	s_branch .LBB47_1434
.LBB47_1420:
	s_mov_b64 s[16:17], -1
	s_mov_b64 s[12:13], 0
	s_mov_b64 s[0:1], 0
                                        ; implicit-def: $vgpr5
	s_branch .LBB47_1429
.LBB47_1421:
	s_trap 2
	s_or_b64 s[14:15], s[14:15], exec
	s_cbranch_execz .LBB47_1360
	s_branch .LBB47_1361
.LBB47_1422:
	s_mov_b64 s[16:17], -1
	s_mov_b64 s[12:13], 0
	s_mov_b64 s[0:1], 0
                                        ; implicit-def: $vgpr5
	s_branch .LBB47_1424
.LBB47_1423:
	s_mov_b64 s[0:1], -1
                                        ; implicit-def: $vgpr5
	s_mov_b64 s[12:13], 0
.LBB47_1424:
	s_and_b64 vcc, exec, s[16:17]
	s_cbranch_vccz .LBB47_1428
; %bb.1425:
	s_cmp_eq_u32 s22, 44
	s_cbranch_scc0 .LBB47_1427
; %bb.1426:
	global_load_ubyte v3, v[0:1], off
	s_movk_i32 s3, 0xff
	v_mov_b32_e32 v5, 0x7f800001
	v_mov_b32_e32 v8, 0x400000
	s_mov_b64 s[0:1], 0
	s_mov_b64 s[12:13], -1
	s_waitcnt vmcnt(0)
	v_lshlrev_b32_e32 v9, 23, v3
	v_cmp_ne_u32_e32 vcc, s3, v3
	v_cndmask_b32_e32 v5, v5, v9, vcc
	v_cmp_ne_u32_e32 vcc, 0, v3
	v_cndmask_b32_e32 v5, v8, v5, vcc
	s_branch .LBB47_1428
.LBB47_1427:
	s_mov_b64 s[0:1], -1
                                        ; implicit-def: $vgpr5
.LBB47_1428:
	s_mov_b64 s[16:17], 0
.LBB47_1429:
	s_and_b64 vcc, exec, s[16:17]
	s_cbranch_vccz .LBB47_1433
; %bb.1430:
	s_cmp_eq_u32 s22, 29
	s_cbranch_scc0 .LBB47_1432
; %bb.1431:
	global_load_dwordx2 v[8:9], v[0:1], off
	s_mov_b64 s[0:1], 0
	s_mov_b64 s[12:13], -1
	s_mov_b64 s[16:17], 0
	s_waitcnt vmcnt(0)
	v_ffbh_u32_e32 v3, v9
	v_min_u32_e32 v3, 32, v3
	v_lshlrev_b64 v[8:9], v3, v[8:9]
	v_sub_u32_e32 v3, 32, v3
	v_min_u32_e32 v5, 1, v8
	v_or_b32_e32 v5, v9, v5
	v_cvt_f32_u32_e32 v5, v5
	v_ldexp_f32 v5, v5, v3
	s_branch .LBB47_1434
.LBB47_1432:
	s_mov_b64 s[0:1], -1
                                        ; implicit-def: $vgpr5
.LBB47_1433:
	s_mov_b64 s[16:17], 0
.LBB47_1434:
	s_and_b64 vcc, exec, s[16:17]
	s_cbranch_vccz .LBB47_1452
; %bb.1435:
	s_cmp_lt_i32 s22, 27
	s_cbranch_scc1 .LBB47_1438
; %bb.1436:
	s_cmp_gt_i32 s22, 27
	s_cbranch_scc0 .LBB47_1439
; %bb.1437:
	global_load_dword v3, v[0:1], off
	s_mov_b64 s[12:13], 0
	s_waitcnt vmcnt(0)
	v_cvt_f32_u32_e32 v5, v3
	s_branch .LBB47_1440
.LBB47_1438:
	s_mov_b64 s[12:13], -1
                                        ; implicit-def: $vgpr5
	s_branch .LBB47_1443
.LBB47_1439:
	s_mov_b64 s[12:13], -1
                                        ; implicit-def: $vgpr5
.LBB47_1440:
	s_andn2_b64 vcc, exec, s[12:13]
	s_cbranch_vccnz .LBB47_1442
; %bb.1441:
	global_load_ushort v3, v[0:1], off
	s_waitcnt vmcnt(0)
	v_cvt_f32_u32_e32 v5, v3
.LBB47_1442:
	s_mov_b64 s[12:13], 0
.LBB47_1443:
	s_andn2_b64 vcc, exec, s[12:13]
	s_cbranch_vccnz .LBB47_1451
; %bb.1444:
	global_load_ubyte v3, v[0:1], off
	s_movk_i32 s3, 0x7f
	s_mov_b64 s[12:13], 0
	s_waitcnt vmcnt(0)
	v_cmp_lt_i16_e32 vcc, s3, v3
	s_and_saveexec_b64 s[16:17], vcc
	s_xor_b64 s[16:17], exec, s[16:17]
	s_cbranch_execz .LBB47_1465
; %bb.1445:
	s_movk_i32 s3, 0x80
	v_cmp_eq_u16_e32 vcc, s3, v3
	s_mov_b64 s[12:13], -1
	s_and_saveexec_b64 s[18:19], vcc
; %bb.1446:
	s_xor_b64 s[12:13], exec, -1
; %bb.1447:
	s_or_b64 exec, exec, s[18:19]
	s_and_b64 s[12:13], s[12:13], exec
	s_or_saveexec_b64 s[16:17], s[16:17]
	v_mov_b32_e32 v5, 0x7f800001
	s_xor_b64 exec, exec, s[16:17]
	s_cbranch_execnz .LBB47_1466
.LBB47_1448:
	s_or_b64 exec, exec, s[16:17]
	s_and_saveexec_b64 s[16:17], s[12:13]
	s_cbranch_execz .LBB47_1450
.LBB47_1449:
	v_lshlrev_b32_e32 v5, 24, v3
	v_and_b32_e32 v3, 0xffff, v3
	v_and_b32_e32 v8, 7, v3
	v_ffbh_u32_e32 v10, v8
	v_min_u32_e32 v10, 32, v10
	v_subrev_u32_e32 v11, 28, v10
	v_bfe_u32 v9, v3, 3, 4
	v_lshlrev_b32_e32 v3, v11, v3
	v_sub_u32_e32 v10, 29, v10
	v_and_b32_e32 v3, 7, v3
	v_cmp_eq_u32_e32 vcc, 0, v9
	v_cndmask_b32_e32 v9, v9, v10, vcc
	v_cndmask_b32_e32 v3, v8, v3, vcc
	v_mov_b32_e32 v8, 0x3b800000
	v_lshlrev_b32_e32 v3, 20, v3
	v_and_b32_e32 v5, 0x80000000, v5
	v_lshl_add_u32 v8, v9, 23, v8
	v_or3_b32 v5, v5, v8, v3
.LBB47_1450:
	s_or_b64 exec, exec, s[16:17]
.LBB47_1451:
	s_mov_b64 s[12:13], -1
.LBB47_1452:
	s_mov_b64 s[16:17], 0
.LBB47_1453:
	s_and_b64 vcc, exec, s[16:17]
	s_cbranch_vccz .LBB47_1486
; %bb.1454:
	s_cmp_gt_i32 s22, 22
	s_cbranch_scc0 .LBB47_1464
; %bb.1455:
	s_cmp_lt_i32 s22, 24
	s_cbranch_scc1 .LBB47_1467
; %bb.1456:
	s_cmp_gt_i32 s22, 24
	s_cbranch_scc0 .LBB47_1468
; %bb.1457:
	global_load_ubyte v3, v[0:1], off
	s_movk_i32 s3, 0x7f
	s_waitcnt vmcnt(0)
	v_cmp_lt_i16_e32 vcc, s3, v3
	s_and_saveexec_b64 s[12:13], vcc
	s_xor_b64 s[12:13], exec, s[12:13]
	s_cbranch_execz .LBB47_1480
; %bb.1458:
	s_movk_i32 s3, 0x80
	v_cmp_eq_u16_e32 vcc, s3, v3
	s_mov_b64 s[10:11], -1
	s_and_saveexec_b64 s[16:17], vcc
; %bb.1459:
	s_xor_b64 s[10:11], exec, -1
; %bb.1460:
	s_or_b64 exec, exec, s[16:17]
	s_and_b64 s[10:11], s[10:11], exec
	s_or_saveexec_b64 s[12:13], s[12:13]
	v_mov_b32_e32 v5, 0x7f800001
	s_xor_b64 exec, exec, s[12:13]
	s_cbranch_execnz .LBB47_1481
.LBB47_1461:
	s_or_b64 exec, exec, s[12:13]
	s_and_saveexec_b64 s[12:13], s[10:11]
	s_cbranch_execz .LBB47_1463
.LBB47_1462:
	v_lshlrev_b32_e32 v5, 24, v3
	v_and_b32_e32 v3, 0xffff, v3
	v_and_b32_e32 v8, 3, v3
	v_ffbh_u32_e32 v10, v8
	v_min_u32_e32 v10, 32, v10
	v_subrev_u32_e32 v11, 29, v10
	v_bfe_u32 v9, v3, 2, 5
	v_lshlrev_b32_e32 v3, v11, v3
	v_sub_u32_e32 v10, 30, v10
	v_and_b32_e32 v3, 3, v3
	v_cmp_eq_u32_e32 vcc, 0, v9
	v_cndmask_b32_e32 v9, v9, v10, vcc
	v_cndmask_b32_e32 v3, v8, v3, vcc
	v_mov_b32_e32 v8, 0x37800000
	v_lshlrev_b32_e32 v3, 21, v3
	v_and_b32_e32 v5, 0x80000000, v5
	v_lshl_add_u32 v8, v9, 23, v8
	v_or3_b32 v5, v5, v8, v3
.LBB47_1463:
	s_or_b64 exec, exec, s[12:13]
	s_mov_b64 s[10:11], 0
	s_branch .LBB47_1469
.LBB47_1464:
	s_mov_b64 s[10:11], -1
                                        ; implicit-def: $vgpr5
	s_branch .LBB47_1475
.LBB47_1465:
	s_or_saveexec_b64 s[16:17], s[16:17]
	v_mov_b32_e32 v5, 0x7f800001
	s_xor_b64 exec, exec, s[16:17]
	s_cbranch_execz .LBB47_1448
.LBB47_1466:
	v_cmp_ne_u16_e32 vcc, 0, v3
	s_andn2_b64 s[12:13], s[12:13], exec
	s_and_b64 s[18:19], vcc, exec
	v_mov_b32_e32 v5, 0
	s_or_b64 s[12:13], s[12:13], s[18:19]
	s_or_b64 exec, exec, s[16:17]
	s_and_saveexec_b64 s[16:17], s[12:13]
	s_cbranch_execnz .LBB47_1449
	s_branch .LBB47_1450
.LBB47_1467:
	s_mov_b64 s[10:11], -1
                                        ; implicit-def: $vgpr5
	s_branch .LBB47_1472
.LBB47_1468:
	s_mov_b64 s[10:11], -1
                                        ; implicit-def: $vgpr5
.LBB47_1469:
	s_and_b64 vcc, exec, s[10:11]
	s_cbranch_vccz .LBB47_1471
; %bb.1470:
	global_load_ubyte v3, v[0:1], off
	s_mov_b32 s3, 0x7f800000
	s_waitcnt vmcnt(0)
	v_lshlrev_b32_e32 v3, 24, v3
	v_and_b32_e32 v5, 0x7f000000, v3
	v_ffbh_u32_e32 v8, v5
	v_min_u32_e32 v8, 32, v8
	v_sub_u32_e64 v8, v8, 4 clamp
	v_lshlrev_b32_e32 v10, v8, v5
	v_lshlrev_b32_e32 v8, 23, v8
	v_lshrrev_b32_e32 v10, 4, v10
	v_add_u32_e32 v9, 0x1000000, v5
	v_sub_u32_e32 v8, v10, v8
	v_ashrrev_i32_e32 v9, 8, v9
	v_add_u32_e32 v8, 0x3c000000, v8
	v_and_or_b32 v8, v9, s3, v8
	v_cmp_ne_u32_e32 vcc, 0, v5
	v_cndmask_b32_e32 v5, 0, v8, vcc
	s_brev_b32 s3, 1
	v_and_or_b32 v5, v3, s3, v5
.LBB47_1471:
	s_mov_b64 s[10:11], 0
.LBB47_1472:
	s_andn2_b64 vcc, exec, s[10:11]
	s_cbranch_vccnz .LBB47_1474
; %bb.1473:
	global_load_ubyte v3, v[0:1], off
	s_movk_i32 s3, 0x7f00
	s_brev_b32 s10, 16
	s_waitcnt vmcnt(0)
	v_lshlrev_b16_e32 v5, 8, v3
	v_lshlrev_b32_e32 v3, 25, v3
	v_lshrrev_b32_e32 v8, 4, v3
	v_and_or_b32 v9, v5, s3, 0.5
	v_or_b32_e32 v8, 0x70000000, v8
	v_add_f32_e32 v9, -0.5, v9
	v_mul_f32_e32 v8, 0x7800000, v8
	v_cmp_gt_u32_e32 vcc, s10, v3
	v_bfe_i32 v5, v5, 0, 16
	v_cndmask_b32_e32 v3, v8, v9, vcc
	s_brev_b32 s3, 1
	v_and_or_b32 v5, v5, s3, v3
.LBB47_1474:
	s_mov_b64 s[10:11], 0
	s_mov_b64 s[12:13], -1
.LBB47_1475:
	s_andn2_b64 vcc, exec, s[10:11]
	s_mov_b64 s[10:11], 0
	s_cbranch_vccnz .LBB47_1486
; %bb.1476:
	s_cmp_gt_i32 s22, 14
	s_cbranch_scc0 .LBB47_1479
; %bb.1477:
	s_cmp_eq_u32 s22, 15
	s_cbranch_scc0 .LBB47_1482
; %bb.1478:
	global_load_ushort v3, v[0:1], off
	s_mov_b64 s[0:1], 0
	s_mov_b64 s[12:13], -1
	s_waitcnt vmcnt(0)
	v_lshlrev_b32_e32 v5, 16, v3
	s_branch .LBB47_1483
.LBB47_1479:
	s_mov_b64 s[16:17], -1
                                        ; implicit-def: $vgpr5
	s_branch .LBB47_1484
.LBB47_1480:
	s_or_saveexec_b64 s[12:13], s[12:13]
	v_mov_b32_e32 v5, 0x7f800001
	s_xor_b64 exec, exec, s[12:13]
	s_cbranch_execz .LBB47_1461
.LBB47_1481:
	v_cmp_ne_u16_e32 vcc, 0, v3
	s_andn2_b64 s[10:11], s[10:11], exec
	s_and_b64 s[16:17], vcc, exec
	v_mov_b32_e32 v5, 0
	s_or_b64 s[10:11], s[10:11], s[16:17]
	s_or_b64 exec, exec, s[12:13]
	s_and_saveexec_b64 s[12:13], s[10:11]
	s_cbranch_execnz .LBB47_1462
	s_branch .LBB47_1463
.LBB47_1482:
	s_mov_b64 s[0:1], -1
                                        ; implicit-def: $vgpr5
.LBB47_1483:
	s_mov_b64 s[16:17], 0
.LBB47_1484:
	s_and_b64 vcc, exec, s[16:17]
	s_cbranch_vccz .LBB47_1486
; %bb.1485:
	s_cmp_lg_u32 s22, 11
	s_mov_b64 s[10:11], -1
	s_cselect_b64 s[0:1], -1, 0
.LBB47_1486:
	s_and_b64 vcc, exec, s[0:1]
	s_cbranch_vccnz .LBB47_2019
; %bb.1487:
	s_andn2_b64 vcc, exec, s[10:11]
	s_cbranch_vccnz .LBB47_1489
.LBB47_1488:
	global_load_ubyte v3, v[0:1], off
	s_mov_b64 s[12:13], -1
	s_waitcnt vmcnt(0)
	v_cmp_ne_u16_e32 vcc, 0, v3
	v_cndmask_b32_e64 v5, 0, 1.0, vcc
.LBB47_1489:
	s_mov_b64 s[0:1], 0
.LBB47_1490:
	s_and_b64 vcc, exec, s[0:1]
	s_cbranch_vccz .LBB47_1539
; %bb.1491:
	s_cmp_lt_i32 s22, 5
	s_cbranch_scc1 .LBB47_1496
; %bb.1492:
	s_cmp_lt_i32 s22, 8
	s_cbranch_scc1 .LBB47_1497
	;; [unrolled: 3-line block ×3, first 2 shown]
; %bb.1494:
	s_cmp_gt_i32 s22, 9
	s_cbranch_scc0 .LBB47_1499
; %bb.1495:
	global_load_dwordx2 v[8:9], v[0:1], off
	s_mov_b64 s[0:1], 0
	s_waitcnt vmcnt(0)
	v_cvt_f32_f64_e32 v5, v[8:9]
	s_branch .LBB47_1500
.LBB47_1496:
	s_mov_b64 s[0:1], -1
                                        ; implicit-def: $vgpr5
	s_branch .LBB47_1518
.LBB47_1497:
	s_mov_b64 s[0:1], -1
                                        ; implicit-def: $vgpr5
	s_branch .LBB47_1506
.LBB47_1498:
	s_mov_b64 s[0:1], -1
                                        ; implicit-def: $vgpr5
	s_branch .LBB47_1503
.LBB47_1499:
	s_mov_b64 s[0:1], -1
                                        ; implicit-def: $vgpr5
.LBB47_1500:
	s_andn2_b64 vcc, exec, s[0:1]
	s_cbranch_vccnz .LBB47_1502
; %bb.1501:
	global_load_dword v5, v[0:1], off
.LBB47_1502:
	s_mov_b64 s[0:1], 0
.LBB47_1503:
	s_andn2_b64 vcc, exec, s[0:1]
	s_cbranch_vccnz .LBB47_1505
; %bb.1504:
	global_load_dword v3, v[0:1], off
	s_waitcnt vmcnt(0)
	v_cvt_f32_f16_e32 v5, v3
.LBB47_1505:
	s_mov_b64 s[0:1], 0
.LBB47_1506:
	s_andn2_b64 vcc, exec, s[0:1]
	s_cbranch_vccnz .LBB47_1517
; %bb.1507:
	s_cmp_lt_i32 s22, 6
	s_cbranch_scc1 .LBB47_1510
; %bb.1508:
	s_cmp_gt_i32 s22, 6
	s_cbranch_scc0 .LBB47_1511
; %bb.1509:
	global_load_dwordx2 v[8:9], v[0:1], off
	s_mov_b64 s[0:1], 0
	s_waitcnt vmcnt(0)
	v_cvt_f32_f64_e32 v5, v[8:9]
	s_branch .LBB47_1512
.LBB47_1510:
	s_mov_b64 s[0:1], -1
                                        ; implicit-def: $vgpr5
	s_branch .LBB47_1515
.LBB47_1511:
	s_mov_b64 s[0:1], -1
                                        ; implicit-def: $vgpr5
.LBB47_1512:
	s_andn2_b64 vcc, exec, s[0:1]
	s_cbranch_vccnz .LBB47_1514
; %bb.1513:
	global_load_dword v5, v[0:1], off
.LBB47_1514:
	s_mov_b64 s[0:1], 0
.LBB47_1515:
	s_andn2_b64 vcc, exec, s[0:1]
	s_cbranch_vccnz .LBB47_1517
; %bb.1516:
	global_load_ushort v3, v[0:1], off
	s_waitcnt vmcnt(0)
	v_cvt_f32_f16_e32 v5, v3
.LBB47_1517:
	s_mov_b64 s[0:1], 0
.LBB47_1518:
	s_andn2_b64 vcc, exec, s[0:1]
	s_cbranch_vccnz .LBB47_1538
; %bb.1519:
	s_cmp_lt_i32 s22, 2
	s_cbranch_scc1 .LBB47_1523
; %bb.1520:
	s_cmp_lt_i32 s22, 3
	s_cbranch_scc1 .LBB47_1524
; %bb.1521:
	s_cmp_gt_i32 s22, 3
	s_cbranch_scc0 .LBB47_1525
; %bb.1522:
	global_load_dwordx2 v[8:9], v[0:1], off
	s_mov_b64 s[0:1], 0
	s_waitcnt vmcnt(0)
	v_xor_b32_e32 v5, v8, v9
	v_ffbh_i32_e32 v3, v9
	v_ashrrev_i32_e32 v5, 31, v5
	v_add_u32_e32 v3, -1, v3
	v_add_u32_e32 v5, 32, v5
	v_min_u32_e32 v3, v3, v5
	v_lshlrev_b64 v[8:9], v3, v[8:9]
	v_sub_u32_e32 v3, 32, v3
	v_min_u32_e32 v5, 1, v8
	v_or_b32_e32 v5, v9, v5
	v_cvt_f32_i32_e32 v5, v5
	v_ldexp_f32 v5, v5, v3
	s_branch .LBB47_1526
.LBB47_1523:
	s_mov_b64 s[0:1], -1
                                        ; implicit-def: $vgpr5
	s_branch .LBB47_1532
.LBB47_1524:
	s_mov_b64 s[0:1], -1
                                        ; implicit-def: $vgpr5
	s_branch .LBB47_1529
.LBB47_1525:
	s_mov_b64 s[0:1], -1
                                        ; implicit-def: $vgpr5
.LBB47_1526:
	s_andn2_b64 vcc, exec, s[0:1]
	s_cbranch_vccnz .LBB47_1528
; %bb.1527:
	global_load_dword v3, v[0:1], off
	s_waitcnt vmcnt(0)
	v_cvt_f32_i32_e32 v5, v3
.LBB47_1528:
	s_mov_b64 s[0:1], 0
.LBB47_1529:
	s_andn2_b64 vcc, exec, s[0:1]
	s_cbranch_vccnz .LBB47_1531
; %bb.1530:
	global_load_sshort v3, v[0:1], off
	s_waitcnt vmcnt(0)
	v_cvt_f32_i32_e32 v5, v3
.LBB47_1531:
	s_mov_b64 s[0:1], 0
.LBB47_1532:
	s_andn2_b64 vcc, exec, s[0:1]
	s_cbranch_vccnz .LBB47_1538
; %bb.1533:
	s_cmp_gt_i32 s22, 0
	s_cbranch_scc0 .LBB47_1535
; %bb.1534:
	global_load_sbyte v3, v[0:1], off
	s_mov_b64 s[0:1], 0
	s_waitcnt vmcnt(0)
	v_cvt_f32_i32_e32 v5, v3
	s_branch .LBB47_1536
.LBB47_1535:
	s_mov_b64 s[0:1], -1
                                        ; implicit-def: $vgpr5
.LBB47_1536:
	s_andn2_b64 vcc, exec, s[0:1]
	s_cbranch_vccnz .LBB47_1538
; %bb.1537:
	global_load_ubyte v0, v[0:1], off
	s_waitcnt vmcnt(0)
	v_cvt_f32_ubyte0_e32 v5, v0
.LBB47_1538:
	s_mov_b64 s[12:13], -1
.LBB47_1539:
	s_andn2_b64 vcc, exec, s[12:13]
	s_cbranch_vccnz .LBB47_1973
; %bb.1540:
	s_waitcnt vmcnt(0)
	v_fma_f32 v0, |v2|, -0.5, 0.5
	v_mul_f32_e32 v1, v2, v2
	v_cmp_ge_f32_e64 vcc, |v2|, 0.5
	v_cndmask_b32_e32 v0, v1, v0, vcc
	v_mov_b32_e32 v1, 0x3c5fc5da
	v_fmac_f32_e32 v1, 0x3d1c21a7, v0
	v_mov_b32_e32 v3, 0x3d034c3c
	v_fmac_f32_e32 v3, v0, v1
	;; [unrolled: 2-line block ×4, first 2 shown]
	v_sqrt_f32_e32 v1, v0
	v_mov_b32_e32 v8, 0x3e2aaaac
	v_fmac_f32_e32 v8, v0, v3
	v_mul_f32_e32 v0, v0, v8
	v_mul_lo_u32 v4, s2, v4
	v_fmac_f32_e32 v1, v1, v0
	v_add_f32_e32 v1, v1, v1
	v_sub_f32_e32 v1, 0x3fc90fdb, v1
	v_fma_f32 v0, |v2|, v0, |v2|
	v_cmp_lt_f32_e64 vcc, |v2|, 0.5
	v_cndmask_b32_e32 v3, v1, v0, vcc
	s_brev_b32 s0, -2
	v_ashrrev_i32_e32 v1, 31, v4
	v_mov_b32_e32 v8, s9
	s_and_b32 s20, s33, 0xff
	v_add_co_u32_e32 v0, vcc, s8, v4
	v_bfi_b32 v2, s0, v3, v2
	s_cmp_lt_i32 s20, 11
	v_addc_co_u32_e32 v1, vcc, v8, v1, vcc
	s_cbranch_scc1 .LBB47_1618
; %bb.1541:
	s_and_b32 s3, 0xffff, s20
	s_mov_b64 s[16:17], -1
	s_mov_b64 s[10:11], 0
	s_cmp_gt_i32 s3, 25
	s_mov_b64 s[12:13], 0
	s_mov_b64 s[0:1], 0
	s_cbranch_scc0 .LBB47_1574
; %bb.1542:
	s_cmp_gt_i32 s3, 28
	s_cbranch_scc0 .LBB47_1557
; %bb.1543:
	s_cmp_gt_i32 s3, 43
	;; [unrolled: 3-line block ×3, first 2 shown]
	s_cbranch_scc0 .LBB47_1547
; %bb.1545:
	s_mov_b64 s[0:1], -1
	s_mov_b64 s[16:17], 0
	s_cmp_eq_u32 s3, 46
	s_cbranch_scc0 .LBB47_1547
; %bb.1546:
	v_bfe_u32 v8, v2, 16, 1
	s_movk_i32 s0, 0x7fff
	v_add3_u32 v8, v2, v8, s0
	v_cmp_o_f32_e32 vcc, v2, v2
	v_mov_b32_e32 v9, 0x7fc0
	v_cndmask_b32_sdwa v8, v9, v8, vcc dst_sel:DWORD dst_unused:UNUSED_PAD src0_sel:DWORD src1_sel:WORD_1
	global_store_dword v[0:1], v8, off
	s_mov_b64 s[0:1], 0
	s_mov_b64 s[12:13], -1
.LBB47_1547:
	s_and_b64 vcc, exec, s[16:17]
	s_cbranch_vccz .LBB47_1552
; %bb.1548:
	s_cmp_eq_u32 s3, 44
	s_mov_b64 s[0:1], -1
	s_cbranch_scc0 .LBB47_1552
; %bb.1549:
	v_bfe_u32 v8, v2, 23, 8
	s_movk_i32 s0, 0xff
	v_cmp_ne_u32_e32 vcc, s0, v8
	v_mov_b32_e32 v9, 0xff
	s_and_saveexec_b64 s[12:13], vcc
; %bb.1550:
	s_mov_b32 s0, 0x3fffff
	v_and_b32_e32 v10, 0x400000, v2
	v_and_or_b32 v8, v2, s0, v8
	v_cmp_ne_u32_e32 vcc, 0, v10
	v_cmp_ne_u32_e64 s[0:1], 0, v8
	s_and_b64 s[0:1], vcc, s[0:1]
	v_lshrrev_b32_e32 v9, 23, v2
	v_cndmask_b32_e64 v8, 0, 1, s[0:1]
	v_add_u32_e32 v9, v9, v8
; %bb.1551:
	s_or_b64 exec, exec, s[12:13]
	s_mov_b64 s[0:1], 0
	s_mov_b64 s[12:13], -1
	global_store_byte v[0:1], v9, off
.LBB47_1552:
	s_mov_b64 s[16:17], 0
.LBB47_1553:
	s_and_b64 vcc, exec, s[16:17]
	s_cbranch_vccz .LBB47_1556
; %bb.1554:
	s_cmp_eq_u32 s3, 29
	s_mov_b64 s[0:1], -1
	s_cbranch_scc0 .LBB47_1556
; %bb.1555:
	v_trunc_f32_e32 v8, v2
	v_mul_f32_e32 v9, 0x2f800000, v8
	v_floor_f32_e32 v10, v9
	v_fmac_f32_e32 v8, 0xcf800000, v10
	v_cvt_u32_f32_e32 v9, v10
	v_cvt_u32_f32_e32 v8, v8
	s_mov_b64 s[0:1], 0
	s_mov_b64 s[12:13], -1
	global_store_dwordx2 v[0:1], v[8:9], off
.LBB47_1556:
	s_mov_b64 s[16:17], 0
.LBB47_1557:
	s_and_b64 vcc, exec, s[16:17]
	s_cbranch_vccz .LBB47_1573
; %bb.1558:
	s_cmp_lt_i32 s3, 27
	s_mov_b64 s[12:13], -1
	s_cbranch_scc1 .LBB47_1564
; %bb.1559:
	v_cvt_u32_f32_e32 v8, v2
	s_cmp_gt_i32 s3, 27
	s_cbranch_scc0 .LBB47_1561
; %bb.1560:
	s_mov_b64 s[12:13], 0
	global_store_dword v[0:1], v8, off
.LBB47_1561:
	s_andn2_b64 vcc, exec, s[12:13]
	s_cbranch_vccnz .LBB47_1563
; %bb.1562:
	global_store_short v[0:1], v8, off
.LBB47_1563:
	s_mov_b64 s[12:13], 0
.LBB47_1564:
	s_andn2_b64 vcc, exec, s[12:13]
	s_cbranch_vccnz .LBB47_1572
; %bb.1565:
	v_and_b32_e32 v8, 0x7fffffff, v3
	s_mov_b32 s12, 0x43800000
	v_cmp_gt_u32_e32 vcc, s12, v8
	v_mov_b32_e32 v9, 0x80
	s_and_saveexec_b64 s[12:13], vcc
	s_cbranch_execz .LBB47_1571
; %bb.1566:
	s_mov_b32 s16, 0x3bffffff
	v_cmp_lt_u32_e32 vcc, s16, v8
	s_mov_b64 s[16:17], 0
                                        ; implicit-def: $vgpr8
	s_and_saveexec_b64 s[18:19], vcc
	s_xor_b64 s[18:19], exec, s[18:19]
	s_cbranch_execz .LBB47_2020
; %bb.1567:
	v_bfe_u32 v8, v2, 20, 1
	s_mov_b32 s21, 0x487ffff
	v_add3_u32 v8, v2, v8, s21
	s_mov_b64 s[16:17], exec
	v_lshrrev_b32_e32 v8, 20, v8
	s_andn2_saveexec_b64 s[18:19], s[18:19]
	s_cbranch_execnz .LBB47_2021
.LBB47_1568:
	s_or_b64 exec, exec, s[18:19]
	v_mov_b32_e32 v9, 0
	s_and_saveexec_b64 s[18:19], s[16:17]
.LBB47_1569:
	v_lshrrev_b32_e32 v9, 24, v2
	s_movk_i32 s16, 0x80
	v_and_or_b32 v9, v9, s16, v8
.LBB47_1570:
	s_or_b64 exec, exec, s[18:19]
.LBB47_1571:
	s_or_b64 exec, exec, s[12:13]
	global_store_byte v[0:1], v9, off
.LBB47_1572:
	s_mov_b64 s[12:13], -1
.LBB47_1573:
	s_mov_b64 s[16:17], 0
.LBB47_1574:
	s_and_b64 vcc, exec, s[16:17]
	s_cbranch_vccz .LBB47_1614
; %bb.1575:
	s_cmp_gt_i32 s3, 22
	s_mov_b64 s[10:11], -1
	s_cbranch_scc0 .LBB47_1607
; %bb.1576:
	s_cmp_lt_i32 s3, 24
	s_cbranch_scc1 .LBB47_1596
; %bb.1577:
	s_cmp_gt_i32 s3, 24
	s_cbranch_scc0 .LBB47_1585
; %bb.1578:
	v_and_b32_e32 v8, 0x7fffffff, v3
	s_mov_b32 s10, 0x47800000
	v_cmp_gt_u32_e32 vcc, s10, v8
	v_mov_b32_e32 v9, 0x80
	s_and_saveexec_b64 s[10:11], vcc
	s_cbranch_execz .LBB47_1584
; %bb.1579:
	s_mov_b32 s12, 0x37ffffff
	v_cmp_lt_u32_e32 vcc, s12, v8
	s_mov_b64 s[12:13], 0
                                        ; implicit-def: $vgpr8
	s_and_saveexec_b64 s[16:17], vcc
	s_xor_b64 s[16:17], exec, s[16:17]
	s_cbranch_execz .LBB47_2023
; %bb.1580:
	v_bfe_u32 v8, v2, 21, 1
	s_mov_b32 s18, 0x88fffff
	v_add3_u32 v8, v2, v8, s18
	s_mov_b64 s[12:13], exec
	v_lshrrev_b32_e32 v8, 21, v8
	s_andn2_saveexec_b64 s[16:17], s[16:17]
	s_cbranch_execnz .LBB47_2024
.LBB47_1581:
	s_or_b64 exec, exec, s[16:17]
	v_mov_b32_e32 v9, 0
	s_and_saveexec_b64 s[16:17], s[12:13]
.LBB47_1582:
	v_lshrrev_b32_e32 v9, 24, v2
	s_movk_i32 s12, 0x80
	v_and_or_b32 v9, v9, s12, v8
.LBB47_1583:
	s_or_b64 exec, exec, s[16:17]
.LBB47_1584:
	s_or_b64 exec, exec, s[10:11]
	s_mov_b64 s[10:11], 0
	global_store_byte v[0:1], v9, off
.LBB47_1585:
	s_and_b64 vcc, exec, s[10:11]
	s_cbranch_vccz .LBB47_1595
; %bb.1586:
	v_and_b32_e32 v9, 0x7fffffff, v3
	s_mov_b32 s10, 0x43f00000
	v_cmp_gt_u32_e32 vcc, s10, v9
                                        ; implicit-def: $vgpr8
	s_and_saveexec_b64 s[10:11], vcc
	s_xor_b64 s[10:11], exec, s[10:11]
	s_cbranch_execz .LBB47_1592
; %bb.1587:
	s_mov_b32 s12, 0x3c7fffff
	v_cmp_lt_u32_e32 vcc, s12, v9
                                        ; implicit-def: $vgpr8
	s_and_saveexec_b64 s[12:13], vcc
	s_xor_b64 s[12:13], exec, s[12:13]
; %bb.1588:
	v_bfe_u32 v8, v2, 20, 1
	s_mov_b32 s16, 0x407ffff
	v_add3_u32 v8, v2, v8, s16
	v_lshrrev_b32_e32 v9, 20, v8
	v_and_b32_e32 v8, 0xff00000, v8
	s_mov_b32 s16, 0x7f00000
	v_mov_b32_e32 v10, 0x7e
	v_cmp_ne_u32_e32 vcc, s16, v8
	v_cndmask_b32_e32 v8, v10, v9, vcc
; %bb.1589:
	s_andn2_saveexec_b64 s[12:13], s[12:13]
; %bb.1590:
	s_mov_b32 s16, 0x46800000
	v_add_f32_e64 v8, |v3|, s16
; %bb.1591:
	s_or_b64 exec, exec, s[12:13]
                                        ; implicit-def: $vgpr9
.LBB47_1592:
	s_andn2_saveexec_b64 s[10:11], s[10:11]
; %bb.1593:
	s_mov_b32 s12, 0x7f800000
	v_mov_b32_e32 v8, 0x7e
	v_mov_b32_e32 v10, 0x7f
	v_cmp_lt_u32_e32 vcc, s12, v9
	v_cndmask_b32_e32 v8, v8, v10, vcc
; %bb.1594:
	s_or_b64 exec, exec, s[10:11]
	v_lshrrev_b32_e32 v9, 24, v2
	s_movk_i32 s10, 0x80
	v_and_or_b32 v8, v9, s10, v8
	global_store_byte v[0:1], v8, off
.LBB47_1595:
	s_mov_b64 s[10:11], 0
.LBB47_1596:
	s_andn2_b64 vcc, exec, s[10:11]
	s_cbranch_vccnz .LBB47_1606
; %bb.1597:
	v_and_b32_e32 v9, 0x7fffffff, v3
	s_mov_b32 s10, 0x47800000
	v_cmp_gt_u32_e32 vcc, s10, v9
                                        ; implicit-def: $vgpr8
	s_and_saveexec_b64 s[10:11], vcc
	s_xor_b64 s[10:11], exec, s[10:11]
	s_cbranch_execz .LBB47_1603
; %bb.1598:
	s_mov_b32 s12, 0x387fffff
	v_cmp_lt_u32_e32 vcc, s12, v9
                                        ; implicit-def: $vgpr8
	s_and_saveexec_b64 s[12:13], vcc
	s_xor_b64 s[12:13], exec, s[12:13]
; %bb.1599:
	v_bfe_u32 v3, v2, 21, 1
	s_mov_b32 s16, 0x80fffff
	v_add3_u32 v3, v2, v3, s16
	v_lshrrev_b32_e32 v8, 21, v3
                                        ; implicit-def: $vgpr3
; %bb.1600:
	s_andn2_saveexec_b64 s[12:13], s[12:13]
; %bb.1601:
	s_mov_b32 s16, 0x43000000
	v_add_f32_e64 v8, |v3|, s16
; %bb.1602:
	s_or_b64 exec, exec, s[12:13]
                                        ; implicit-def: $vgpr9
.LBB47_1603:
	s_andn2_saveexec_b64 s[10:11], s[10:11]
; %bb.1604:
	s_mov_b32 s12, 0x7f800000
	v_mov_b32_e32 v3, 0x7c
	v_mov_b32_e32 v8, 0x7f
	v_cmp_lt_u32_e32 vcc, s12, v9
	v_cndmask_b32_e32 v8, v3, v8, vcc
; %bb.1605:
	s_or_b64 exec, exec, s[10:11]
	v_lshrrev_b32_e32 v3, 24, v2
	s_movk_i32 s10, 0x80
	v_and_or_b32 v3, v3, s10, v8
	global_store_byte v[0:1], v3, off
.LBB47_1606:
	s_mov_b64 s[10:11], 0
	s_mov_b64 s[12:13], -1
.LBB47_1607:
	s_andn2_b64 vcc, exec, s[10:11]
	s_mov_b64 s[10:11], 0
	s_cbranch_vccnz .LBB47_1614
; %bb.1608:
	s_cmp_gt_i32 s3, 14
	s_mov_b64 s[16:17], -1
	s_cbranch_scc0 .LBB47_1612
; %bb.1609:
	s_cmp_eq_u32 s3, 15
	s_mov_b64 s[0:1], -1
	s_cbranch_scc0 .LBB47_1611
; %bb.1610:
	v_bfe_u32 v3, v2, 16, 1
	s_movk_i32 s0, 0x7fff
	v_add3_u32 v3, v2, v3, s0
	v_cmp_o_f32_e32 vcc, v2, v2
	v_mov_b32_e32 v8, 0x7fc0
	v_cndmask_b32_sdwa v3, v8, v3, vcc dst_sel:DWORD dst_unused:UNUSED_PAD src0_sel:DWORD src1_sel:WORD_1
	global_store_short v[0:1], v3, off
	s_mov_b64 s[0:1], 0
	s_mov_b64 s[12:13], -1
.LBB47_1611:
	s_mov_b64 s[16:17], 0
.LBB47_1612:
	s_and_b64 vcc, exec, s[16:17]
	s_cbranch_vccz .LBB47_1614
; %bb.1613:
	s_cmp_lg_u32 s3, 11
	s_mov_b64 s[10:11], -1
	s_cselect_b64 s[0:1], -1, 0
.LBB47_1614:
	s_and_b64 vcc, exec, s[0:1]
	s_cbranch_vccnz .LBB47_2022
; %bb.1615:
	s_andn2_b64 vcc, exec, s[10:11]
	s_cbranch_vccnz .LBB47_1617
.LBB47_1616:
	v_cmp_neq_f32_e32 vcc, 0, v2
	v_cndmask_b32_e64 v3, 0, 1, vcc
	s_mov_b64 s[12:13], -1
	global_store_byte v[0:1], v3, off
.LBB47_1617:
	s_mov_b64 s[0:1], 0
	s_branch .LBB47_1619
.LBB47_1618:
	s_mov_b64 s[0:1], -1
	s_mov_b64 s[12:13], 0
.LBB47_1619:
	s_and_b64 vcc, exec, s[0:1]
	s_cbranch_vccz .LBB47_1658
; %bb.1620:
	s_and_b32 s3, 0xffff, s20
	s_cmp_lt_i32 s3, 5
	s_mov_b64 s[0:1], -1
	s_cbranch_scc1 .LBB47_1641
; %bb.1621:
	s_cmp_lt_i32 s3, 8
	s_cbranch_scc1 .LBB47_1631
; %bb.1622:
	s_cmp_lt_i32 s3, 9
	s_cbranch_scc1 .LBB47_1628
; %bb.1623:
	s_cmp_gt_i32 s3, 9
	s_cbranch_scc0 .LBB47_1625
; %bb.1624:
	v_cvt_f64_f32_e32 v[8:9], v2
	v_mov_b32_e32 v10, 0
	v_mov_b32_e32 v11, v10
	s_mov_b64 s[0:1], 0
	global_store_dwordx4 v[0:1], v[8:11], off
.LBB47_1625:
	s_andn2_b64 vcc, exec, s[0:1]
	s_cbranch_vccnz .LBB47_1627
; %bb.1626:
	v_mov_b32_e32 v3, 0
	global_store_dwordx2 v[0:1], v[2:3], off
.LBB47_1627:
	s_mov_b64 s[0:1], 0
.LBB47_1628:
	s_andn2_b64 vcc, exec, s[0:1]
	s_cbranch_vccnz .LBB47_1630
; %bb.1629:
	v_cvt_f16_f32_e32 v3, v2
	global_store_dword v[0:1], v3, off
.LBB47_1630:
	s_mov_b64 s[0:1], 0
.LBB47_1631:
	s_andn2_b64 vcc, exec, s[0:1]
	s_cbranch_vccnz .LBB47_1640
; %bb.1632:
	s_cmp_lt_i32 s3, 6
	s_mov_b64 s[0:1], -1
	s_cbranch_scc1 .LBB47_1638
; %bb.1633:
	s_cmp_gt_i32 s3, 6
	s_cbranch_scc0 .LBB47_1635
; %bb.1634:
	v_cvt_f64_f32_e32 v[8:9], v2
	s_mov_b64 s[0:1], 0
	global_store_dwordx2 v[0:1], v[8:9], off
.LBB47_1635:
	s_andn2_b64 vcc, exec, s[0:1]
	s_cbranch_vccnz .LBB47_1637
; %bb.1636:
	global_store_dword v[0:1], v2, off
.LBB47_1637:
	s_mov_b64 s[0:1], 0
.LBB47_1638:
	s_andn2_b64 vcc, exec, s[0:1]
	s_cbranch_vccnz .LBB47_1640
; %bb.1639:
	v_cvt_f16_f32_e32 v3, v2
	global_store_short v[0:1], v3, off
.LBB47_1640:
	s_mov_b64 s[0:1], 0
.LBB47_1641:
	s_andn2_b64 vcc, exec, s[0:1]
	s_cbranch_vccnz .LBB47_1657
; %bb.1642:
	s_cmp_lt_i32 s3, 2
	s_mov_b64 s[0:1], -1
	s_cbranch_scc1 .LBB47_1652
; %bb.1643:
	s_cmp_lt_i32 s3, 3
	s_cbranch_scc1 .LBB47_1649
; %bb.1644:
	s_cmp_gt_i32 s3, 3
	s_cbranch_scc0 .LBB47_1646
; %bb.1645:
	v_trunc_f32_e32 v3, v2
	s_mov_b32 s0, 0x2f800000
	v_mul_f32_e64 v8, |v3|, s0
	v_floor_f32_e32 v8, v8
	s_mov_b32 s0, 0xcf800000
	v_cvt_u32_f32_e32 v9, v8
	v_fma_f32 v8, v8, s0, |v3|
	v_cvt_u32_f32_e32 v8, v8
	v_ashrrev_i32_e32 v3, 31, v3
	v_xor_b32_e32 v9, v9, v3
	s_mov_b64 s[0:1], 0
	v_xor_b32_e32 v8, v8, v3
	v_sub_co_u32_e32 v8, vcc, v8, v3
	v_subb_co_u32_e32 v9, vcc, v9, v3, vcc
	global_store_dwordx2 v[0:1], v[8:9], off
.LBB47_1646:
	s_andn2_b64 vcc, exec, s[0:1]
	s_cbranch_vccnz .LBB47_1648
; %bb.1647:
	v_cvt_i32_f32_e32 v3, v2
	global_store_dword v[0:1], v3, off
.LBB47_1648:
	s_mov_b64 s[0:1], 0
.LBB47_1649:
	s_andn2_b64 vcc, exec, s[0:1]
	s_cbranch_vccnz .LBB47_1651
; %bb.1650:
	v_cvt_i32_f32_e32 v3, v2
	global_store_short v[0:1], v3, off
.LBB47_1651:
	s_mov_b64 s[0:1], 0
.LBB47_1652:
	s_andn2_b64 vcc, exec, s[0:1]
	s_cbranch_vccnz .LBB47_1657
; %bb.1653:
	s_cmp_gt_i32 s3, 0
	s_mov_b64 s[0:1], -1
	s_cbranch_scc0 .LBB47_1655
; %bb.1654:
	v_cvt_i32_f32_e32 v3, v2
	s_mov_b64 s[0:1], 0
	global_store_byte v[0:1], v3, off
.LBB47_1655:
	s_andn2_b64 vcc, exec, s[0:1]
	s_cbranch_vccnz .LBB47_1657
; %bb.1656:
	v_trunc_f32_e32 v2, v2
	s_mov_b32 s0, 0x2f800000
	v_mul_f32_e64 v3, |v2|, s0
	v_floor_f32_e32 v3, v3
	s_mov_b32 s0, 0xcf800000
	v_fma_f32 v3, v3, s0, |v2|
	v_cvt_u32_f32_e32 v3, v3
	v_ashrrev_i32_e32 v2, 31, v2
	v_xor_b32_e32 v3, v3, v2
	v_sub_u32_e32 v2, v3, v2
	global_store_byte v[0:1], v2, off
.LBB47_1657:
	s_mov_b64 s[12:13], -1
.LBB47_1658:
	s_andn2_b64 vcc, exec, s[12:13]
	s_cbranch_vccnz .LBB47_1973
; %bb.1659:
	v_fma_f32 v0, |v7|, -0.5, 0.5
	v_mul_f32_e32 v1, v7, v7
	v_cmp_ge_f32_e64 vcc, |v7|, 0.5
	v_cndmask_b32_e32 v0, v1, v0, vcc
	v_mov_b32_e32 v1, 0x3c5fc5da
	v_fmac_f32_e32 v1, 0x3d1c21a7, v0
	v_mov_b32_e32 v2, 0x3d034c3c
	v_fmac_f32_e32 v2, v0, v1
	;; [unrolled: 2-line block ×4, first 2 shown]
	v_sqrt_f32_e32 v1, v0
	v_mov_b32_e32 v3, 0x3e2aaaac
	v_fmac_f32_e32 v3, v0, v2
	v_mul_f32_e32 v0, v0, v3
	v_fmac_f32_e32 v1, v1, v0
	v_add_f32_e32 v1, v1, v1
	v_sub_f32_e32 v1, 0x3fc90fdb, v1
	v_fma_f32 v0, |v7|, v0, |v7|
	v_cmp_lt_f32_e64 vcc, |v7|, 0.5
	s_lshl_b32 s18, s2, 7
	v_cndmask_b32_e32 v3, v1, v0, vcc
	s_brev_b32 s0, -2
	v_add_u32_e32 v4, s18, v4
	v_bfi_b32 v2, s0, v3, v7
	v_ashrrev_i32_e32 v1, 31, v4
	v_mov_b32_e32 v7, s9
	v_add_co_u32_e32 v0, vcc, s8, v4
	s_cmp_lt_i32 s20, 11
	v_addc_co_u32_e32 v1, vcc, v7, v1, vcc
	s_cbranch_scc1 .LBB47_1737
; %bb.1660:
	s_and_b32 s19, 0xffff, s20
	s_mov_b64 s[12:13], -1
	s_mov_b64 s[2:3], 0
	s_cmp_gt_i32 s19, 25
	s_mov_b64 s[10:11], 0
	s_mov_b64 s[0:1], 0
	s_cbranch_scc0 .LBB47_1693
; %bb.1661:
	s_cmp_gt_i32 s19, 28
	s_cbranch_scc0 .LBB47_1676
; %bb.1662:
	s_cmp_gt_i32 s19, 43
	;; [unrolled: 3-line block ×3, first 2 shown]
	s_cbranch_scc0 .LBB47_1666
; %bb.1664:
	s_mov_b64 s[0:1], -1
	s_mov_b64 s[12:13], 0
	s_cmp_eq_u32 s19, 46
	s_cbranch_scc0 .LBB47_1666
; %bb.1665:
	v_bfe_u32 v7, v2, 16, 1
	s_movk_i32 s0, 0x7fff
	v_add3_u32 v7, v2, v7, s0
	v_cmp_o_f32_e32 vcc, v2, v2
	v_mov_b32_e32 v8, 0x7fc0
	v_cndmask_b32_sdwa v7, v8, v7, vcc dst_sel:DWORD dst_unused:UNUSED_PAD src0_sel:DWORD src1_sel:WORD_1
	global_store_dword v[0:1], v7, off
	s_mov_b64 s[0:1], 0
	s_mov_b64 s[10:11], -1
.LBB47_1666:
	s_and_b64 vcc, exec, s[12:13]
	s_cbranch_vccz .LBB47_1671
; %bb.1667:
	s_cmp_eq_u32 s19, 44
	s_mov_b64 s[0:1], -1
	s_cbranch_scc0 .LBB47_1671
; %bb.1668:
	v_bfe_u32 v7, v2, 23, 8
	s_movk_i32 s0, 0xff
	v_cmp_ne_u32_e32 vcc, s0, v7
	v_mov_b32_e32 v8, 0xff
	s_and_saveexec_b64 s[10:11], vcc
; %bb.1669:
	s_mov_b32 s0, 0x3fffff
	v_and_b32_e32 v9, 0x400000, v2
	v_and_or_b32 v7, v2, s0, v7
	v_cmp_ne_u32_e32 vcc, 0, v9
	v_cmp_ne_u32_e64 s[0:1], 0, v7
	s_and_b64 s[0:1], vcc, s[0:1]
	v_lshrrev_b32_e32 v8, 23, v2
	v_cndmask_b32_e64 v7, 0, 1, s[0:1]
	v_add_u32_e32 v8, v8, v7
; %bb.1670:
	s_or_b64 exec, exec, s[10:11]
	s_mov_b64 s[0:1], 0
	s_mov_b64 s[10:11], -1
	global_store_byte v[0:1], v8, off
.LBB47_1671:
	s_mov_b64 s[12:13], 0
.LBB47_1672:
	s_and_b64 vcc, exec, s[12:13]
	s_cbranch_vccz .LBB47_1675
; %bb.1673:
	s_cmp_eq_u32 s19, 29
	s_mov_b64 s[0:1], -1
	s_cbranch_scc0 .LBB47_1675
; %bb.1674:
	v_trunc_f32_e32 v7, v2
	v_mul_f32_e32 v8, 0x2f800000, v7
	v_floor_f32_e32 v9, v8
	v_fmac_f32_e32 v7, 0xcf800000, v9
	v_cvt_u32_f32_e32 v8, v9
	v_cvt_u32_f32_e32 v7, v7
	s_mov_b64 s[0:1], 0
	s_mov_b64 s[10:11], -1
	global_store_dwordx2 v[0:1], v[7:8], off
.LBB47_1675:
	s_mov_b64 s[12:13], 0
.LBB47_1676:
	s_and_b64 vcc, exec, s[12:13]
	s_cbranch_vccz .LBB47_1692
; %bb.1677:
	s_cmp_lt_i32 s19, 27
	s_mov_b64 s[10:11], -1
	s_cbranch_scc1 .LBB47_1683
; %bb.1678:
	v_cvt_u32_f32_e32 v7, v2
	s_cmp_gt_i32 s19, 27
	s_cbranch_scc0 .LBB47_1680
; %bb.1679:
	s_mov_b64 s[10:11], 0
	global_store_dword v[0:1], v7, off
.LBB47_1680:
	s_andn2_b64 vcc, exec, s[10:11]
	s_cbranch_vccnz .LBB47_1682
; %bb.1681:
	global_store_short v[0:1], v7, off
.LBB47_1682:
	s_mov_b64 s[10:11], 0
.LBB47_1683:
	s_andn2_b64 vcc, exec, s[10:11]
	s_cbranch_vccnz .LBB47_1691
; %bb.1684:
	v_and_b32_e32 v7, 0x7fffffff, v3
	s_mov_b32 s10, 0x43800000
	v_cmp_gt_u32_e32 vcc, s10, v7
	v_mov_b32_e32 v8, 0x80
	s_and_saveexec_b64 s[10:11], vcc
	s_cbranch_execz .LBB47_1690
; %bb.1685:
	s_mov_b32 s12, 0x3bffffff
	v_cmp_lt_u32_e32 vcc, s12, v7
	s_mov_b64 s[12:13], 0
                                        ; implicit-def: $vgpr7
	s_and_saveexec_b64 s[16:17], vcc
	s_xor_b64 s[16:17], exec, s[16:17]
	s_cbranch_execz .LBB47_2025
; %bb.1686:
	v_bfe_u32 v7, v2, 20, 1
	s_mov_b32 s21, 0x487ffff
	v_add3_u32 v7, v2, v7, s21
	s_mov_b64 s[12:13], exec
	v_lshrrev_b32_e32 v7, 20, v7
	s_andn2_saveexec_b64 s[16:17], s[16:17]
	s_cbranch_execnz .LBB47_2026
.LBB47_1687:
	s_or_b64 exec, exec, s[16:17]
	v_mov_b32_e32 v8, 0
	s_and_saveexec_b64 s[16:17], s[12:13]
.LBB47_1688:
	v_lshrrev_b32_e32 v8, 24, v2
	s_movk_i32 s12, 0x80
	v_and_or_b32 v8, v8, s12, v7
.LBB47_1689:
	s_or_b64 exec, exec, s[16:17]
.LBB47_1690:
	s_or_b64 exec, exec, s[10:11]
	global_store_byte v[0:1], v8, off
.LBB47_1691:
	s_mov_b64 s[10:11], -1
.LBB47_1692:
	s_mov_b64 s[12:13], 0
.LBB47_1693:
	s_and_b64 vcc, exec, s[12:13]
	s_cbranch_vccz .LBB47_1733
; %bb.1694:
	s_cmp_gt_i32 s19, 22
	s_mov_b64 s[2:3], -1
	s_cbranch_scc0 .LBB47_1726
; %bb.1695:
	s_cmp_lt_i32 s19, 24
	s_cbranch_scc1 .LBB47_1715
; %bb.1696:
	s_cmp_gt_i32 s19, 24
	s_cbranch_scc0 .LBB47_1704
; %bb.1697:
	v_and_b32_e32 v7, 0x7fffffff, v3
	s_mov_b32 s2, 0x47800000
	v_cmp_gt_u32_e32 vcc, s2, v7
	v_mov_b32_e32 v8, 0x80
	s_and_saveexec_b64 s[2:3], vcc
	s_cbranch_execz .LBB47_1703
; %bb.1698:
	s_mov_b32 s10, 0x37ffffff
	v_cmp_lt_u32_e32 vcc, s10, v7
	s_mov_b64 s[10:11], 0
                                        ; implicit-def: $vgpr7
	s_and_saveexec_b64 s[12:13], vcc
	s_xor_b64 s[12:13], exec, s[12:13]
	s_cbranch_execz .LBB47_2028
; %bb.1699:
	v_bfe_u32 v7, v2, 21, 1
	s_mov_b32 s16, 0x88fffff
	v_add3_u32 v7, v2, v7, s16
	s_mov_b64 s[10:11], exec
	v_lshrrev_b32_e32 v7, 21, v7
	s_andn2_saveexec_b64 s[12:13], s[12:13]
	s_cbranch_execnz .LBB47_2029
.LBB47_1700:
	s_or_b64 exec, exec, s[12:13]
	v_mov_b32_e32 v8, 0
	s_and_saveexec_b64 s[12:13], s[10:11]
.LBB47_1701:
	v_lshrrev_b32_e32 v8, 24, v2
	s_movk_i32 s10, 0x80
	v_and_or_b32 v8, v8, s10, v7
.LBB47_1702:
	s_or_b64 exec, exec, s[12:13]
.LBB47_1703:
	s_or_b64 exec, exec, s[2:3]
	s_mov_b64 s[2:3], 0
	global_store_byte v[0:1], v8, off
.LBB47_1704:
	s_and_b64 vcc, exec, s[2:3]
	s_cbranch_vccz .LBB47_1714
; %bb.1705:
	v_and_b32_e32 v8, 0x7fffffff, v3
	s_mov_b32 s2, 0x43f00000
	v_cmp_gt_u32_e32 vcc, s2, v8
                                        ; implicit-def: $vgpr7
	s_and_saveexec_b64 s[2:3], vcc
	s_xor_b64 s[2:3], exec, s[2:3]
	s_cbranch_execz .LBB47_1711
; %bb.1706:
	s_mov_b32 s10, 0x3c7fffff
	v_cmp_lt_u32_e32 vcc, s10, v8
                                        ; implicit-def: $vgpr7
	s_and_saveexec_b64 s[10:11], vcc
	s_xor_b64 s[10:11], exec, s[10:11]
; %bb.1707:
	v_bfe_u32 v7, v2, 20, 1
	s_mov_b32 s12, 0x407ffff
	v_add3_u32 v7, v2, v7, s12
	v_lshrrev_b32_e32 v8, 20, v7
	v_and_b32_e32 v7, 0xff00000, v7
	s_mov_b32 s12, 0x7f00000
	v_mov_b32_e32 v9, 0x7e
	v_cmp_ne_u32_e32 vcc, s12, v7
	v_cndmask_b32_e32 v7, v9, v8, vcc
; %bb.1708:
	s_andn2_saveexec_b64 s[10:11], s[10:11]
; %bb.1709:
	s_mov_b32 s12, 0x46800000
	v_add_f32_e64 v7, |v3|, s12
; %bb.1710:
	s_or_b64 exec, exec, s[10:11]
                                        ; implicit-def: $vgpr8
.LBB47_1711:
	s_andn2_saveexec_b64 s[2:3], s[2:3]
; %bb.1712:
	s_mov_b32 s10, 0x7f800000
	v_mov_b32_e32 v7, 0x7e
	v_mov_b32_e32 v9, 0x7f
	v_cmp_lt_u32_e32 vcc, s10, v8
	v_cndmask_b32_e32 v7, v7, v9, vcc
; %bb.1713:
	s_or_b64 exec, exec, s[2:3]
	v_lshrrev_b32_e32 v8, 24, v2
	s_movk_i32 s2, 0x80
	v_and_or_b32 v7, v8, s2, v7
	global_store_byte v[0:1], v7, off
.LBB47_1714:
	s_mov_b64 s[2:3], 0
.LBB47_1715:
	s_andn2_b64 vcc, exec, s[2:3]
	s_cbranch_vccnz .LBB47_1725
; %bb.1716:
	v_and_b32_e32 v8, 0x7fffffff, v3
	s_mov_b32 s2, 0x47800000
	v_cmp_gt_u32_e32 vcc, s2, v8
                                        ; implicit-def: $vgpr7
	s_and_saveexec_b64 s[2:3], vcc
	s_xor_b64 s[2:3], exec, s[2:3]
	s_cbranch_execz .LBB47_1722
; %bb.1717:
	s_mov_b32 s10, 0x387fffff
	v_cmp_lt_u32_e32 vcc, s10, v8
                                        ; implicit-def: $vgpr7
	s_and_saveexec_b64 s[10:11], vcc
	s_xor_b64 s[10:11], exec, s[10:11]
; %bb.1718:
	v_bfe_u32 v3, v2, 21, 1
	s_mov_b32 s12, 0x80fffff
	v_add3_u32 v3, v2, v3, s12
	v_lshrrev_b32_e32 v7, 21, v3
                                        ; implicit-def: $vgpr3
; %bb.1719:
	s_andn2_saveexec_b64 s[10:11], s[10:11]
; %bb.1720:
	s_mov_b32 s12, 0x43000000
	v_add_f32_e64 v7, |v3|, s12
; %bb.1721:
	s_or_b64 exec, exec, s[10:11]
                                        ; implicit-def: $vgpr8
.LBB47_1722:
	s_andn2_saveexec_b64 s[2:3], s[2:3]
; %bb.1723:
	s_mov_b32 s10, 0x7f800000
	v_mov_b32_e32 v3, 0x7c
	v_mov_b32_e32 v7, 0x7f
	v_cmp_lt_u32_e32 vcc, s10, v8
	v_cndmask_b32_e32 v7, v3, v7, vcc
; %bb.1724:
	s_or_b64 exec, exec, s[2:3]
	v_lshrrev_b32_e32 v3, 24, v2
	s_movk_i32 s2, 0x80
	v_and_or_b32 v3, v3, s2, v7
	global_store_byte v[0:1], v3, off
.LBB47_1725:
	s_mov_b64 s[2:3], 0
	s_mov_b64 s[10:11], -1
.LBB47_1726:
	s_andn2_b64 vcc, exec, s[2:3]
	s_mov_b64 s[2:3], 0
	s_cbranch_vccnz .LBB47_1733
; %bb.1727:
	s_cmp_gt_i32 s19, 14
	s_mov_b64 s[12:13], -1
	s_cbranch_scc0 .LBB47_1731
; %bb.1728:
	s_cmp_eq_u32 s19, 15
	s_mov_b64 s[0:1], -1
	s_cbranch_scc0 .LBB47_1730
; %bb.1729:
	v_bfe_u32 v3, v2, 16, 1
	s_movk_i32 s0, 0x7fff
	v_add3_u32 v3, v2, v3, s0
	v_cmp_o_f32_e32 vcc, v2, v2
	v_mov_b32_e32 v7, 0x7fc0
	v_cndmask_b32_sdwa v3, v7, v3, vcc dst_sel:DWORD dst_unused:UNUSED_PAD src0_sel:DWORD src1_sel:WORD_1
	global_store_short v[0:1], v3, off
	s_mov_b64 s[0:1], 0
	s_mov_b64 s[10:11], -1
.LBB47_1730:
	s_mov_b64 s[12:13], 0
.LBB47_1731:
	s_and_b64 vcc, exec, s[12:13]
	s_cbranch_vccz .LBB47_1733
; %bb.1732:
	s_cmp_lg_u32 s19, 11
	s_mov_b64 s[2:3], -1
	s_cselect_b64 s[0:1], -1, 0
.LBB47_1733:
	s_and_b64 vcc, exec, s[0:1]
	s_cbranch_vccnz .LBB47_2027
; %bb.1734:
	s_andn2_b64 vcc, exec, s[2:3]
	s_cbranch_vccnz .LBB47_1736
.LBB47_1735:
	v_cmp_neq_f32_e32 vcc, 0, v2
	v_cndmask_b32_e64 v3, 0, 1, vcc
	s_mov_b64 s[10:11], -1
	global_store_byte v[0:1], v3, off
.LBB47_1736:
	s_mov_b64 s[0:1], 0
	s_branch .LBB47_1738
.LBB47_1737:
	s_mov_b64 s[0:1], -1
	s_mov_b64 s[10:11], 0
.LBB47_1738:
	s_and_b64 vcc, exec, s[0:1]
	s_cbranch_vccz .LBB47_1777
; %bb.1739:
	s_and_b32 s2, 0xffff, s20
	s_cmp_lt_i32 s2, 5
	s_mov_b64 s[0:1], -1
	s_cbranch_scc1 .LBB47_1760
; %bb.1740:
	s_cmp_lt_i32 s2, 8
	s_cbranch_scc1 .LBB47_1750
; %bb.1741:
	s_cmp_lt_i32 s2, 9
	s_cbranch_scc1 .LBB47_1747
; %bb.1742:
	s_cmp_gt_i32 s2, 9
	s_cbranch_scc0 .LBB47_1744
; %bb.1743:
	v_cvt_f64_f32_e32 v[7:8], v2
	v_mov_b32_e32 v9, 0
	v_mov_b32_e32 v10, v9
	s_mov_b64 s[0:1], 0
	global_store_dwordx4 v[0:1], v[7:10], off
.LBB47_1744:
	s_andn2_b64 vcc, exec, s[0:1]
	s_cbranch_vccnz .LBB47_1746
; %bb.1745:
	v_mov_b32_e32 v3, 0
	global_store_dwordx2 v[0:1], v[2:3], off
.LBB47_1746:
	s_mov_b64 s[0:1], 0
.LBB47_1747:
	s_andn2_b64 vcc, exec, s[0:1]
	s_cbranch_vccnz .LBB47_1749
; %bb.1748:
	v_cvt_f16_f32_e32 v3, v2
	global_store_dword v[0:1], v3, off
.LBB47_1749:
	s_mov_b64 s[0:1], 0
.LBB47_1750:
	s_andn2_b64 vcc, exec, s[0:1]
	s_cbranch_vccnz .LBB47_1759
; %bb.1751:
	s_cmp_lt_i32 s2, 6
	s_mov_b64 s[0:1], -1
	s_cbranch_scc1 .LBB47_1757
; %bb.1752:
	s_cmp_gt_i32 s2, 6
	s_cbranch_scc0 .LBB47_1754
; %bb.1753:
	v_cvt_f64_f32_e32 v[7:8], v2
	s_mov_b64 s[0:1], 0
	global_store_dwordx2 v[0:1], v[7:8], off
.LBB47_1754:
	s_andn2_b64 vcc, exec, s[0:1]
	s_cbranch_vccnz .LBB47_1756
; %bb.1755:
	global_store_dword v[0:1], v2, off
.LBB47_1756:
	s_mov_b64 s[0:1], 0
.LBB47_1757:
	s_andn2_b64 vcc, exec, s[0:1]
	s_cbranch_vccnz .LBB47_1759
; %bb.1758:
	v_cvt_f16_f32_e32 v3, v2
	global_store_short v[0:1], v3, off
.LBB47_1759:
	s_mov_b64 s[0:1], 0
.LBB47_1760:
	s_andn2_b64 vcc, exec, s[0:1]
	s_cbranch_vccnz .LBB47_1776
; %bb.1761:
	s_cmp_lt_i32 s2, 2
	s_mov_b64 s[0:1], -1
	s_cbranch_scc1 .LBB47_1771
; %bb.1762:
	s_cmp_lt_i32 s2, 3
	s_cbranch_scc1 .LBB47_1768
; %bb.1763:
	s_cmp_gt_i32 s2, 3
	s_cbranch_scc0 .LBB47_1765
; %bb.1764:
	v_trunc_f32_e32 v3, v2
	s_mov_b32 s0, 0x2f800000
	v_mul_f32_e64 v7, |v3|, s0
	v_floor_f32_e32 v7, v7
	s_mov_b32 s0, 0xcf800000
	v_cvt_u32_f32_e32 v8, v7
	v_fma_f32 v7, v7, s0, |v3|
	v_cvt_u32_f32_e32 v7, v7
	v_ashrrev_i32_e32 v3, 31, v3
	v_xor_b32_e32 v8, v8, v3
	s_mov_b64 s[0:1], 0
	v_xor_b32_e32 v7, v7, v3
	v_sub_co_u32_e32 v7, vcc, v7, v3
	v_subb_co_u32_e32 v8, vcc, v8, v3, vcc
	global_store_dwordx2 v[0:1], v[7:8], off
.LBB47_1765:
	s_andn2_b64 vcc, exec, s[0:1]
	s_cbranch_vccnz .LBB47_1767
; %bb.1766:
	v_cvt_i32_f32_e32 v3, v2
	global_store_dword v[0:1], v3, off
.LBB47_1767:
	s_mov_b64 s[0:1], 0
.LBB47_1768:
	s_andn2_b64 vcc, exec, s[0:1]
	s_cbranch_vccnz .LBB47_1770
; %bb.1769:
	v_cvt_i32_f32_e32 v3, v2
	global_store_short v[0:1], v3, off
.LBB47_1770:
	s_mov_b64 s[0:1], 0
.LBB47_1771:
	s_andn2_b64 vcc, exec, s[0:1]
	s_cbranch_vccnz .LBB47_1776
; %bb.1772:
	s_cmp_gt_i32 s2, 0
	s_mov_b64 s[0:1], -1
	s_cbranch_scc0 .LBB47_1774
; %bb.1773:
	v_cvt_i32_f32_e32 v3, v2
	s_mov_b64 s[0:1], 0
	global_store_byte v[0:1], v3, off
.LBB47_1774:
	s_andn2_b64 vcc, exec, s[0:1]
	s_cbranch_vccnz .LBB47_1776
; %bb.1775:
	v_trunc_f32_e32 v2, v2
	s_mov_b32 s0, 0x2f800000
	v_mul_f32_e64 v3, |v2|, s0
	v_floor_f32_e32 v3, v3
	s_mov_b32 s0, 0xcf800000
	v_fma_f32 v3, v3, s0, |v2|
	v_cvt_u32_f32_e32 v3, v3
	v_ashrrev_i32_e32 v2, 31, v2
	v_xor_b32_e32 v3, v3, v2
	v_sub_u32_e32 v2, v3, v2
	global_store_byte v[0:1], v2, off
.LBB47_1776:
	s_mov_b64 s[10:11], -1
.LBB47_1777:
	s_andn2_b64 vcc, exec, s[10:11]
	s_cbranch_vccnz .LBB47_1973
; %bb.1778:
	v_fma_f32 v0, |v6|, -0.5, 0.5
	v_mul_f32_e32 v1, v6, v6
	v_cmp_ge_f32_e64 vcc, |v6|, 0.5
	v_cndmask_b32_e32 v0, v1, v0, vcc
	v_mov_b32_e32 v1, 0x3c5fc5da
	v_fmac_f32_e32 v1, 0x3d1c21a7, v0
	v_mov_b32_e32 v2, 0x3d034c3c
	v_fmac_f32_e32 v2, v0, v1
	;; [unrolled: 2-line block ×4, first 2 shown]
	v_sqrt_f32_e32 v1, v0
	v_mov_b32_e32 v3, 0x3e2aaaac
	v_fmac_f32_e32 v3, v0, v2
	v_mul_f32_e32 v0, v0, v3
	v_fmac_f32_e32 v1, v1, v0
	v_add_f32_e32 v1, v1, v1
	v_sub_f32_e32 v1, 0x3fc90fdb, v1
	v_fma_f32 v0, |v6|, v0, |v6|
	v_cmp_lt_f32_e64 vcc, |v6|, 0.5
	v_cndmask_b32_e32 v3, v1, v0, vcc
	s_brev_b32 s0, -2
	v_add_u32_e32 v4, s18, v4
	v_bfi_b32 v2, s0, v3, v6
	v_ashrrev_i32_e32 v1, 31, v4
	v_mov_b32_e32 v6, s9
	v_add_co_u32_e32 v0, vcc, s8, v4
	s_cmp_lt_i32 s20, 11
	v_addc_co_u32_e32 v1, vcc, v6, v1, vcc
	s_cbranch_scc1 .LBB47_1856
; %bb.1779:
	s_and_b32 s19, 0xffff, s20
	s_mov_b64 s[12:13], -1
	s_mov_b64 s[2:3], 0
	s_cmp_gt_i32 s19, 25
	s_mov_b64 s[10:11], 0
	s_mov_b64 s[0:1], 0
	s_cbranch_scc0 .LBB47_1812
; %bb.1780:
	s_cmp_gt_i32 s19, 28
	s_cbranch_scc0 .LBB47_1795
; %bb.1781:
	s_cmp_gt_i32 s19, 43
	s_cbranch_scc0 .LBB47_1791
; %bb.1782:
	s_cmp_gt_i32 s19, 45
	s_cbranch_scc0 .LBB47_1785
; %bb.1783:
	s_mov_b64 s[0:1], -1
	s_mov_b64 s[12:13], 0
	s_cmp_eq_u32 s19, 46
	s_cbranch_scc0 .LBB47_1785
; %bb.1784:
	v_bfe_u32 v6, v2, 16, 1
	s_movk_i32 s0, 0x7fff
	v_add3_u32 v6, v2, v6, s0
	v_cmp_o_f32_e32 vcc, v2, v2
	v_mov_b32_e32 v7, 0x7fc0
	v_cndmask_b32_sdwa v6, v7, v6, vcc dst_sel:DWORD dst_unused:UNUSED_PAD src0_sel:DWORD src1_sel:WORD_1
	global_store_dword v[0:1], v6, off
	s_mov_b64 s[0:1], 0
	s_mov_b64 s[10:11], -1
.LBB47_1785:
	s_and_b64 vcc, exec, s[12:13]
	s_cbranch_vccz .LBB47_1790
; %bb.1786:
	s_cmp_eq_u32 s19, 44
	s_mov_b64 s[0:1], -1
	s_cbranch_scc0 .LBB47_1790
; %bb.1787:
	v_bfe_u32 v6, v2, 23, 8
	s_movk_i32 s0, 0xff
	v_cmp_ne_u32_e32 vcc, s0, v6
	v_mov_b32_e32 v7, 0xff
	s_and_saveexec_b64 s[10:11], vcc
; %bb.1788:
	s_mov_b32 s0, 0x3fffff
	v_and_b32_e32 v8, 0x400000, v2
	v_and_or_b32 v6, v2, s0, v6
	v_cmp_ne_u32_e32 vcc, 0, v8
	v_cmp_ne_u32_e64 s[0:1], 0, v6
	s_and_b64 s[0:1], vcc, s[0:1]
	v_lshrrev_b32_e32 v7, 23, v2
	v_cndmask_b32_e64 v6, 0, 1, s[0:1]
	v_add_u32_e32 v7, v7, v6
; %bb.1789:
	s_or_b64 exec, exec, s[10:11]
	s_mov_b64 s[0:1], 0
	s_mov_b64 s[10:11], -1
	global_store_byte v[0:1], v7, off
.LBB47_1790:
	s_mov_b64 s[12:13], 0
.LBB47_1791:
	s_and_b64 vcc, exec, s[12:13]
	s_cbranch_vccz .LBB47_1794
; %bb.1792:
	s_cmp_eq_u32 s19, 29
	s_mov_b64 s[0:1], -1
	s_cbranch_scc0 .LBB47_1794
; %bb.1793:
	v_trunc_f32_e32 v6, v2
	v_mul_f32_e32 v7, 0x2f800000, v6
	v_floor_f32_e32 v8, v7
	v_fmac_f32_e32 v6, 0xcf800000, v8
	v_cvt_u32_f32_e32 v7, v8
	v_cvt_u32_f32_e32 v6, v6
	s_mov_b64 s[0:1], 0
	s_mov_b64 s[10:11], -1
	global_store_dwordx2 v[0:1], v[6:7], off
.LBB47_1794:
	s_mov_b64 s[12:13], 0
.LBB47_1795:
	s_and_b64 vcc, exec, s[12:13]
	s_cbranch_vccz .LBB47_1811
; %bb.1796:
	s_cmp_lt_i32 s19, 27
	s_mov_b64 s[10:11], -1
	s_cbranch_scc1 .LBB47_1802
; %bb.1797:
	v_cvt_u32_f32_e32 v6, v2
	s_cmp_gt_i32 s19, 27
	s_cbranch_scc0 .LBB47_1799
; %bb.1798:
	s_mov_b64 s[10:11], 0
	global_store_dword v[0:1], v6, off
.LBB47_1799:
	s_andn2_b64 vcc, exec, s[10:11]
	s_cbranch_vccnz .LBB47_1801
; %bb.1800:
	global_store_short v[0:1], v6, off
.LBB47_1801:
	s_mov_b64 s[10:11], 0
.LBB47_1802:
	s_andn2_b64 vcc, exec, s[10:11]
	s_cbranch_vccnz .LBB47_1810
; %bb.1803:
	v_and_b32_e32 v6, 0x7fffffff, v3
	s_mov_b32 s10, 0x43800000
	v_cmp_gt_u32_e32 vcc, s10, v6
	v_mov_b32_e32 v7, 0x80
	s_and_saveexec_b64 s[10:11], vcc
	s_cbranch_execz .LBB47_1809
; %bb.1804:
	s_mov_b32 s12, 0x3bffffff
	v_cmp_lt_u32_e32 vcc, s12, v6
	s_mov_b64 s[12:13], 0
                                        ; implicit-def: $vgpr6
	s_and_saveexec_b64 s[16:17], vcc
	s_xor_b64 s[16:17], exec, s[16:17]
	s_cbranch_execz .LBB47_2030
; %bb.1805:
	v_bfe_u32 v6, v2, 20, 1
	s_mov_b32 s21, 0x487ffff
	v_add3_u32 v6, v2, v6, s21
	s_mov_b64 s[12:13], exec
	v_lshrrev_b32_e32 v6, 20, v6
	s_andn2_saveexec_b64 s[16:17], s[16:17]
	s_cbranch_execnz .LBB47_2031
.LBB47_1806:
	s_or_b64 exec, exec, s[16:17]
	v_mov_b32_e32 v7, 0
	s_and_saveexec_b64 s[16:17], s[12:13]
.LBB47_1807:
	v_lshrrev_b32_e32 v7, 24, v2
	s_movk_i32 s12, 0x80
	v_and_or_b32 v7, v7, s12, v6
.LBB47_1808:
	s_or_b64 exec, exec, s[16:17]
.LBB47_1809:
	s_or_b64 exec, exec, s[10:11]
	global_store_byte v[0:1], v7, off
.LBB47_1810:
	s_mov_b64 s[10:11], -1
.LBB47_1811:
	s_mov_b64 s[12:13], 0
.LBB47_1812:
	s_and_b64 vcc, exec, s[12:13]
	s_cbranch_vccz .LBB47_1852
; %bb.1813:
	s_cmp_gt_i32 s19, 22
	s_mov_b64 s[2:3], -1
	s_cbranch_scc0 .LBB47_1845
; %bb.1814:
	s_cmp_lt_i32 s19, 24
	s_cbranch_scc1 .LBB47_1834
; %bb.1815:
	s_cmp_gt_i32 s19, 24
	s_cbranch_scc0 .LBB47_1823
; %bb.1816:
	v_and_b32_e32 v6, 0x7fffffff, v3
	s_mov_b32 s2, 0x47800000
	v_cmp_gt_u32_e32 vcc, s2, v6
	v_mov_b32_e32 v7, 0x80
	s_and_saveexec_b64 s[2:3], vcc
	s_cbranch_execz .LBB47_1822
; %bb.1817:
	s_mov_b32 s10, 0x37ffffff
	v_cmp_lt_u32_e32 vcc, s10, v6
	s_mov_b64 s[10:11], 0
                                        ; implicit-def: $vgpr6
	s_and_saveexec_b64 s[12:13], vcc
	s_xor_b64 s[12:13], exec, s[12:13]
	s_cbranch_execz .LBB47_2033
; %bb.1818:
	v_bfe_u32 v6, v2, 21, 1
	s_mov_b32 s16, 0x88fffff
	v_add3_u32 v6, v2, v6, s16
	s_mov_b64 s[10:11], exec
	v_lshrrev_b32_e32 v6, 21, v6
	s_andn2_saveexec_b64 s[12:13], s[12:13]
	s_cbranch_execnz .LBB47_2034
.LBB47_1819:
	s_or_b64 exec, exec, s[12:13]
	v_mov_b32_e32 v7, 0
	s_and_saveexec_b64 s[12:13], s[10:11]
.LBB47_1820:
	v_lshrrev_b32_e32 v7, 24, v2
	s_movk_i32 s10, 0x80
	v_and_or_b32 v7, v7, s10, v6
.LBB47_1821:
	s_or_b64 exec, exec, s[12:13]
.LBB47_1822:
	s_or_b64 exec, exec, s[2:3]
	s_mov_b64 s[2:3], 0
	global_store_byte v[0:1], v7, off
.LBB47_1823:
	s_and_b64 vcc, exec, s[2:3]
	s_cbranch_vccz .LBB47_1833
; %bb.1824:
	v_and_b32_e32 v7, 0x7fffffff, v3
	s_mov_b32 s2, 0x43f00000
	v_cmp_gt_u32_e32 vcc, s2, v7
                                        ; implicit-def: $vgpr6
	s_and_saveexec_b64 s[2:3], vcc
	s_xor_b64 s[2:3], exec, s[2:3]
	s_cbranch_execz .LBB47_1830
; %bb.1825:
	s_mov_b32 s10, 0x3c7fffff
	v_cmp_lt_u32_e32 vcc, s10, v7
                                        ; implicit-def: $vgpr6
	s_and_saveexec_b64 s[10:11], vcc
	s_xor_b64 s[10:11], exec, s[10:11]
; %bb.1826:
	v_bfe_u32 v6, v2, 20, 1
	s_mov_b32 s12, 0x407ffff
	v_add3_u32 v6, v2, v6, s12
	v_lshrrev_b32_e32 v7, 20, v6
	v_and_b32_e32 v6, 0xff00000, v6
	s_mov_b32 s12, 0x7f00000
	v_mov_b32_e32 v8, 0x7e
	v_cmp_ne_u32_e32 vcc, s12, v6
	v_cndmask_b32_e32 v6, v8, v7, vcc
; %bb.1827:
	s_andn2_saveexec_b64 s[10:11], s[10:11]
; %bb.1828:
	s_mov_b32 s12, 0x46800000
	v_add_f32_e64 v6, |v3|, s12
; %bb.1829:
	s_or_b64 exec, exec, s[10:11]
                                        ; implicit-def: $vgpr7
.LBB47_1830:
	s_andn2_saveexec_b64 s[2:3], s[2:3]
; %bb.1831:
	s_mov_b32 s10, 0x7f800000
	v_mov_b32_e32 v6, 0x7e
	v_mov_b32_e32 v8, 0x7f
	v_cmp_lt_u32_e32 vcc, s10, v7
	v_cndmask_b32_e32 v6, v6, v8, vcc
; %bb.1832:
	s_or_b64 exec, exec, s[2:3]
	v_lshrrev_b32_e32 v7, 24, v2
	s_movk_i32 s2, 0x80
	v_and_or_b32 v6, v7, s2, v6
	global_store_byte v[0:1], v6, off
.LBB47_1833:
	s_mov_b64 s[2:3], 0
.LBB47_1834:
	s_andn2_b64 vcc, exec, s[2:3]
	s_cbranch_vccnz .LBB47_1844
; %bb.1835:
	v_and_b32_e32 v7, 0x7fffffff, v3
	s_mov_b32 s2, 0x47800000
	v_cmp_gt_u32_e32 vcc, s2, v7
                                        ; implicit-def: $vgpr6
	s_and_saveexec_b64 s[2:3], vcc
	s_xor_b64 s[2:3], exec, s[2:3]
	s_cbranch_execz .LBB47_1841
; %bb.1836:
	s_mov_b32 s10, 0x387fffff
	v_cmp_lt_u32_e32 vcc, s10, v7
                                        ; implicit-def: $vgpr6
	s_and_saveexec_b64 s[10:11], vcc
	s_xor_b64 s[10:11], exec, s[10:11]
; %bb.1837:
	v_bfe_u32 v3, v2, 21, 1
	s_mov_b32 s12, 0x80fffff
	v_add3_u32 v3, v2, v3, s12
	v_lshrrev_b32_e32 v6, 21, v3
                                        ; implicit-def: $vgpr3
; %bb.1838:
	s_andn2_saveexec_b64 s[10:11], s[10:11]
; %bb.1839:
	s_mov_b32 s12, 0x43000000
	v_add_f32_e64 v6, |v3|, s12
; %bb.1840:
	s_or_b64 exec, exec, s[10:11]
                                        ; implicit-def: $vgpr7
.LBB47_1841:
	s_andn2_saveexec_b64 s[2:3], s[2:3]
; %bb.1842:
	s_mov_b32 s10, 0x7f800000
	v_mov_b32_e32 v3, 0x7c
	v_mov_b32_e32 v6, 0x7f
	v_cmp_lt_u32_e32 vcc, s10, v7
	v_cndmask_b32_e32 v6, v3, v6, vcc
; %bb.1843:
	s_or_b64 exec, exec, s[2:3]
	v_lshrrev_b32_e32 v3, 24, v2
	s_movk_i32 s2, 0x80
	v_and_or_b32 v3, v3, s2, v6
	global_store_byte v[0:1], v3, off
.LBB47_1844:
	s_mov_b64 s[2:3], 0
	s_mov_b64 s[10:11], -1
.LBB47_1845:
	s_andn2_b64 vcc, exec, s[2:3]
	s_mov_b64 s[2:3], 0
	s_cbranch_vccnz .LBB47_1852
; %bb.1846:
	s_cmp_gt_i32 s19, 14
	s_mov_b64 s[12:13], -1
	s_cbranch_scc0 .LBB47_1850
; %bb.1847:
	s_cmp_eq_u32 s19, 15
	s_mov_b64 s[0:1], -1
	s_cbranch_scc0 .LBB47_1849
; %bb.1848:
	v_bfe_u32 v3, v2, 16, 1
	s_movk_i32 s0, 0x7fff
	v_add3_u32 v3, v2, v3, s0
	v_cmp_o_f32_e32 vcc, v2, v2
	v_mov_b32_e32 v6, 0x7fc0
	v_cndmask_b32_sdwa v3, v6, v3, vcc dst_sel:DWORD dst_unused:UNUSED_PAD src0_sel:DWORD src1_sel:WORD_1
	global_store_short v[0:1], v3, off
	s_mov_b64 s[0:1], 0
	s_mov_b64 s[10:11], -1
.LBB47_1849:
	s_mov_b64 s[12:13], 0
.LBB47_1850:
	s_and_b64 vcc, exec, s[12:13]
	s_cbranch_vccz .LBB47_1852
; %bb.1851:
	s_cmp_lg_u32 s19, 11
	s_mov_b64 s[2:3], -1
	s_cselect_b64 s[0:1], -1, 0
.LBB47_1852:
	s_and_b64 vcc, exec, s[0:1]
	s_cbranch_vccnz .LBB47_2032
; %bb.1853:
	s_andn2_b64 vcc, exec, s[2:3]
	s_cbranch_vccnz .LBB47_1855
.LBB47_1854:
	v_cmp_neq_f32_e32 vcc, 0, v2
	v_cndmask_b32_e64 v3, 0, 1, vcc
	s_mov_b64 s[10:11], -1
	global_store_byte v[0:1], v3, off
.LBB47_1855:
	s_mov_b64 s[0:1], 0
	s_branch .LBB47_1857
.LBB47_1856:
	s_mov_b64 s[0:1], -1
	s_mov_b64 s[10:11], 0
.LBB47_1857:
	s_and_b64 vcc, exec, s[0:1]
	s_cbranch_vccz .LBB47_1896
; %bb.1858:
	s_and_b32 s2, 0xffff, s20
	s_cmp_lt_i32 s2, 5
	s_mov_b64 s[0:1], -1
	s_cbranch_scc1 .LBB47_1879
; %bb.1859:
	s_cmp_lt_i32 s2, 8
	s_cbranch_scc1 .LBB47_1869
; %bb.1860:
	s_cmp_lt_i32 s2, 9
	s_cbranch_scc1 .LBB47_1866
; %bb.1861:
	s_cmp_gt_i32 s2, 9
	s_cbranch_scc0 .LBB47_1863
; %bb.1862:
	v_cvt_f64_f32_e32 v[6:7], v2
	v_mov_b32_e32 v8, 0
	v_mov_b32_e32 v9, v8
	s_mov_b64 s[0:1], 0
	global_store_dwordx4 v[0:1], v[6:9], off
.LBB47_1863:
	s_andn2_b64 vcc, exec, s[0:1]
	s_cbranch_vccnz .LBB47_1865
; %bb.1864:
	v_mov_b32_e32 v3, 0
	global_store_dwordx2 v[0:1], v[2:3], off
.LBB47_1865:
	s_mov_b64 s[0:1], 0
.LBB47_1866:
	s_andn2_b64 vcc, exec, s[0:1]
	s_cbranch_vccnz .LBB47_1868
; %bb.1867:
	v_cvt_f16_f32_e32 v3, v2
	global_store_dword v[0:1], v3, off
.LBB47_1868:
	s_mov_b64 s[0:1], 0
.LBB47_1869:
	s_andn2_b64 vcc, exec, s[0:1]
	s_cbranch_vccnz .LBB47_1878
; %bb.1870:
	s_cmp_lt_i32 s2, 6
	s_mov_b64 s[0:1], -1
	s_cbranch_scc1 .LBB47_1876
; %bb.1871:
	s_cmp_gt_i32 s2, 6
	s_cbranch_scc0 .LBB47_1873
; %bb.1872:
	v_cvt_f64_f32_e32 v[6:7], v2
	s_mov_b64 s[0:1], 0
	global_store_dwordx2 v[0:1], v[6:7], off
.LBB47_1873:
	s_andn2_b64 vcc, exec, s[0:1]
	s_cbranch_vccnz .LBB47_1875
; %bb.1874:
	global_store_dword v[0:1], v2, off
.LBB47_1875:
	s_mov_b64 s[0:1], 0
.LBB47_1876:
	s_andn2_b64 vcc, exec, s[0:1]
	s_cbranch_vccnz .LBB47_1878
; %bb.1877:
	v_cvt_f16_f32_e32 v3, v2
	global_store_short v[0:1], v3, off
.LBB47_1878:
	s_mov_b64 s[0:1], 0
.LBB47_1879:
	s_andn2_b64 vcc, exec, s[0:1]
	s_cbranch_vccnz .LBB47_1895
; %bb.1880:
	s_cmp_lt_i32 s2, 2
	s_mov_b64 s[0:1], -1
	s_cbranch_scc1 .LBB47_1890
; %bb.1881:
	s_cmp_lt_i32 s2, 3
	s_cbranch_scc1 .LBB47_1887
; %bb.1882:
	s_cmp_gt_i32 s2, 3
	s_cbranch_scc0 .LBB47_1884
; %bb.1883:
	v_trunc_f32_e32 v3, v2
	s_mov_b32 s0, 0x2f800000
	v_mul_f32_e64 v6, |v3|, s0
	v_floor_f32_e32 v6, v6
	s_mov_b32 s0, 0xcf800000
	v_cvt_u32_f32_e32 v7, v6
	v_fma_f32 v6, v6, s0, |v3|
	v_cvt_u32_f32_e32 v6, v6
	v_ashrrev_i32_e32 v3, 31, v3
	v_xor_b32_e32 v7, v7, v3
	s_mov_b64 s[0:1], 0
	v_xor_b32_e32 v6, v6, v3
	v_sub_co_u32_e32 v6, vcc, v6, v3
	v_subb_co_u32_e32 v7, vcc, v7, v3, vcc
	global_store_dwordx2 v[0:1], v[6:7], off
.LBB47_1884:
	s_andn2_b64 vcc, exec, s[0:1]
	s_cbranch_vccnz .LBB47_1886
; %bb.1885:
	v_cvt_i32_f32_e32 v3, v2
	global_store_dword v[0:1], v3, off
.LBB47_1886:
	s_mov_b64 s[0:1], 0
.LBB47_1887:
	s_andn2_b64 vcc, exec, s[0:1]
	s_cbranch_vccnz .LBB47_1889
; %bb.1888:
	v_cvt_i32_f32_e32 v3, v2
	global_store_short v[0:1], v3, off
.LBB47_1889:
	s_mov_b64 s[0:1], 0
.LBB47_1890:
	s_andn2_b64 vcc, exec, s[0:1]
	s_cbranch_vccnz .LBB47_1895
; %bb.1891:
	s_cmp_gt_i32 s2, 0
	s_mov_b64 s[0:1], -1
	s_cbranch_scc0 .LBB47_1893
; %bb.1892:
	v_cvt_i32_f32_e32 v3, v2
	s_mov_b64 s[0:1], 0
	global_store_byte v[0:1], v3, off
.LBB47_1893:
	s_andn2_b64 vcc, exec, s[0:1]
	s_cbranch_vccnz .LBB47_1895
; %bb.1894:
	v_trunc_f32_e32 v2, v2
	s_mov_b32 s0, 0x2f800000
	v_mul_f32_e64 v3, |v2|, s0
	v_floor_f32_e32 v3, v3
	s_mov_b32 s0, 0xcf800000
	v_fma_f32 v3, v3, s0, |v2|
	v_cvt_u32_f32_e32 v3, v3
	v_ashrrev_i32_e32 v2, 31, v2
	v_xor_b32_e32 v3, v3, v2
	v_sub_u32_e32 v2, v3, v2
	global_store_byte v[0:1], v2, off
.LBB47_1895:
	s_mov_b64 s[10:11], -1
.LBB47_1896:
	s_andn2_b64 vcc, exec, s[10:11]
	s_cbranch_vccnz .LBB47_1973
; %bb.1897:
	v_fma_f32 v0, |v5|, -0.5, 0.5
	v_mul_f32_e32 v1, v5, v5
	v_cmp_ge_f32_e64 vcc, |v5|, 0.5
	v_cndmask_b32_e32 v0, v1, v0, vcc
	v_mov_b32_e32 v1, 0x3c5fc5da
	v_fmac_f32_e32 v1, 0x3d1c21a7, v0
	v_mov_b32_e32 v2, 0x3d034c3c
	v_fmac_f32_e32 v2, v0, v1
	;; [unrolled: 2-line block ×4, first 2 shown]
	v_sqrt_f32_e32 v1, v0
	v_mov_b32_e32 v3, 0x3e2aaaac
	v_fmac_f32_e32 v3, v0, v2
	v_mul_f32_e32 v0, v0, v3
	v_fmac_f32_e32 v1, v1, v0
	v_add_f32_e32 v1, v1, v1
	v_sub_f32_e32 v1, 0x3fc90fdb, v1
	v_fma_f32 v0, |v5|, v0, |v5|
	v_cmp_lt_f32_e64 vcc, |v5|, 0.5
	v_cndmask_b32_e32 v3, v1, v0, vcc
	v_add_u32_e32 v0, s18, v4
	s_brev_b32 s0, -2
	v_ashrrev_i32_e32 v1, 31, v0
	v_mov_b32_e32 v4, s9
	v_add_co_u32_e32 v0, vcc, s8, v0
	v_bfi_b32 v2, s0, v3, v5
	s_cmp_lt_i32 s20, 11
	v_addc_co_u32_e32 v1, vcc, v4, v1, vcc
	s_cbranch_scc1 .LBB47_2018
; %bb.1898:
	s_and_b32 s16, 0xffff, s20
	s_mov_b64 s[8:9], -1
	s_mov_b64 s[2:3], 0
	s_cmp_gt_i32 s16, 25
	s_mov_b64 s[0:1], 0
	s_cbranch_scc0 .LBB47_1931
; %bb.1899:
	s_cmp_gt_i32 s16, 28
	s_cbranch_scc0 .LBB47_1915
; %bb.1900:
	s_cmp_gt_i32 s16, 43
	;; [unrolled: 3-line block ×3, first 2 shown]
	s_cbranch_scc0 .LBB47_1905
; %bb.1902:
	s_cmp_eq_u32 s16, 46
	s_mov_b64 s[0:1], -1
	s_cbranch_scc0 .LBB47_1904
; %bb.1903:
	v_bfe_u32 v4, v2, 16, 1
	s_movk_i32 s0, 0x7fff
	v_add3_u32 v4, v2, v4, s0
	v_cmp_o_f32_e32 vcc, v2, v2
	v_mov_b32_e32 v5, 0x7fc0
	v_cndmask_b32_sdwa v4, v5, v4, vcc dst_sel:DWORD dst_unused:UNUSED_PAD src0_sel:DWORD src1_sel:WORD_1
	global_store_dword v[0:1], v4, off
	s_mov_b64 s[0:1], 0
.LBB47_1904:
	s_mov_b64 s[8:9], 0
.LBB47_1905:
	s_and_b64 vcc, exec, s[8:9]
	s_cbranch_vccz .LBB47_1910
; %bb.1906:
	s_cmp_eq_u32 s16, 44
	s_mov_b64 s[0:1], -1
	s_cbranch_scc0 .LBB47_1910
; %bb.1907:
	v_bfe_u32 v4, v2, 23, 8
	s_movk_i32 s0, 0xff
	v_cmp_ne_u32_e32 vcc, s0, v4
	v_mov_b32_e32 v5, 0xff
	s_and_saveexec_b64 s[8:9], vcc
; %bb.1908:
	s_mov_b32 s0, 0x3fffff
	v_and_b32_e32 v6, 0x400000, v2
	v_and_or_b32 v4, v2, s0, v4
	v_cmp_ne_u32_e32 vcc, 0, v6
	v_cmp_ne_u32_e64 s[0:1], 0, v4
	s_and_b64 s[0:1], vcc, s[0:1]
	v_lshrrev_b32_e32 v5, 23, v2
	v_cndmask_b32_e64 v4, 0, 1, s[0:1]
	v_add_u32_e32 v5, v5, v4
; %bb.1909:
	s_or_b64 exec, exec, s[8:9]
	s_mov_b64 s[0:1], 0
	global_store_byte v[0:1], v5, off
.LBB47_1910:
	s_mov_b64 s[8:9], 0
.LBB47_1911:
	s_and_b64 vcc, exec, s[8:9]
	s_cbranch_vccz .LBB47_1914
; %bb.1912:
	s_cmp_eq_u32 s16, 29
	s_mov_b64 s[0:1], -1
	s_cbranch_scc0 .LBB47_1914
; %bb.1913:
	v_trunc_f32_e32 v4, v2
	v_mul_f32_e32 v5, 0x2f800000, v4
	v_floor_f32_e32 v6, v5
	v_fmac_f32_e32 v4, 0xcf800000, v6
	v_cvt_u32_f32_e32 v5, v6
	v_cvt_u32_f32_e32 v4, v4
	s_mov_b64 s[0:1], 0
	global_store_dwordx2 v[0:1], v[4:5], off
.LBB47_1914:
	s_mov_b64 s[8:9], 0
.LBB47_1915:
	s_and_b64 vcc, exec, s[8:9]
	s_cbranch_vccz .LBB47_1930
; %bb.1916:
	s_cmp_lt_i32 s16, 27
	s_mov_b64 s[8:9], -1
	s_cbranch_scc1 .LBB47_1922
; %bb.1917:
	v_cvt_u32_f32_e32 v4, v2
	s_cmp_gt_i32 s16, 27
	s_cbranch_scc0 .LBB47_1919
; %bb.1918:
	global_store_dword v[0:1], v4, off
	s_mov_b64 s[8:9], 0
.LBB47_1919:
	s_andn2_b64 vcc, exec, s[8:9]
	s_cbranch_vccnz .LBB47_1921
; %bb.1920:
	global_store_short v[0:1], v4, off
.LBB47_1921:
	s_mov_b64 s[8:9], 0
.LBB47_1922:
	s_andn2_b64 vcc, exec, s[8:9]
	s_cbranch_vccnz .LBB47_1930
; %bb.1923:
	v_and_b32_e32 v4, 0x7fffffff, v3
	s_mov_b32 s8, 0x43800000
	v_cmp_gt_u32_e32 vcc, s8, v4
	v_mov_b32_e32 v5, 0x80
	s_and_saveexec_b64 s[8:9], vcc
	s_cbranch_execz .LBB47_1929
; %bb.1924:
	s_mov_b32 s10, 0x3bffffff
	v_cmp_lt_u32_e32 vcc, s10, v4
	s_mov_b64 s[10:11], 0
                                        ; implicit-def: $vgpr4
	s_and_saveexec_b64 s[12:13], vcc
	s_xor_b64 s[12:13], exec, s[12:13]
	s_cbranch_execz .LBB47_2035
; %bb.1925:
	v_bfe_u32 v4, v2, 20, 1
	s_mov_b32 s17, 0x487ffff
	v_add3_u32 v4, v2, v4, s17
	s_mov_b64 s[10:11], exec
	v_lshrrev_b32_e32 v4, 20, v4
	s_andn2_saveexec_b64 s[12:13], s[12:13]
	s_cbranch_execnz .LBB47_2036
.LBB47_1926:
	s_or_b64 exec, exec, s[12:13]
	v_mov_b32_e32 v5, 0
	s_and_saveexec_b64 s[12:13], s[10:11]
.LBB47_1927:
	v_lshrrev_b32_e32 v5, 24, v2
	s_movk_i32 s10, 0x80
	v_and_or_b32 v5, v5, s10, v4
.LBB47_1928:
	s_or_b64 exec, exec, s[12:13]
.LBB47_1929:
	s_or_b64 exec, exec, s[8:9]
	global_store_byte v[0:1], v5, off
.LBB47_1930:
	s_mov_b64 s[8:9], 0
.LBB47_1931:
	s_and_b64 vcc, exec, s[8:9]
	s_cbranch_vccz .LBB47_1971
; %bb.1932:
	s_cmp_gt_i32 s16, 22
	s_mov_b64 s[2:3], -1
	s_cbranch_scc0 .LBB47_1964
; %bb.1933:
	s_cmp_lt_i32 s16, 24
	s_cbranch_scc1 .LBB47_1953
; %bb.1934:
	s_cmp_gt_i32 s16, 24
	s_cbranch_scc0 .LBB47_1942
; %bb.1935:
	v_and_b32_e32 v4, 0x7fffffff, v3
	s_mov_b32 s2, 0x47800000
	v_cmp_gt_u32_e32 vcc, s2, v4
	v_mov_b32_e32 v5, 0x80
	s_and_saveexec_b64 s[2:3], vcc
	s_cbranch_execz .LBB47_1941
; %bb.1936:
	s_mov_b32 s8, 0x37ffffff
	v_cmp_lt_u32_e32 vcc, s8, v4
	s_mov_b64 s[8:9], 0
                                        ; implicit-def: $vgpr4
	s_and_saveexec_b64 s[10:11], vcc
	s_xor_b64 s[10:11], exec, s[10:11]
	s_cbranch_execz .LBB47_2038
; %bb.1937:
	v_bfe_u32 v4, v2, 21, 1
	s_mov_b32 s12, 0x88fffff
	v_add3_u32 v4, v2, v4, s12
	s_mov_b64 s[8:9], exec
	v_lshrrev_b32_e32 v4, 21, v4
	s_andn2_saveexec_b64 s[10:11], s[10:11]
	s_cbranch_execnz .LBB47_2039
.LBB47_1938:
	s_or_b64 exec, exec, s[10:11]
	v_mov_b32_e32 v5, 0
	s_and_saveexec_b64 s[10:11], s[8:9]
.LBB47_1939:
	v_lshrrev_b32_e32 v5, 24, v2
	s_movk_i32 s8, 0x80
	v_and_or_b32 v5, v5, s8, v4
.LBB47_1940:
	s_or_b64 exec, exec, s[10:11]
.LBB47_1941:
	s_or_b64 exec, exec, s[2:3]
	s_mov_b64 s[2:3], 0
	global_store_byte v[0:1], v5, off
.LBB47_1942:
	s_and_b64 vcc, exec, s[2:3]
	s_cbranch_vccz .LBB47_1952
; %bb.1943:
	v_and_b32_e32 v5, 0x7fffffff, v3
	s_mov_b32 s2, 0x43f00000
	v_cmp_gt_u32_e32 vcc, s2, v5
                                        ; implicit-def: $vgpr4
	s_and_saveexec_b64 s[2:3], vcc
	s_xor_b64 s[2:3], exec, s[2:3]
	s_cbranch_execz .LBB47_1949
; %bb.1944:
	s_mov_b32 s8, 0x3c7fffff
	v_cmp_lt_u32_e32 vcc, s8, v5
                                        ; implicit-def: $vgpr4
	s_and_saveexec_b64 s[8:9], vcc
	s_xor_b64 s[8:9], exec, s[8:9]
; %bb.1945:
	v_bfe_u32 v4, v2, 20, 1
	s_mov_b32 s10, 0x407ffff
	v_add3_u32 v4, v2, v4, s10
	v_lshrrev_b32_e32 v5, 20, v4
	v_and_b32_e32 v4, 0xff00000, v4
	s_mov_b32 s10, 0x7f00000
	v_mov_b32_e32 v6, 0x7e
	v_cmp_ne_u32_e32 vcc, s10, v4
	v_cndmask_b32_e32 v4, v6, v5, vcc
; %bb.1946:
	s_andn2_saveexec_b64 s[8:9], s[8:9]
; %bb.1947:
	s_mov_b32 s10, 0x46800000
	v_add_f32_e64 v4, |v3|, s10
; %bb.1948:
	s_or_b64 exec, exec, s[8:9]
                                        ; implicit-def: $vgpr5
.LBB47_1949:
	s_andn2_saveexec_b64 s[2:3], s[2:3]
; %bb.1950:
	s_mov_b32 s8, 0x7f800000
	v_mov_b32_e32 v4, 0x7e
	v_mov_b32_e32 v6, 0x7f
	v_cmp_lt_u32_e32 vcc, s8, v5
	v_cndmask_b32_e32 v4, v4, v6, vcc
; %bb.1951:
	s_or_b64 exec, exec, s[2:3]
	v_lshrrev_b32_e32 v5, 24, v2
	s_movk_i32 s2, 0x80
	v_and_or_b32 v4, v5, s2, v4
	global_store_byte v[0:1], v4, off
.LBB47_1952:
	s_mov_b64 s[2:3], 0
.LBB47_1953:
	s_andn2_b64 vcc, exec, s[2:3]
	s_cbranch_vccnz .LBB47_1963
; %bb.1954:
	v_and_b32_e32 v5, 0x7fffffff, v3
	s_mov_b32 s2, 0x47800000
	v_cmp_gt_u32_e32 vcc, s2, v5
                                        ; implicit-def: $vgpr4
	s_and_saveexec_b64 s[2:3], vcc
	s_xor_b64 s[2:3], exec, s[2:3]
	s_cbranch_execz .LBB47_1960
; %bb.1955:
	s_mov_b32 s8, 0x387fffff
	v_cmp_lt_u32_e32 vcc, s8, v5
                                        ; implicit-def: $vgpr4
	s_and_saveexec_b64 s[8:9], vcc
	s_xor_b64 s[8:9], exec, s[8:9]
; %bb.1956:
	v_bfe_u32 v3, v2, 21, 1
	s_mov_b32 s10, 0x80fffff
	v_add3_u32 v3, v2, v3, s10
	v_lshrrev_b32_e32 v4, 21, v3
                                        ; implicit-def: $vgpr3
; %bb.1957:
	s_andn2_saveexec_b64 s[8:9], s[8:9]
; %bb.1958:
	s_mov_b32 s10, 0x43000000
	v_add_f32_e64 v4, |v3|, s10
; %bb.1959:
	s_or_b64 exec, exec, s[8:9]
                                        ; implicit-def: $vgpr5
.LBB47_1960:
	s_andn2_saveexec_b64 s[2:3], s[2:3]
; %bb.1961:
	s_mov_b32 s8, 0x7f800000
	v_mov_b32_e32 v3, 0x7c
	v_mov_b32_e32 v4, 0x7f
	v_cmp_lt_u32_e32 vcc, s8, v5
	v_cndmask_b32_e32 v4, v3, v4, vcc
; %bb.1962:
	s_or_b64 exec, exec, s[2:3]
	v_lshrrev_b32_e32 v3, 24, v2
	s_movk_i32 s2, 0x80
	v_and_or_b32 v3, v3, s2, v4
	global_store_byte v[0:1], v3, off
.LBB47_1963:
	s_mov_b64 s[2:3], 0
.LBB47_1964:
	s_andn2_b64 vcc, exec, s[2:3]
	s_mov_b64 s[2:3], 0
	s_cbranch_vccnz .LBB47_1971
; %bb.1965:
	s_cmp_gt_i32 s16, 14
	s_mov_b64 s[8:9], -1
	s_cbranch_scc0 .LBB47_1969
; %bb.1966:
	s_cmp_eq_u32 s16, 15
	s_mov_b64 s[0:1], -1
	s_cbranch_scc0 .LBB47_1968
; %bb.1967:
	v_bfe_u32 v3, v2, 16, 1
	s_movk_i32 s0, 0x7fff
	v_add3_u32 v3, v2, v3, s0
	v_cmp_o_f32_e32 vcc, v2, v2
	v_mov_b32_e32 v4, 0x7fc0
	v_cndmask_b32_sdwa v3, v4, v3, vcc dst_sel:DWORD dst_unused:UNUSED_PAD src0_sel:DWORD src1_sel:WORD_1
	global_store_short v[0:1], v3, off
	s_mov_b64 s[0:1], 0
.LBB47_1968:
	s_mov_b64 s[8:9], 0
.LBB47_1969:
	s_and_b64 vcc, exec, s[8:9]
	s_cbranch_vccz .LBB47_1971
; %bb.1970:
	s_cmp_lg_u32 s16, 11
	s_mov_b64 s[2:3], -1
	s_cselect_b64 s[0:1], -1, 0
.LBB47_1971:
	s_and_b64 vcc, exec, s[0:1]
	s_cbranch_vccnz .LBB47_2037
.LBB47_1972:
	s_mov_b64 s[0:1], 0
	s_branch .LBB47_1974
.LBB47_1973:
	s_mov_b64 s[0:1], 0
	s_mov_b64 s[2:3], 0
                                        ; implicit-def: $sgpr20
                                        ; implicit-def: $vgpr0_vgpr1
                                        ; implicit-def: $vgpr2
.LBB47_1974:
	s_and_b64 s[12:13], s[2:3], exec
	s_andn2_b64 s[2:3], s[6:7], exec
	s_and_b64 s[6:7], s[14:15], exec
	s_and_b64 s[0:1], s[0:1], exec
	s_or_b64 s[6:7], s[2:3], s[6:7]
.LBB47_1975:
	s_or_b64 exec, exec, s[4:5]
	s_and_saveexec_b64 s[2:3], s[6:7]
	s_cbranch_execz .LBB47_1978
; %bb.1976:
	; divergent unreachable
	s_or_b64 exec, exec, s[2:3]
	s_and_saveexec_b64 s[2:3], s[12:13]
	s_xor_b64 s[2:3], exec, s[2:3]
	s_cbranch_execnz .LBB47_1979
.LBB47_1977:
	s_or_b64 exec, exec, s[2:3]
	s_and_saveexec_b64 s[2:3], s[0:1]
	s_cbranch_execnz .LBB47_1980
	s_branch .LBB47_2017
.LBB47_1978:
	s_or_b64 exec, exec, s[2:3]
	s_and_saveexec_b64 s[2:3], s[12:13]
	s_xor_b64 s[2:3], exec, s[2:3]
	s_cbranch_execz .LBB47_1977
.LBB47_1979:
	s_waitcnt vmcnt(0)
	v_cmp_neq_f32_e32 vcc, 0, v2
	v_cndmask_b32_e64 v3, 0, 1, vcc
	global_store_byte v[0:1], v3, off
	s_or_b64 exec, exec, s[2:3]
	s_and_saveexec_b64 s[2:3], s[0:1]
	s_cbranch_execz .LBB47_2017
.LBB47_1980:
	s_sext_i32_i16 s2, s20
	s_cmp_lt_i32 s2, 5
	s_mov_b64 s[0:1], -1
	s_cbranch_scc1 .LBB47_2001
; %bb.1981:
	s_cmp_lt_i32 s2, 8
	s_cbranch_scc1 .LBB47_1991
; %bb.1982:
	s_cmp_lt_i32 s2, 9
	s_cbranch_scc1 .LBB47_1988
; %bb.1983:
	s_cmp_gt_i32 s2, 9
	s_cbranch_scc0 .LBB47_1985
; %bb.1984:
	s_waitcnt vmcnt(0)
	v_cvt_f64_f32_e32 v[3:4], v2
	v_mov_b32_e32 v5, 0
	v_mov_b32_e32 v6, v5
	s_mov_b64 s[0:1], 0
	global_store_dwordx4 v[0:1], v[3:6], off
.LBB47_1985:
	s_andn2_b64 vcc, exec, s[0:1]
	s_cbranch_vccnz .LBB47_1987
; %bb.1986:
	s_waitcnt vmcnt(0)
	v_mov_b32_e32 v3, 0
	global_store_dwordx2 v[0:1], v[2:3], off
.LBB47_1987:
	s_mov_b64 s[0:1], 0
.LBB47_1988:
	s_andn2_b64 vcc, exec, s[0:1]
	s_cbranch_vccnz .LBB47_1990
; %bb.1989:
	s_waitcnt vmcnt(0)
	v_cvt_f16_f32_e32 v3, v2
	global_store_dword v[0:1], v3, off
.LBB47_1990:
	s_mov_b64 s[0:1], 0
.LBB47_1991:
	s_andn2_b64 vcc, exec, s[0:1]
	s_cbranch_vccnz .LBB47_2000
; %bb.1992:
	s_sext_i32_i16 s2, s20
	s_cmp_lt_i32 s2, 6
	s_mov_b64 s[0:1], -1
	s_cbranch_scc1 .LBB47_1998
; %bb.1993:
	s_cmp_gt_i32 s2, 6
	s_cbranch_scc0 .LBB47_1995
; %bb.1994:
	s_waitcnt vmcnt(0)
	v_cvt_f64_f32_e32 v[3:4], v2
	s_mov_b64 s[0:1], 0
	global_store_dwordx2 v[0:1], v[3:4], off
.LBB47_1995:
	s_andn2_b64 vcc, exec, s[0:1]
	s_cbranch_vccnz .LBB47_1997
; %bb.1996:
	s_waitcnt vmcnt(0)
	global_store_dword v[0:1], v2, off
.LBB47_1997:
	s_mov_b64 s[0:1], 0
.LBB47_1998:
	s_andn2_b64 vcc, exec, s[0:1]
	s_cbranch_vccnz .LBB47_2000
; %bb.1999:
	s_waitcnt vmcnt(0)
	v_cvt_f16_f32_e32 v3, v2
	global_store_short v[0:1], v3, off
.LBB47_2000:
	s_mov_b64 s[0:1], 0
.LBB47_2001:
	s_andn2_b64 vcc, exec, s[0:1]
	s_cbranch_vccnz .LBB47_2017
; %bb.2002:
	s_sext_i32_i16 s2, s20
	s_cmp_lt_i32 s2, 2
	s_mov_b64 s[0:1], -1
	s_cbranch_scc1 .LBB47_2012
; %bb.2003:
	s_cmp_lt_i32 s2, 3
	s_cbranch_scc1 .LBB47_2009
; %bb.2004:
	s_cmp_gt_i32 s2, 3
	s_cbranch_scc0 .LBB47_2006
; %bb.2005:
	s_waitcnt vmcnt(0)
	v_trunc_f32_e32 v3, v2
	s_mov_b32 s0, 0x2f800000
	v_mul_f32_e64 v4, |v3|, s0
	v_floor_f32_e32 v4, v4
	s_mov_b32 s0, 0xcf800000
	v_cvt_u32_f32_e32 v5, v4
	v_fma_f32 v4, v4, s0, |v3|
	v_cvt_u32_f32_e32 v4, v4
	v_ashrrev_i32_e32 v6, 31, v3
	v_xor_b32_e32 v5, v5, v6
	s_mov_b64 s[0:1], 0
	v_xor_b32_e32 v3, v4, v6
	v_sub_co_u32_e32 v3, vcc, v3, v6
	v_subb_co_u32_e32 v4, vcc, v5, v6, vcc
	global_store_dwordx2 v[0:1], v[3:4], off
.LBB47_2006:
	s_andn2_b64 vcc, exec, s[0:1]
	s_cbranch_vccnz .LBB47_2008
; %bb.2007:
	s_waitcnt vmcnt(0)
	v_cvt_i32_f32_e32 v3, v2
	global_store_dword v[0:1], v3, off
.LBB47_2008:
	s_mov_b64 s[0:1], 0
.LBB47_2009:
	s_andn2_b64 vcc, exec, s[0:1]
	s_cbranch_vccnz .LBB47_2011
; %bb.2010:
	s_waitcnt vmcnt(0)
	v_cvt_i32_f32_e32 v3, v2
	global_store_short v[0:1], v3, off
.LBB47_2011:
	s_mov_b64 s[0:1], 0
.LBB47_2012:
	s_andn2_b64 vcc, exec, s[0:1]
	s_cbranch_vccnz .LBB47_2017
; %bb.2013:
	s_sext_i32_i16 s0, s20
	s_cmp_gt_i32 s0, 0
	s_mov_b64 s[0:1], -1
	s_cbranch_scc0 .LBB47_2015
; %bb.2014:
	s_waitcnt vmcnt(0)
	v_cvt_i32_f32_e32 v3, v2
	s_mov_b64 s[0:1], 0
	global_store_byte v[0:1], v3, off
.LBB47_2015:
	s_andn2_b64 vcc, exec, s[0:1]
	s_cbranch_vccnz .LBB47_2017
; %bb.2016:
	s_waitcnt vmcnt(0)
	v_trunc_f32_e32 v2, v2
	s_mov_b32 s0, 0x2f800000
	v_mul_f32_e64 v3, |v2|, s0
	v_floor_f32_e32 v3, v3
	s_mov_b32 s0, 0xcf800000
	v_fma_f32 v3, v3, s0, |v2|
	v_cvt_u32_f32_e32 v3, v3
	v_ashrrev_i32_e32 v2, 31, v2
	v_xor_b32_e32 v3, v3, v2
	v_sub_u32_e32 v2, v3, v2
	global_store_byte v[0:1], v2, off
	s_endpgm
.LBB47_2017:
	s_endpgm
.LBB47_2018:
	s_mov_b64 s[2:3], 0
	s_mov_b64 s[0:1], -1
	s_branch .LBB47_1974
.LBB47_2019:
	s_trap 2
	s_or_b64 s[14:15], s[14:15], exec
	s_cbranch_execz .LBB47_1488
	s_branch .LBB47_1489
.LBB47_2020:
	s_andn2_saveexec_b64 s[18:19], s[18:19]
	s_cbranch_execz .LBB47_1568
.LBB47_2021:
	s_mov_b32 s21, 0x46000000
	v_add_f32_e64 v8, |v3|, s21
	v_and_b32_e32 v8, 0xff, v8
	v_cmp_ne_u32_e32 vcc, 0, v8
	s_andn2_b64 s[16:17], s[16:17], exec
	s_and_b64 s[22:23], vcc, exec
	s_or_b64 s[16:17], s[16:17], s[22:23]
	s_or_b64 exec, exec, s[18:19]
	v_mov_b32_e32 v9, 0
	s_and_saveexec_b64 s[18:19], s[16:17]
	s_cbranch_execnz .LBB47_1569
	s_branch .LBB47_1570
.LBB47_2022:
	s_trap 2
	s_or_b64 s[14:15], s[14:15], exec
	s_cbranch_execz .LBB47_1616
	s_branch .LBB47_1617
.LBB47_2023:
	s_andn2_saveexec_b64 s[16:17], s[16:17]
	s_cbranch_execz .LBB47_1581
.LBB47_2024:
	s_mov_b32 s18, 0x42800000
	v_add_f32_e64 v8, |v3|, s18
	v_and_b32_e32 v8, 0xff, v8
	v_cmp_ne_u32_e32 vcc, 0, v8
	s_andn2_b64 s[12:13], s[12:13], exec
	s_and_b64 s[18:19], vcc, exec
	s_or_b64 s[12:13], s[12:13], s[18:19]
	s_or_b64 exec, exec, s[16:17]
	v_mov_b32_e32 v9, 0
	s_and_saveexec_b64 s[16:17], s[12:13]
	s_cbranch_execnz .LBB47_1582
	s_branch .LBB47_1583
.LBB47_2025:
	s_andn2_saveexec_b64 s[16:17], s[16:17]
	s_cbranch_execz .LBB47_1687
.LBB47_2026:
	s_mov_b32 s21, 0x46000000
	v_add_f32_e64 v7, |v3|, s21
	v_and_b32_e32 v7, 0xff, v7
	v_cmp_ne_u32_e32 vcc, 0, v7
	s_andn2_b64 s[12:13], s[12:13], exec
	s_and_b64 s[22:23], vcc, exec
	s_or_b64 s[12:13], s[12:13], s[22:23]
	s_or_b64 exec, exec, s[16:17]
	v_mov_b32_e32 v8, 0
	s_and_saveexec_b64 s[16:17], s[12:13]
	s_cbranch_execnz .LBB47_1688
	s_branch .LBB47_1689
.LBB47_2027:
	s_trap 2
	s_or_b64 s[14:15], s[14:15], exec
	s_cbranch_execz .LBB47_1735
	s_branch .LBB47_1736
.LBB47_2028:
	s_andn2_saveexec_b64 s[12:13], s[12:13]
	s_cbranch_execz .LBB47_1700
.LBB47_2029:
	s_mov_b32 s16, 0x42800000
	v_add_f32_e64 v7, |v3|, s16
	v_and_b32_e32 v7, 0xff, v7
	v_cmp_ne_u32_e32 vcc, 0, v7
	s_andn2_b64 s[10:11], s[10:11], exec
	s_and_b64 s[16:17], vcc, exec
	s_or_b64 s[10:11], s[10:11], s[16:17]
	s_or_b64 exec, exec, s[12:13]
	v_mov_b32_e32 v8, 0
	s_and_saveexec_b64 s[12:13], s[10:11]
	s_cbranch_execnz .LBB47_1701
	s_branch .LBB47_1702
.LBB47_2030:
	s_andn2_saveexec_b64 s[16:17], s[16:17]
	s_cbranch_execz .LBB47_1806
.LBB47_2031:
	s_mov_b32 s21, 0x46000000
	v_add_f32_e64 v6, |v3|, s21
	v_and_b32_e32 v6, 0xff, v6
	v_cmp_ne_u32_e32 vcc, 0, v6
	s_andn2_b64 s[12:13], s[12:13], exec
	s_and_b64 s[22:23], vcc, exec
	s_or_b64 s[12:13], s[12:13], s[22:23]
	s_or_b64 exec, exec, s[16:17]
	v_mov_b32_e32 v7, 0
	s_and_saveexec_b64 s[16:17], s[12:13]
	s_cbranch_execnz .LBB47_1807
	s_branch .LBB47_1808
.LBB47_2032:
	s_trap 2
	s_or_b64 s[14:15], s[14:15], exec
	s_cbranch_execz .LBB47_1854
	s_branch .LBB47_1855
.LBB47_2033:
	s_andn2_saveexec_b64 s[12:13], s[12:13]
	s_cbranch_execz .LBB47_1819
.LBB47_2034:
	s_mov_b32 s16, 0x42800000
	v_add_f32_e64 v6, |v3|, s16
	v_and_b32_e32 v6, 0xff, v6
	v_cmp_ne_u32_e32 vcc, 0, v6
	s_andn2_b64 s[10:11], s[10:11], exec
	s_and_b64 s[16:17], vcc, exec
	s_or_b64 s[10:11], s[10:11], s[16:17]
	s_or_b64 exec, exec, s[12:13]
	v_mov_b32_e32 v7, 0
	s_and_saveexec_b64 s[12:13], s[10:11]
	s_cbranch_execnz .LBB47_1820
	s_branch .LBB47_1821
.LBB47_2035:
	s_andn2_saveexec_b64 s[12:13], s[12:13]
	s_cbranch_execz .LBB47_1926
.LBB47_2036:
	s_mov_b32 s17, 0x46000000
	v_add_f32_e64 v4, |v3|, s17
	v_and_b32_e32 v4, 0xff, v4
	v_cmp_ne_u32_e32 vcc, 0, v4
	s_andn2_b64 s[10:11], s[10:11], exec
	s_and_b64 s[18:19], vcc, exec
	s_or_b64 s[10:11], s[10:11], s[18:19]
	s_or_b64 exec, exec, s[12:13]
	v_mov_b32_e32 v5, 0
	s_and_saveexec_b64 s[12:13], s[10:11]
	s_cbranch_execnz .LBB47_1927
	s_branch .LBB47_1928
.LBB47_2037:
	s_mov_b64 s[2:3], 0
	s_or_b64 s[14:15], s[14:15], exec
	s_trap 2
	s_branch .LBB47_1972
.LBB47_2038:
	s_andn2_saveexec_b64 s[10:11], s[10:11]
	s_cbranch_execz .LBB47_1938
.LBB47_2039:
	s_mov_b32 s12, 0x42800000
	v_add_f32_e64 v4, |v3|, s12
	v_and_b32_e32 v4, 0xff, v4
	v_cmp_ne_u32_e32 vcc, 0, v4
	s_andn2_b64 s[8:9], s[8:9], exec
	s_and_b64 s[12:13], vcc, exec
	s_or_b64 s[8:9], s[8:9], s[12:13]
	s_or_b64 exec, exec, s[10:11]
	v_mov_b32_e32 v5, 0
	s_and_saveexec_b64 s[10:11], s[8:9]
	s_cbranch_execnz .LBB47_1939
	s_branch .LBB47_1940
	.section	.rodata,"a",@progbits
	.p2align	6, 0x0
	.amdhsa_kernel _ZN2at6native32elementwise_kernel_manual_unrollILi128ELi4EZNS0_15gpu_kernel_implIZZZNS0_16asin_kernel_cudaERNS_18TensorIteratorBaseEENKUlvE0_clEvENKUlvE0_clEvEUlfE_EEvS4_RKT_EUlibE_EEviT1_
		.amdhsa_group_segment_fixed_size 0
		.amdhsa_private_segment_fixed_size 0
		.amdhsa_kernarg_size 40
		.amdhsa_user_sgpr_count 6
		.amdhsa_user_sgpr_private_segment_buffer 1
		.amdhsa_user_sgpr_dispatch_ptr 0
		.amdhsa_user_sgpr_queue_ptr 0
		.amdhsa_user_sgpr_kernarg_segment_ptr 1
		.amdhsa_user_sgpr_dispatch_id 0
		.amdhsa_user_sgpr_flat_scratch_init 0
		.amdhsa_user_sgpr_private_segment_size 0
		.amdhsa_uses_dynamic_stack 0
		.amdhsa_system_sgpr_private_segment_wavefront_offset 0
		.amdhsa_system_sgpr_workgroup_id_x 1
		.amdhsa_system_sgpr_workgroup_id_y 0
		.amdhsa_system_sgpr_workgroup_id_z 0
		.amdhsa_system_sgpr_workgroup_info 0
		.amdhsa_system_vgpr_workitem_id 0
		.amdhsa_next_free_vgpr 12
		.amdhsa_next_free_sgpr 44
		.amdhsa_reserve_vcc 1
		.amdhsa_reserve_flat_scratch 0
		.amdhsa_float_round_mode_32 0
		.amdhsa_float_round_mode_16_64 0
		.amdhsa_float_denorm_mode_32 3
		.amdhsa_float_denorm_mode_16_64 3
		.amdhsa_dx10_clamp 1
		.amdhsa_ieee_mode 1
		.amdhsa_fp16_overflow 0
		.amdhsa_exception_fp_ieee_invalid_op 0
		.amdhsa_exception_fp_denorm_src 0
		.amdhsa_exception_fp_ieee_div_zero 0
		.amdhsa_exception_fp_ieee_overflow 0
		.amdhsa_exception_fp_ieee_underflow 0
		.amdhsa_exception_fp_ieee_inexact 0
		.amdhsa_exception_int_div_zero 0
	.end_amdhsa_kernel
	.section	.text._ZN2at6native32elementwise_kernel_manual_unrollILi128ELi4EZNS0_15gpu_kernel_implIZZZNS0_16asin_kernel_cudaERNS_18TensorIteratorBaseEENKUlvE0_clEvENKUlvE0_clEvEUlfE_EEvS4_RKT_EUlibE_EEviT1_,"axG",@progbits,_ZN2at6native32elementwise_kernel_manual_unrollILi128ELi4EZNS0_15gpu_kernel_implIZZZNS0_16asin_kernel_cudaERNS_18TensorIteratorBaseEENKUlvE0_clEvENKUlvE0_clEvEUlfE_EEvS4_RKT_EUlibE_EEviT1_,comdat
.Lfunc_end47:
	.size	_ZN2at6native32elementwise_kernel_manual_unrollILi128ELi4EZNS0_15gpu_kernel_implIZZZNS0_16asin_kernel_cudaERNS_18TensorIteratorBaseEENKUlvE0_clEvENKUlvE0_clEvEUlfE_EEvS4_RKT_EUlibE_EEviT1_, .Lfunc_end47-_ZN2at6native32elementwise_kernel_manual_unrollILi128ELi4EZNS0_15gpu_kernel_implIZZZNS0_16asin_kernel_cudaERNS_18TensorIteratorBaseEENKUlvE0_clEvENKUlvE0_clEvEUlfE_EEvS4_RKT_EUlibE_EEviT1_
                                        ; -- End function
	.set _ZN2at6native32elementwise_kernel_manual_unrollILi128ELi4EZNS0_15gpu_kernel_implIZZZNS0_16asin_kernel_cudaERNS_18TensorIteratorBaseEENKUlvE0_clEvENKUlvE0_clEvEUlfE_EEvS4_RKT_EUlibE_EEviT1_.num_vgpr, 12
	.set _ZN2at6native32elementwise_kernel_manual_unrollILi128ELi4EZNS0_15gpu_kernel_implIZZZNS0_16asin_kernel_cudaERNS_18TensorIteratorBaseEENKUlvE0_clEvENKUlvE0_clEvEUlfE_EEvS4_RKT_EUlibE_EEviT1_.num_agpr, 0
	.set _ZN2at6native32elementwise_kernel_manual_unrollILi128ELi4EZNS0_15gpu_kernel_implIZZZNS0_16asin_kernel_cudaERNS_18TensorIteratorBaseEENKUlvE0_clEvENKUlvE0_clEvEUlfE_EEvS4_RKT_EUlibE_EEviT1_.numbered_sgpr, 44
	.set _ZN2at6native32elementwise_kernel_manual_unrollILi128ELi4EZNS0_15gpu_kernel_implIZZZNS0_16asin_kernel_cudaERNS_18TensorIteratorBaseEENKUlvE0_clEvENKUlvE0_clEvEUlfE_EEvS4_RKT_EUlibE_EEviT1_.num_named_barrier, 0
	.set _ZN2at6native32elementwise_kernel_manual_unrollILi128ELi4EZNS0_15gpu_kernel_implIZZZNS0_16asin_kernel_cudaERNS_18TensorIteratorBaseEENKUlvE0_clEvENKUlvE0_clEvEUlfE_EEvS4_RKT_EUlibE_EEviT1_.private_seg_size, 0
	.set _ZN2at6native32elementwise_kernel_manual_unrollILi128ELi4EZNS0_15gpu_kernel_implIZZZNS0_16asin_kernel_cudaERNS_18TensorIteratorBaseEENKUlvE0_clEvENKUlvE0_clEvEUlfE_EEvS4_RKT_EUlibE_EEviT1_.uses_vcc, 1
	.set _ZN2at6native32elementwise_kernel_manual_unrollILi128ELi4EZNS0_15gpu_kernel_implIZZZNS0_16asin_kernel_cudaERNS_18TensorIteratorBaseEENKUlvE0_clEvENKUlvE0_clEvEUlfE_EEvS4_RKT_EUlibE_EEviT1_.uses_flat_scratch, 0
	.set _ZN2at6native32elementwise_kernel_manual_unrollILi128ELi4EZNS0_15gpu_kernel_implIZZZNS0_16asin_kernel_cudaERNS_18TensorIteratorBaseEENKUlvE0_clEvENKUlvE0_clEvEUlfE_EEvS4_RKT_EUlibE_EEviT1_.has_dyn_sized_stack, 0
	.set _ZN2at6native32elementwise_kernel_manual_unrollILi128ELi4EZNS0_15gpu_kernel_implIZZZNS0_16asin_kernel_cudaERNS_18TensorIteratorBaseEENKUlvE0_clEvENKUlvE0_clEvEUlfE_EEvS4_RKT_EUlibE_EEviT1_.has_recursion, 0
	.set _ZN2at6native32elementwise_kernel_manual_unrollILi128ELi4EZNS0_15gpu_kernel_implIZZZNS0_16asin_kernel_cudaERNS_18TensorIteratorBaseEENKUlvE0_clEvENKUlvE0_clEvEUlfE_EEvS4_RKT_EUlibE_EEviT1_.has_indirect_call, 0
	.section	.AMDGPU.csdata,"",@progbits
; Kernel info:
; codeLenInByte = 33336
; TotalNumSgprs: 48
; NumVgprs: 12
; ScratchSize: 0
; MemoryBound: 1
; FloatMode: 240
; IeeeMode: 1
; LDSByteSize: 0 bytes/workgroup (compile time only)
; SGPRBlocks: 5
; VGPRBlocks: 2
; NumSGPRsForWavesPerEU: 48
; NumVGPRsForWavesPerEU: 12
; Occupancy: 10
; WaveLimiterHint : 0
; COMPUTE_PGM_RSRC2:SCRATCH_EN: 0
; COMPUTE_PGM_RSRC2:USER_SGPR: 6
; COMPUTE_PGM_RSRC2:TRAP_HANDLER: 0
; COMPUTE_PGM_RSRC2:TGID_X_EN: 1
; COMPUTE_PGM_RSRC2:TGID_Y_EN: 0
; COMPUTE_PGM_RSRC2:TGID_Z_EN: 0
; COMPUTE_PGM_RSRC2:TIDIG_COMP_CNT: 0
	.section	.text._ZN2at6native32elementwise_kernel_manual_unrollILi128ELi4EZNS0_15gpu_kernel_implIZZZNS0_16asin_kernel_cudaERNS_18TensorIteratorBaseEENKUlvE0_clEvENKUlvE0_clEvEUlfE_EEvS4_RKT_EUlibE0_EEviT1_,"axG",@progbits,_ZN2at6native32elementwise_kernel_manual_unrollILi128ELi4EZNS0_15gpu_kernel_implIZZZNS0_16asin_kernel_cudaERNS_18TensorIteratorBaseEENKUlvE0_clEvENKUlvE0_clEvEUlfE_EEvS4_RKT_EUlibE0_EEviT1_,comdat
	.globl	_ZN2at6native32elementwise_kernel_manual_unrollILi128ELi4EZNS0_15gpu_kernel_implIZZZNS0_16asin_kernel_cudaERNS_18TensorIteratorBaseEENKUlvE0_clEvENKUlvE0_clEvEUlfE_EEvS4_RKT_EUlibE0_EEviT1_ ; -- Begin function _ZN2at6native32elementwise_kernel_manual_unrollILi128ELi4EZNS0_15gpu_kernel_implIZZZNS0_16asin_kernel_cudaERNS_18TensorIteratorBaseEENKUlvE0_clEvENKUlvE0_clEvEUlfE_EEvS4_RKT_EUlibE0_EEviT1_
	.p2align	8
	.type	_ZN2at6native32elementwise_kernel_manual_unrollILi128ELi4EZNS0_15gpu_kernel_implIZZZNS0_16asin_kernel_cudaERNS_18TensorIteratorBaseEENKUlvE0_clEvENKUlvE0_clEvEUlfE_EEvS4_RKT_EUlibE0_EEviT1_,@function
_ZN2at6native32elementwise_kernel_manual_unrollILi128ELi4EZNS0_15gpu_kernel_implIZZZNS0_16asin_kernel_cudaERNS_18TensorIteratorBaseEENKUlvE0_clEvENKUlvE0_clEvEUlfE_EEvS4_RKT_EUlibE0_EEviT1_: ; @_ZN2at6native32elementwise_kernel_manual_unrollILi128ELi4EZNS0_15gpu_kernel_implIZZZNS0_16asin_kernel_cudaERNS_18TensorIteratorBaseEENKUlvE0_clEvENKUlvE0_clEvEUlfE_EEvS4_RKT_EUlibE0_EEviT1_
; %bb.0:
	s_load_dword s70, s[4:5], 0x0
	s_load_dword s33, s[4:5], 0x8
	s_add_u32 s34, s4, 8
	s_addc_u32 s35, s5, 0
	v_lshl_or_b32 v8, s6, 9, v0
	v_or_b32_e32 v15, 0x180, v8
	s_waitcnt lgkmcnt(0)
	s_add_i32 s72, s33, -1
	s_cmp_gt_u32 s72, 1
	v_cmp_le_i32_e32 vcc, s70, v15
	s_cselect_b64 s[40:41], -1, 0
	s_mov_b64 s[6:7], 0
	s_mov_b64 s[28:29], 0
	s_and_saveexec_b64 s[0:1], vcc
	s_xor_b64 s[42:43], exec, s[0:1]
	s_cbranch_execz .LBB48_1086
; %bb.1:
	v_mov_b32_e32 v0, 0
	global_load_ushort v0, v0, s[34:35] offset:345
	s_load_dwordx4 s[36:39], s[34:35], 0x4
	s_load_dwordx2 s[44:45], s[34:35], 0x14
	s_load_dwordx4 s[28:31], s[34:35], 0xc4
	s_load_dwordx4 s[24:27], s[34:35], 0x148
	s_cmp_lg_u32 s33, 0
	s_cselect_b64 s[50:51], -1, 0
	s_add_u32 s48, s34, 0xc4
	s_addc_u32 s49, s35, 0
	s_min_u32 s75, s72, 15
	s_cmp_gt_u32 s33, 1
	s_cselect_b64 s[46:47], -1, 0
	v_cmp_gt_i32_e32 vcc, s70, v8
	s_mov_b64 s[2:3], -1
	s_mov_b64 s[60:61], 0
	s_mov_b64 s[54:55], 0
	;; [unrolled: 1-line block ×3, first 2 shown]
	s_waitcnt vmcnt(0)
	v_readfirstlane_b32 s73, v0
	s_and_b32 s0, 0xffff, s73
	s_lshr_b32 s74, s0, 8
	s_and_saveexec_b64 s[56:57], vcc
	s_cbranch_execz .LBB48_266
; %bb.2:
	s_andn2_b64 vcc, exec, s[40:41]
	s_cbranch_vccnz .LBB48_7
; %bb.3:
	s_andn2_b64 vcc, exec, s[50:51]
	s_cbranch_vccnz .LBB48_8
; %bb.4:
	s_add_i32 s59, s75, 1
	s_cmp_eq_u32 s72, 2
	s_cbranch_scc1 .LBB48_9
; %bb.5:
	s_and_b32 s58, s59, 28
	v_mov_b32_e32 v2, 0
	s_mov_b32 s62, 0
	s_mov_b64 s[52:53], s[34:35]
	s_mov_b64 s[54:55], s[48:49]
	v_mov_b32_e32 v0, 0
	v_mov_b32_e32 v1, v8
.LBB48_6:                               ; =>This Inner Loop Header: Depth=1
	s_load_dwordx8 s[16:23], s[52:53], 0x4
	s_load_dwordx4 s[0:3], s[52:53], 0x24
	s_load_dwordx8 s[8:15], s[54:55], 0x0
	s_add_u32 s52, s52, 48
	s_addc_u32 s53, s53, 0
	s_waitcnt lgkmcnt(0)
	v_mul_hi_u32 v3, s17, v1
	s_add_i32 s62, s62, 4
	s_add_u32 s54, s54, 32
	s_addc_u32 s55, s55, 0
	v_add_u32_e32 v3, v1, v3
	v_lshrrev_b32_e32 v3, s18, v3
	v_mul_lo_u32 v4, v3, s16
	v_mul_hi_u32 v5, s20, v3
	s_cmp_lg_u32 s58, s62
	v_sub_u32_e32 v1, v1, v4
	v_add_u32_e32 v4, v3, v5
	v_mul_lo_u32 v5, v1, s8
	v_mul_lo_u32 v6, v1, s9
	v_lshrrev_b32_e32 v1, s21, v4
	v_mul_lo_u32 v4, v1, s19
	v_mul_hi_u32 v7, s23, v1
	v_sub_u32_e32 v3, v3, v4
	v_add_u32_e32 v4, v1, v7
	v_lshrrev_b32_e32 v4, s0, v4
	v_mul_hi_u32 v9, s2, v4
	v_mul_lo_u32 v10, v4, s22
	v_mul_lo_u32 v7, v3, s10
	;; [unrolled: 1-line block ×3, first 2 shown]
	v_sub_u32_e32 v10, v1, v10
	v_add_u32_e32 v1, v4, v9
	v_lshrrev_b32_e32 v1, s3, v1
	v_mul_lo_u32 v9, v1, s1
	v_mul_lo_u32 v11, v10, s12
	;; [unrolled: 1-line block ×3, first 2 shown]
	v_add3_u32 v0, v5, v0, v7
	v_sub_u32_e32 v4, v4, v9
	v_mul_lo_u32 v9, v4, s14
	v_mul_lo_u32 v4, v4, s15
	v_add3_u32 v2, v6, v2, v3
	v_add3_u32 v0, v11, v0, v9
	;; [unrolled: 1-line block ×3, first 2 shown]
	s_cbranch_scc1 .LBB48_6
	s_branch .LBB48_10
.LBB48_7:
                                        ; implicit-def: $vgpr0
                                        ; implicit-def: $vgpr2
	s_branch .LBB48_14
.LBB48_8:
	v_mov_b32_e32 v0, 0
	v_mov_b32_e32 v2, 0
	s_branch .LBB48_13
.LBB48_9:
	s_mov_b32 s58, 0
	v_mov_b32_e32 v0, 0
	v_mov_b32_e32 v2, 0
	;; [unrolled: 1-line block ×3, first 2 shown]
.LBB48_10:
	s_and_b32 s8, s59, 3
	s_cmp_eq_u32 s8, 0
	s_cbranch_scc1 .LBB48_13
; %bb.11:
	s_lshl_b32 s0, s58, 3
	s_add_u32 s0, s34, s0
	s_addc_u32 s1, s35, 0
	s_add_u32 s0, s0, 0xc4
	s_addc_u32 s1, s1, 0
	s_mul_i32 s2, s58, 12
	s_add_u32 s2, s34, s2
	s_addc_u32 s3, s35, 0
.LBB48_12:                              ; =>This Inner Loop Header: Depth=1
	s_load_dwordx2 s[10:11], s[2:3], 0x4
	s_load_dword s9, s[2:3], 0xc
	s_load_dwordx2 s[12:13], s[0:1], 0x0
	s_add_u32 s2, s2, 12
	s_addc_u32 s3, s3, 0
	s_waitcnt lgkmcnt(0)
	v_mul_hi_u32 v3, s11, v1
	s_add_u32 s0, s0, 8
	s_addc_u32 s1, s1, 0
	s_add_i32 s8, s8, -1
	v_add_u32_e32 v3, v1, v3
	v_lshrrev_b32_e32 v4, s9, v3
	v_mul_lo_u32 v3, v4, s10
	s_cmp_lg_u32 s8, 0
	v_sub_u32_e32 v3, v1, v3
	v_mad_u64_u32 v[0:1], s[10:11], v3, s12, v[0:1]
	v_mad_u64_u32 v[2:3], s[10:11], v3, s13, v[2:3]
	v_mov_b32_e32 v1, v4
	s_cbranch_scc1 .LBB48_12
.LBB48_13:
	s_cbranch_execnz .LBB48_16
.LBB48_14:
	s_waitcnt lgkmcnt(0)
	v_mul_hi_u32 v0, s37, v8
	s_andn2_b64 vcc, exec, s[46:47]
	v_add_u32_e32 v0, v8, v0
	v_lshrrev_b32_e32 v1, s38, v0
	v_mul_lo_u32 v0, v1, s36
	v_sub_u32_e32 v2, v8, v0
	v_mul_lo_u32 v0, v2, s28
	v_mul_lo_u32 v2, v2, s29
	s_cbranch_vccnz .LBB48_16
; %bb.15:
	v_mul_hi_u32 v3, s44, v1
	v_add_u32_e32 v3, v1, v3
	v_lshrrev_b32_e32 v3, s45, v3
	v_mul_lo_u32 v3, v3, s39
	v_sub_u32_e32 v3, v1, v3
	v_mad_u64_u32 v[0:1], s[0:1], v3, s30, v[0:1]
	v_mad_u64_u32 v[2:3], s[0:1], v3, s31, v[2:3]
.LBB48_16:
	s_waitcnt lgkmcnt(0)
	v_mov_b32_e32 v3, s27
	s_and_b32 s12, 0xffff, s74
	v_add_co_u32_e32 v1, vcc, s26, v2
	s_cmp_lt_i32 s12, 11
	v_addc_co_u32_e32 v2, vcc, 0, v3, vcc
	s_cbranch_scc1 .LBB48_23
; %bb.17:
	s_cmp_gt_i32 s12, 25
	s_cbranch_scc0 .LBB48_32
; %bb.18:
	s_cmp_gt_i32 s12, 28
	s_cbranch_scc0 .LBB48_35
	;; [unrolled: 3-line block ×4, first 2 shown]
; %bb.21:
	s_cmp_eq_u32 s12, 46
	s_mov_b64 s[8:9], 0
	s_cbranch_scc0 .LBB48_41
; %bb.22:
	global_load_dword v3, v[1:2], off
	s_mov_b64 s[0:1], -1
	s_mov_b64 s[2:3], 0
	s_waitcnt vmcnt(0)
	v_lshlrev_b32_e32 v3, 16, v3
	s_branch .LBB48_43
.LBB48_23:
	s_mov_b64 s[2:3], 0
                                        ; implicit-def: $vgpr3
	s_mov_b64 s[0:1], 0
	s_cbranch_execnz .LBB48_216
.LBB48_24:
	s_andn2_b64 vcc, exec, s[0:1]
	s_cbranch_vccnz .LBB48_263
.LBB48_25:
	s_waitcnt vmcnt(0)
	v_fma_f32 v1, |v3|, -0.5, 0.5
	v_mul_f32_e32 v2, v3, v3
	v_cmp_ge_f32_e64 vcc, |v3|, 0.5
	v_cndmask_b32_e32 v1, v2, v1, vcc
	v_mov_b32_e32 v2, 0x3c5fc5da
	v_fmac_f32_e32 v2, 0x3d1c21a7, v1
	v_mov_b32_e32 v4, 0x3d034c3c
	v_fmac_f32_e32 v4, v1, v2
	v_mov_b32_e32 v2, 0x3d3641b1
	v_fmac_f32_e32 v2, v1, v4
	v_mov_b32_e32 v4, 0x3d999bc8
	v_fmac_f32_e32 v4, v1, v2
	v_sqrt_f32_e32 v2, v1
	v_mov_b32_e32 v5, 0x3e2aaaac
	v_fmac_f32_e32 v5, v1, v4
	v_mul_f32_e32 v1, v1, v5
	v_fmac_f32_e32 v2, v2, v1
	v_add_f32_e32 v2, v2, v2
	v_sub_f32_e32 v2, 0x3fc90fdb, v2
	v_fma_f32 v1, |v3|, v1, |v3|
	v_cmp_lt_f32_e64 vcc, |v3|, 0.5
	v_cndmask_b32_e32 v4, v2, v1, vcc
	s_brev_b32 s0, -2
	v_mov_b32_e32 v1, s25
	s_and_b32 s14, s73, 0xff
	v_add_co_u32_e32 v0, vcc, s24, v0
	v_bfi_b32 v2, s0, v4, v3
	s_cmp_lt_i32 s14, 11
	v_addc_co_u32_e32 v1, vcc, 0, v1, vcc
	s_cbranch_scc1 .LBB48_33
; %bb.26:
	s_and_b32 s15, 0xffff, s14
	s_cmp_gt_i32 s15, 25
	s_cbranch_scc0 .LBB48_36
; %bb.27:
	s_cmp_gt_i32 s15, 28
	s_cbranch_scc0 .LBB48_38
; %bb.28:
	;; [unrolled: 3-line block ×4, first 2 shown]
	s_mov_b64 s[10:11], 0
	s_mov_b64 s[0:1], -1
	s_cmp_eq_u32 s15, 46
	s_mov_b64 s[8:9], 0
	s_cbranch_scc0 .LBB48_47
; %bb.31:
	v_bfe_u32 v3, v2, 16, 1
	s_movk_i32 s0, 0x7fff
	v_add3_u32 v3, v2, v3, s0
	v_cmp_o_f32_e32 vcc, v2, v2
	v_mov_b32_e32 v5, 0x7fc0
	v_cndmask_b32_sdwa v3, v5, v3, vcc dst_sel:DWORD dst_unused:UNUSED_PAD src0_sel:DWORD src1_sel:WORD_1
	global_store_dword v[0:1], v3, off
	s_mov_b64 s[8:9], -1
	s_mov_b64 s[0:1], 0
	s_branch .LBB48_47
.LBB48_32:
	s_mov_b64 s[2:3], 0
	s_mov_b64 s[0:1], 0
                                        ; implicit-def: $vgpr3
	s_cbranch_execnz .LBB48_181
	s_branch .LBB48_215
.LBB48_33:
	s_mov_b64 s[0:1], 0
	s_mov_b64 s[8:9], 0
	s_cbranch_execnz .LBB48_116
.LBB48_34:
	s_andn2_b64 vcc, exec, s[8:9]
	s_cbranch_vccnz .LBB48_264
	s_branch .LBB48_154
.LBB48_35:
	s_mov_b64 s[8:9], -1
	s_mov_b64 s[2:3], 0
	s_mov_b64 s[0:1], 0
                                        ; implicit-def: $vgpr3
	s_branch .LBB48_162
.LBB48_36:
	s_mov_b64 s[10:11], -1
	s_mov_b64 s[0:1], 0
	s_mov_b64 s[8:9], 0
	s_branch .LBB48_74
.LBB48_37:
	s_mov_b64 s[8:9], -1
	s_mov_b64 s[2:3], 0
	s_mov_b64 s[0:1], 0
                                        ; implicit-def: $vgpr3
	s_branch .LBB48_157
.LBB48_38:
	s_mov_b64 s[10:11], -1
	s_mov_b64 s[0:1], 0
	s_mov_b64 s[8:9], 0
	s_branch .LBB48_57
.LBB48_39:
	s_mov_b64 s[8:9], -1
	s_mov_b64 s[2:3], 0
	s_branch .LBB48_42
.LBB48_40:
	s_mov_b64 s[10:11], -1
	s_mov_b64 s[0:1], 0
	s_mov_b64 s[8:9], 0
	s_branch .LBB48_53
.LBB48_41:
	s_mov_b64 s[2:3], -1
.LBB48_42:
	s_mov_b64 s[0:1], 0
                                        ; implicit-def: $vgpr3
.LBB48_43:
	s_and_b64 vcc, exec, s[8:9]
	s_cbranch_vccz .LBB48_156
; %bb.44:
	s_cmp_eq_u32 s12, 44
	s_cbranch_scc0 .LBB48_155
; %bb.45:
	global_load_ubyte v3, v[1:2], off
	s_movk_i32 s2, 0xff
	v_mov_b32_e32 v4, 0x7f800001
	v_mov_b32_e32 v5, 0x400000
	s_mov_b64 s[0:1], -1
	s_waitcnt vmcnt(0)
	v_lshlrev_b32_e32 v6, 23, v3
	v_cmp_ne_u32_e32 vcc, s2, v3
	v_cndmask_b32_e32 v4, v4, v6, vcc
	v_cmp_ne_u32_e32 vcc, 0, v3
	v_cndmask_b32_e32 v3, v5, v4, vcc
	s_mov_b64 s[2:3], 0
	s_branch .LBB48_156
.LBB48_46:
	s_mov_b64 s[10:11], -1
	s_mov_b64 s[0:1], 0
	s_mov_b64 s[8:9], 0
.LBB48_47:
	s_and_b64 vcc, exec, s[10:11]
	s_cbranch_vccz .LBB48_52
; %bb.48:
	s_cmp_eq_u32 s15, 44
	s_mov_b64 s[0:1], -1
	s_cbranch_scc0 .LBB48_52
; %bb.49:
	v_bfe_u32 v3, v2, 23, 8
	s_movk_i32 s0, 0xff
	v_cmp_ne_u32_e32 vcc, s0, v3
	v_mov_b32_e32 v5, 0xff
	s_and_saveexec_b64 s[8:9], vcc
; %bb.50:
	s_mov_b32 s0, 0x3fffff
	v_and_b32_e32 v6, 0x400000, v2
	v_and_or_b32 v3, v2, s0, v3
	v_cmp_ne_u32_e32 vcc, 0, v6
	v_cmp_ne_u32_e64 s[0:1], 0, v3
	s_and_b64 s[0:1], vcc, s[0:1]
	v_lshrrev_b32_e32 v5, 23, v2
	v_cndmask_b32_e64 v3, 0, 1, s[0:1]
	v_add_u32_e32 v5, v5, v3
; %bb.51:
	s_or_b64 exec, exec, s[8:9]
	s_mov_b64 s[8:9], -1
	s_mov_b64 s[0:1], 0
	global_store_byte v[0:1], v5, off
.LBB48_52:
	s_mov_b64 s[10:11], 0
.LBB48_53:
	s_and_b64 vcc, exec, s[10:11]
	s_cbranch_vccz .LBB48_56
; %bb.54:
	s_cmp_eq_u32 s15, 29
	s_mov_b64 s[0:1], -1
	s_cbranch_scc0 .LBB48_56
; %bb.55:
	v_trunc_f32_e32 v3, v2
	v_mul_f32_e32 v5, 0x2f800000, v3
	v_floor_f32_e32 v5, v5
	v_fmac_f32_e32 v3, 0xcf800000, v5
	v_cvt_u32_f32_e32 v6, v5
	v_cvt_u32_f32_e32 v5, v3
	s_mov_b64 s[8:9], -1
	s_mov_b64 s[0:1], 0
	s_mov_b64 s[10:11], 0
	global_store_dwordx2 v[0:1], v[5:6], off
	s_branch .LBB48_57
.LBB48_56:
	s_mov_b64 s[10:11], 0
.LBB48_57:
	s_and_b64 vcc, exec, s[10:11]
	s_cbranch_vccz .LBB48_73
; %bb.58:
	s_cmp_lt_i32 s15, 27
	s_mov_b64 s[8:9], -1
	s_cbranch_scc1 .LBB48_64
; %bb.59:
	v_cvt_u32_f32_e32 v3, v2
	s_cmp_gt_i32 s15, 27
	s_cbranch_scc0 .LBB48_61
; %bb.60:
	s_mov_b64 s[8:9], 0
	global_store_dword v[0:1], v3, off
.LBB48_61:
	s_andn2_b64 vcc, exec, s[8:9]
	s_cbranch_vccnz .LBB48_63
; %bb.62:
	global_store_short v[0:1], v3, off
.LBB48_63:
	s_mov_b64 s[8:9], 0
.LBB48_64:
	s_andn2_b64 vcc, exec, s[8:9]
	s_cbranch_vccnz .LBB48_72
; %bb.65:
	v_and_b32_e32 v3, 0x7fffffff, v4
	s_mov_b32 s8, 0x43800000
	v_cmp_gt_u32_e32 vcc, s8, v3
	v_mov_b32_e32 v5, 0x80
	s_and_saveexec_b64 s[8:9], vcc
	s_cbranch_execz .LBB48_71
; %bb.66:
	s_mov_b32 s10, 0x3bffffff
	v_cmp_lt_u32_e32 vcc, s10, v3
	s_mov_b64 s[10:11], 0
                                        ; implicit-def: $vgpr3
	s_and_saveexec_b64 s[12:13], vcc
	s_xor_b64 s[12:13], exec, s[12:13]
	s_cbranch_execz .LBB48_307
; %bb.67:
	v_bfe_u32 v3, v2, 20, 1
	s_mov_b32 s16, 0x487ffff
	v_add3_u32 v3, v2, v3, s16
	s_mov_b64 s[10:11], exec
	v_lshrrev_b32_e32 v3, 20, v3
	s_andn2_saveexec_b64 s[12:13], s[12:13]
	s_cbranch_execnz .LBB48_308
.LBB48_68:
	s_or_b64 exec, exec, s[12:13]
	v_mov_b32_e32 v5, 0
	s_and_saveexec_b64 s[12:13], s[10:11]
.LBB48_69:
	v_lshrrev_b32_e32 v5, 24, v2
	s_movk_i32 s10, 0x80
	v_and_or_b32 v5, v5, s10, v3
.LBB48_70:
	s_or_b64 exec, exec, s[12:13]
.LBB48_71:
	s_or_b64 exec, exec, s[8:9]
	global_store_byte v[0:1], v5, off
.LBB48_72:
	s_mov_b64 s[8:9], -1
.LBB48_73:
	s_mov_b64 s[10:11], 0
.LBB48_74:
	s_and_b64 vcc, exec, s[10:11]
	s_cbranch_vccz .LBB48_115
; %bb.75:
	s_cmp_gt_i32 s15, 22
	s_mov_b64 s[10:11], -1
	s_cbranch_scc0 .LBB48_107
; %bb.76:
	s_cmp_lt_i32 s15, 24
	s_mov_b64 s[8:9], -1
	s_cbranch_scc1 .LBB48_96
; %bb.77:
	s_cmp_gt_i32 s15, 24
	s_cbranch_scc0 .LBB48_85
; %bb.78:
	v_and_b32_e32 v3, 0x7fffffff, v4
	s_mov_b32 s8, 0x47800000
	v_cmp_gt_u32_e32 vcc, s8, v3
	v_mov_b32_e32 v5, 0x80
	s_and_saveexec_b64 s[8:9], vcc
	s_cbranch_execz .LBB48_84
; %bb.79:
	s_mov_b32 s10, 0x37ffffff
	v_cmp_lt_u32_e32 vcc, s10, v3
	s_mov_b64 s[10:11], 0
                                        ; implicit-def: $vgpr3
	s_and_saveexec_b64 s[12:13], vcc
	s_xor_b64 s[12:13], exec, s[12:13]
	s_cbranch_execz .LBB48_311
; %bb.80:
	v_bfe_u32 v3, v2, 21, 1
	s_mov_b32 s16, 0x88fffff
	v_add3_u32 v3, v2, v3, s16
	s_mov_b64 s[10:11], exec
	v_lshrrev_b32_e32 v3, 21, v3
	s_andn2_saveexec_b64 s[12:13], s[12:13]
	s_cbranch_execnz .LBB48_312
.LBB48_81:
	s_or_b64 exec, exec, s[12:13]
	v_mov_b32_e32 v5, 0
	s_and_saveexec_b64 s[12:13], s[10:11]
.LBB48_82:
	v_lshrrev_b32_e32 v5, 24, v2
	s_movk_i32 s10, 0x80
	v_and_or_b32 v5, v5, s10, v3
.LBB48_83:
	s_or_b64 exec, exec, s[12:13]
.LBB48_84:
	s_or_b64 exec, exec, s[8:9]
	s_mov_b64 s[8:9], 0
	global_store_byte v[0:1], v5, off
.LBB48_85:
	s_and_b64 vcc, exec, s[8:9]
	s_cbranch_vccz .LBB48_95
; %bb.86:
	v_and_b32_e32 v5, 0x7fffffff, v4
	s_mov_b32 s8, 0x43f00000
	v_cmp_gt_u32_e32 vcc, s8, v5
                                        ; implicit-def: $vgpr3
	s_and_saveexec_b64 s[8:9], vcc
	s_xor_b64 s[8:9], exec, s[8:9]
	s_cbranch_execz .LBB48_92
; %bb.87:
	s_mov_b32 s10, 0x3c7fffff
	v_cmp_lt_u32_e32 vcc, s10, v5
                                        ; implicit-def: $vgpr3
	s_and_saveexec_b64 s[10:11], vcc
	s_xor_b64 s[10:11], exec, s[10:11]
; %bb.88:
	v_bfe_u32 v3, v2, 20, 1
	s_mov_b32 s12, 0x407ffff
	v_add3_u32 v3, v2, v3, s12
	v_lshrrev_b32_e32 v5, 20, v3
	v_and_b32_e32 v3, 0xff00000, v3
	s_mov_b32 s12, 0x7f00000
	v_mov_b32_e32 v6, 0x7e
	v_cmp_ne_u32_e32 vcc, s12, v3
	v_cndmask_b32_e32 v3, v6, v5, vcc
; %bb.89:
	s_andn2_saveexec_b64 s[10:11], s[10:11]
; %bb.90:
	s_mov_b32 s12, 0x46800000
	v_add_f32_e64 v3, |v4|, s12
; %bb.91:
	s_or_b64 exec, exec, s[10:11]
                                        ; implicit-def: $vgpr5
.LBB48_92:
	s_andn2_saveexec_b64 s[8:9], s[8:9]
; %bb.93:
	s_mov_b32 s10, 0x7f800000
	v_mov_b32_e32 v3, 0x7e
	v_mov_b32_e32 v6, 0x7f
	v_cmp_lt_u32_e32 vcc, s10, v5
	v_cndmask_b32_e32 v3, v3, v6, vcc
; %bb.94:
	s_or_b64 exec, exec, s[8:9]
	v_lshrrev_b32_e32 v5, 24, v2
	s_movk_i32 s8, 0x80
	v_and_or_b32 v3, v5, s8, v3
	global_store_byte v[0:1], v3, off
.LBB48_95:
	s_mov_b64 s[8:9], 0
.LBB48_96:
	s_andn2_b64 vcc, exec, s[8:9]
	s_cbranch_vccnz .LBB48_106
; %bb.97:
	v_and_b32_e32 v5, 0x7fffffff, v4
	s_mov_b32 s8, 0x47800000
	v_cmp_gt_u32_e32 vcc, s8, v5
                                        ; implicit-def: $vgpr3
	s_and_saveexec_b64 s[8:9], vcc
	s_xor_b64 s[8:9], exec, s[8:9]
	s_cbranch_execz .LBB48_103
; %bb.98:
	s_mov_b32 s10, 0x387fffff
	v_cmp_lt_u32_e32 vcc, s10, v5
                                        ; implicit-def: $vgpr3
	s_and_saveexec_b64 s[10:11], vcc
	s_xor_b64 s[10:11], exec, s[10:11]
; %bb.99:
	v_bfe_u32 v3, v2, 21, 1
	s_mov_b32 s12, 0x80fffff
	v_add3_u32 v3, v2, v3, s12
	v_lshrrev_b32_e32 v3, 21, v3
                                        ; implicit-def: $vgpr4
; %bb.100:
	s_andn2_saveexec_b64 s[10:11], s[10:11]
; %bb.101:
	s_mov_b32 s12, 0x43000000
	v_add_f32_e64 v3, |v4|, s12
; %bb.102:
	s_or_b64 exec, exec, s[10:11]
                                        ; implicit-def: $vgpr5
.LBB48_103:
	s_andn2_saveexec_b64 s[8:9], s[8:9]
; %bb.104:
	s_mov_b32 s10, 0x7f800000
	v_mov_b32_e32 v3, 0x7c
	v_mov_b32_e32 v4, 0x7f
	v_cmp_lt_u32_e32 vcc, s10, v5
	v_cndmask_b32_e32 v3, v3, v4, vcc
; %bb.105:
	s_or_b64 exec, exec, s[8:9]
	v_lshrrev_b32_e32 v4, 24, v2
	s_movk_i32 s8, 0x80
	v_and_or_b32 v3, v4, s8, v3
	global_store_byte v[0:1], v3, off
.LBB48_106:
	s_mov_b64 s[10:11], 0
	s_mov_b64 s[8:9], -1
.LBB48_107:
	s_andn2_b64 vcc, exec, s[10:11]
	s_cbranch_vccnz .LBB48_115
; %bb.108:
	s_cmp_gt_i32 s15, 14
	s_mov_b64 s[10:11], -1
	s_cbranch_scc0 .LBB48_112
; %bb.109:
	s_cmp_eq_u32 s15, 15
	s_mov_b64 s[0:1], -1
	s_cbranch_scc0 .LBB48_111
; %bb.110:
	v_bfe_u32 v3, v2, 16, 1
	s_movk_i32 s0, 0x7fff
	v_add3_u32 v3, v2, v3, s0
	v_cmp_o_f32_e32 vcc, v2, v2
	v_mov_b32_e32 v4, 0x7fc0
	v_cndmask_b32_sdwa v3, v4, v3, vcc dst_sel:DWORD dst_unused:UNUSED_PAD src0_sel:DWORD src1_sel:WORD_1
	global_store_short v[0:1], v3, off
	s_mov_b64 s[8:9], -1
	s_mov_b64 s[0:1], 0
.LBB48_111:
	s_mov_b64 s[10:11], 0
.LBB48_112:
	s_and_b64 vcc, exec, s[10:11]
	s_cbranch_vccz .LBB48_115
; %bb.113:
	s_cmp_eq_u32 s15, 11
	s_mov_b64 s[0:1], -1
	s_cbranch_scc0 .LBB48_115
; %bb.114:
	v_cmp_neq_f32_e32 vcc, 0, v2
	v_cndmask_b32_e64 v3, 0, 1, vcc
	s_mov_b64 s[8:9], -1
	s_mov_b64 s[0:1], 0
	global_store_byte v[0:1], v3, off
.LBB48_115:
	s_branch .LBB48_34
.LBB48_116:
	s_and_b32 s10, 0xffff, s14
	s_cmp_lt_i32 s10, 5
	s_mov_b64 s[8:9], -1
	s_cbranch_scc1 .LBB48_137
; %bb.117:
	s_cmp_lt_i32 s10, 8
	s_cbranch_scc1 .LBB48_127
; %bb.118:
	s_cmp_lt_i32 s10, 9
	s_cbranch_scc1 .LBB48_124
; %bb.119:
	s_cmp_gt_i32 s10, 9
	s_cbranch_scc0 .LBB48_121
; %bb.120:
	v_cvt_f64_f32_e32 v[3:4], v2
	v_mov_b32_e32 v5, 0
	v_mov_b32_e32 v6, v5
	s_mov_b64 s[8:9], 0
	global_store_dwordx4 v[0:1], v[3:6], off
.LBB48_121:
	s_andn2_b64 vcc, exec, s[8:9]
	s_cbranch_vccnz .LBB48_123
; %bb.122:
	v_mov_b32_e32 v3, 0
	global_store_dwordx2 v[0:1], v[2:3], off
.LBB48_123:
	s_mov_b64 s[8:9], 0
.LBB48_124:
	s_andn2_b64 vcc, exec, s[8:9]
	s_cbranch_vccnz .LBB48_126
; %bb.125:
	v_cvt_f16_f32_e32 v3, v2
	global_store_dword v[0:1], v3, off
.LBB48_126:
	s_mov_b64 s[8:9], 0
.LBB48_127:
	s_andn2_b64 vcc, exec, s[8:9]
	s_cbranch_vccnz .LBB48_136
; %bb.128:
	s_cmp_lt_i32 s10, 6
	s_mov_b64 s[8:9], -1
	s_cbranch_scc1 .LBB48_134
; %bb.129:
	s_cmp_gt_i32 s10, 6
	s_cbranch_scc0 .LBB48_131
; %bb.130:
	v_cvt_f64_f32_e32 v[3:4], v2
	s_mov_b64 s[8:9], 0
	global_store_dwordx2 v[0:1], v[3:4], off
.LBB48_131:
	s_andn2_b64 vcc, exec, s[8:9]
	s_cbranch_vccnz .LBB48_133
; %bb.132:
	global_store_dword v[0:1], v2, off
.LBB48_133:
	s_mov_b64 s[8:9], 0
.LBB48_134:
	s_andn2_b64 vcc, exec, s[8:9]
	s_cbranch_vccnz .LBB48_136
; %bb.135:
	v_cvt_f16_f32_e32 v3, v2
	global_store_short v[0:1], v3, off
.LBB48_136:
	s_mov_b64 s[8:9], 0
.LBB48_137:
	s_andn2_b64 vcc, exec, s[8:9]
	s_cbranch_vccnz .LBB48_153
; %bb.138:
	s_cmp_lt_i32 s10, 2
	s_mov_b64 s[8:9], -1
	s_cbranch_scc1 .LBB48_148
; %bb.139:
	s_cmp_lt_i32 s10, 3
	s_cbranch_scc1 .LBB48_145
; %bb.140:
	s_cmp_gt_i32 s10, 3
	s_cbranch_scc0 .LBB48_142
; %bb.141:
	v_trunc_f32_e32 v3, v2
	s_mov_b32 s8, 0x2f800000
	v_mul_f32_e64 v4, |v3|, s8
	v_floor_f32_e32 v4, v4
	s_mov_b32 s8, 0xcf800000
	v_cvt_u32_f32_e32 v5, v4
	v_fma_f32 v4, v4, s8, |v3|
	v_cvt_u32_f32_e32 v4, v4
	v_ashrrev_i32_e32 v6, 31, v3
	v_xor_b32_e32 v5, v5, v6
	s_mov_b64 s[8:9], 0
	v_xor_b32_e32 v3, v4, v6
	v_sub_co_u32_e32 v3, vcc, v3, v6
	v_subb_co_u32_e32 v4, vcc, v5, v6, vcc
	global_store_dwordx2 v[0:1], v[3:4], off
.LBB48_142:
	s_andn2_b64 vcc, exec, s[8:9]
	s_cbranch_vccnz .LBB48_144
; %bb.143:
	v_cvt_i32_f32_e32 v3, v2
	global_store_dword v[0:1], v3, off
.LBB48_144:
	s_mov_b64 s[8:9], 0
.LBB48_145:
	s_andn2_b64 vcc, exec, s[8:9]
	s_cbranch_vccnz .LBB48_147
; %bb.146:
	v_cvt_i32_f32_e32 v3, v2
	global_store_short v[0:1], v3, off
.LBB48_147:
	s_mov_b64 s[8:9], 0
.LBB48_148:
	s_andn2_b64 vcc, exec, s[8:9]
	s_cbranch_vccnz .LBB48_153
; %bb.149:
	s_cmp_gt_i32 s10, 0
	s_mov_b64 s[8:9], -1
	s_cbranch_scc0 .LBB48_151
; %bb.150:
	v_cvt_i32_f32_e32 v3, v2
	s_mov_b64 s[8:9], 0
	global_store_byte v[0:1], v3, off
.LBB48_151:
	s_andn2_b64 vcc, exec, s[8:9]
	s_cbranch_vccnz .LBB48_153
; %bb.152:
	v_trunc_f32_e32 v2, v2
	s_mov_b32 s8, 0x2f800000
	v_mul_f32_e64 v3, |v2|, s8
	v_floor_f32_e32 v3, v3
	s_mov_b32 s8, 0xcf800000
	v_fma_f32 v3, v3, s8, |v2|
	v_cvt_u32_f32_e32 v3, v3
	v_ashrrev_i32_e32 v2, 31, v2
	v_xor_b32_e32 v3, v3, v2
	v_sub_u32_e32 v2, v3, v2
	global_store_byte v[0:1], v2, off
.LBB48_153:
.LBB48_154:
	v_add_u32_e32 v8, 0x80, v8
	s_mov_b64 s[8:9], -1
	s_branch .LBB48_265
.LBB48_155:
	s_mov_b64 s[2:3], -1
                                        ; implicit-def: $vgpr3
.LBB48_156:
	s_mov_b64 s[8:9], 0
.LBB48_157:
	s_and_b64 vcc, exec, s[8:9]
	s_cbranch_vccz .LBB48_161
; %bb.158:
	s_cmp_eq_u32 s12, 29
	s_cbranch_scc0 .LBB48_160
; %bb.159:
	global_load_dwordx2 v[3:4], v[1:2], off
	s_mov_b64 s[0:1], -1
	s_mov_b64 s[2:3], 0
	s_mov_b64 s[8:9], 0
	s_waitcnt vmcnt(0)
	v_ffbh_u32_e32 v5, v4
	v_min_u32_e32 v5, 32, v5
	v_lshlrev_b64 v[3:4], v5, v[3:4]
	v_min_u32_e32 v3, 1, v3
	v_or_b32_e32 v3, v4, v3
	v_cvt_f32_u32_e32 v3, v3
	v_sub_u32_e32 v4, 32, v5
	v_ldexp_f32 v3, v3, v4
	s_branch .LBB48_162
.LBB48_160:
	s_mov_b64 s[2:3], -1
                                        ; implicit-def: $vgpr3
.LBB48_161:
	s_mov_b64 s[8:9], 0
.LBB48_162:
	s_and_b64 vcc, exec, s[8:9]
	s_cbranch_vccz .LBB48_180
; %bb.163:
	s_cmp_lt_i32 s12, 27
	s_cbranch_scc1 .LBB48_166
; %bb.164:
	s_cmp_gt_i32 s12, 27
	s_cbranch_scc0 .LBB48_167
; %bb.165:
	global_load_dword v3, v[1:2], off
	s_mov_b64 s[0:1], 0
	s_waitcnt vmcnt(0)
	v_cvt_f32_u32_e32 v3, v3
	s_branch .LBB48_168
.LBB48_166:
	s_mov_b64 s[0:1], -1
                                        ; implicit-def: $vgpr3
	s_branch .LBB48_171
.LBB48_167:
	s_mov_b64 s[0:1], -1
                                        ; implicit-def: $vgpr3
.LBB48_168:
	s_andn2_b64 vcc, exec, s[0:1]
	s_cbranch_vccnz .LBB48_170
; %bb.169:
	global_load_ushort v3, v[1:2], off
	s_waitcnt vmcnt(0)
	v_cvt_f32_u32_e32 v3, v3
.LBB48_170:
	s_mov_b64 s[0:1], 0
.LBB48_171:
	s_andn2_b64 vcc, exec, s[0:1]
	s_cbranch_vccnz .LBB48_179
; %bb.172:
	global_load_ubyte v4, v[1:2], off
	s_movk_i32 s0, 0x7f
	s_waitcnt vmcnt(0)
	v_cmp_lt_i16_e32 vcc, s0, v4
	s_mov_b64 s[0:1], 0
	s_and_saveexec_b64 s[8:9], vcc
	s_xor_b64 s[8:9], exec, s[8:9]
	s_cbranch_execz .LBB48_192
; %bb.173:
	s_movk_i32 s0, 0x80
	v_cmp_eq_u16_e32 vcc, s0, v4
	s_mov_b64 s[0:1], -1
	s_and_saveexec_b64 s[10:11], vcc
; %bb.174:
	s_xor_b64 s[0:1], exec, -1
; %bb.175:
	s_or_b64 exec, exec, s[10:11]
	s_and_b64 s[0:1], s[0:1], exec
	s_or_saveexec_b64 s[8:9], s[8:9]
	v_mov_b32_e32 v3, 0x7f800001
	s_xor_b64 exec, exec, s[8:9]
	s_cbranch_execnz .LBB48_193
.LBB48_176:
	s_or_b64 exec, exec, s[8:9]
	s_and_saveexec_b64 s[8:9], s[0:1]
	s_cbranch_execz .LBB48_178
.LBB48_177:
	v_lshlrev_b32_e32 v3, 24, v4
	v_and_b32_e32 v4, 0xffff, v4
	v_and_b32_e32 v5, 7, v4
	v_ffbh_u32_e32 v7, v5
	v_min_u32_e32 v7, 32, v7
	v_subrev_u32_e32 v9, 28, v7
	v_bfe_u32 v6, v4, 3, 4
	v_lshlrev_b32_e32 v4, v9, v4
	v_sub_u32_e32 v7, 29, v7
	v_and_b32_e32 v4, 7, v4
	v_cmp_eq_u32_e32 vcc, 0, v6
	v_cndmask_b32_e32 v6, v6, v7, vcc
	v_cndmask_b32_e32 v4, v5, v4, vcc
	v_mov_b32_e32 v5, 0x3b800000
	v_lshlrev_b32_e32 v4, 20, v4
	v_and_b32_e32 v3, 0x80000000, v3
	v_lshl_add_u32 v5, v6, 23, v5
	v_or3_b32 v3, v3, v5, v4
.LBB48_178:
	s_or_b64 exec, exec, s[8:9]
.LBB48_179:
	s_mov_b64 s[0:1], -1
.LBB48_180:
	s_branch .LBB48_215
.LBB48_181:
	s_cmp_gt_i32 s12, 22
	s_cbranch_scc0 .LBB48_191
; %bb.182:
	s_cmp_lt_i32 s12, 24
	s_cbranch_scc1 .LBB48_194
; %bb.183:
	s_cmp_gt_i32 s12, 24
	s_cbranch_scc0 .LBB48_195
; %bb.184:
	global_load_ubyte v4, v[1:2], off
	s_movk_i32 s0, 0x7f
	s_waitcnt vmcnt(0)
	v_cmp_lt_i16_e32 vcc, s0, v4
	s_mov_b64 s[0:1], 0
	s_and_saveexec_b64 s[8:9], vcc
	s_xor_b64 s[8:9], exec, s[8:9]
	s_cbranch_execz .LBB48_207
; %bb.185:
	s_movk_i32 s0, 0x80
	v_cmp_eq_u16_e32 vcc, s0, v4
	s_mov_b64 s[0:1], -1
	s_and_saveexec_b64 s[10:11], vcc
; %bb.186:
	s_xor_b64 s[0:1], exec, -1
; %bb.187:
	s_or_b64 exec, exec, s[10:11]
	s_and_b64 s[0:1], s[0:1], exec
	s_or_saveexec_b64 s[8:9], s[8:9]
	v_mov_b32_e32 v3, 0x7f800001
	s_xor_b64 exec, exec, s[8:9]
	s_cbranch_execnz .LBB48_208
.LBB48_188:
	s_or_b64 exec, exec, s[8:9]
	s_and_saveexec_b64 s[8:9], s[0:1]
	s_cbranch_execz .LBB48_190
.LBB48_189:
	v_lshlrev_b32_e32 v3, 24, v4
	v_and_b32_e32 v4, 0xffff, v4
	v_and_b32_e32 v5, 3, v4
	v_ffbh_u32_e32 v7, v5
	v_min_u32_e32 v7, 32, v7
	v_subrev_u32_e32 v9, 29, v7
	v_bfe_u32 v6, v4, 2, 5
	v_lshlrev_b32_e32 v4, v9, v4
	v_sub_u32_e32 v7, 30, v7
	v_and_b32_e32 v4, 3, v4
	v_cmp_eq_u32_e32 vcc, 0, v6
	v_cndmask_b32_e32 v6, v6, v7, vcc
	v_cndmask_b32_e32 v4, v5, v4, vcc
	v_mov_b32_e32 v5, 0x37800000
	v_lshlrev_b32_e32 v4, 21, v4
	v_and_b32_e32 v3, 0x80000000, v3
	v_lshl_add_u32 v5, v6, 23, v5
	v_or3_b32 v3, v3, v5, v4
.LBB48_190:
	s_or_b64 exec, exec, s[8:9]
	s_mov_b64 s[0:1], 0
	s_branch .LBB48_196
.LBB48_191:
	s_mov_b64 s[8:9], -1
                                        ; implicit-def: $vgpr3
	s_branch .LBB48_202
.LBB48_192:
	s_or_saveexec_b64 s[8:9], s[8:9]
	v_mov_b32_e32 v3, 0x7f800001
	s_xor_b64 exec, exec, s[8:9]
	s_cbranch_execz .LBB48_176
.LBB48_193:
	v_cmp_ne_u16_e32 vcc, 0, v4
	s_andn2_b64 s[0:1], s[0:1], exec
	s_and_b64 s[10:11], vcc, exec
	v_mov_b32_e32 v3, 0
	s_or_b64 s[0:1], s[0:1], s[10:11]
	s_or_b64 exec, exec, s[8:9]
	s_and_saveexec_b64 s[8:9], s[0:1]
	s_cbranch_execnz .LBB48_177
	s_branch .LBB48_178
.LBB48_194:
	s_mov_b64 s[0:1], -1
                                        ; implicit-def: $vgpr3
	s_branch .LBB48_199
.LBB48_195:
	s_mov_b64 s[0:1], -1
                                        ; implicit-def: $vgpr3
.LBB48_196:
	s_and_b64 vcc, exec, s[0:1]
	s_cbranch_vccz .LBB48_198
; %bb.197:
	global_load_ubyte v3, v[1:2], off
	s_mov_b32 s0, 0x7f800000
	s_waitcnt vmcnt(0)
	v_lshlrev_b32_e32 v3, 24, v3
	v_and_b32_e32 v4, 0x7f000000, v3
	v_ffbh_u32_e32 v5, v4
	v_min_u32_e32 v5, 32, v5
	v_sub_u32_e64 v5, v5, 4 clamp
	v_lshlrev_b32_e32 v7, v5, v4
	v_lshlrev_b32_e32 v5, 23, v5
	v_lshrrev_b32_e32 v7, 4, v7
	v_add_u32_e32 v6, 0x1000000, v4
	v_sub_u32_e32 v5, v7, v5
	v_ashrrev_i32_e32 v6, 8, v6
	v_add_u32_e32 v5, 0x3c000000, v5
	v_and_or_b32 v5, v6, s0, v5
	v_cmp_ne_u32_e32 vcc, 0, v4
	v_cndmask_b32_e32 v4, 0, v5, vcc
	s_brev_b32 s0, 1
	v_and_or_b32 v3, v3, s0, v4
.LBB48_198:
	s_mov_b64 s[0:1], 0
.LBB48_199:
	s_andn2_b64 vcc, exec, s[0:1]
	s_cbranch_vccnz .LBB48_201
; %bb.200:
	global_load_ubyte v3, v[1:2], off
	s_movk_i32 s0, 0x7f00
	s_brev_b32 s1, 16
	s_waitcnt vmcnt(0)
	v_lshlrev_b16_e32 v4, 8, v3
	v_lshlrev_b32_e32 v3, 25, v3
	v_lshrrev_b32_e32 v5, 4, v3
	v_and_or_b32 v6, v4, s0, 0.5
	v_or_b32_e32 v5, 0x70000000, v5
	v_add_f32_e32 v6, -0.5, v6
	v_mul_f32_e32 v5, 0x7800000, v5
	v_cmp_gt_u32_e32 vcc, s1, v3
	v_bfe_i32 v4, v4, 0, 16
	v_cndmask_b32_e32 v3, v5, v6, vcc
	s_brev_b32 s0, 1
	v_and_or_b32 v3, v4, s0, v3
.LBB48_201:
	s_mov_b64 s[8:9], 0
	s_mov_b64 s[0:1], -1
.LBB48_202:
	s_andn2_b64 vcc, exec, s[8:9]
	s_cbranch_vccnz .LBB48_215
; %bb.203:
	s_cmp_gt_i32 s12, 14
	s_cbranch_scc0 .LBB48_206
; %bb.204:
	s_cmp_eq_u32 s12, 15
	s_cbranch_scc0 .LBB48_209
; %bb.205:
	global_load_ushort v3, v[1:2], off
	s_mov_b64 s[0:1], -1
	s_mov_b64 s[2:3], 0
	s_waitcnt vmcnt(0)
	v_lshlrev_b32_e32 v3, 16, v3
	s_branch .LBB48_210
.LBB48_206:
	s_mov_b64 s[8:9], -1
                                        ; implicit-def: $vgpr3
	s_branch .LBB48_211
.LBB48_207:
	s_or_saveexec_b64 s[8:9], s[8:9]
	v_mov_b32_e32 v3, 0x7f800001
	s_xor_b64 exec, exec, s[8:9]
	s_cbranch_execz .LBB48_188
.LBB48_208:
	v_cmp_ne_u16_e32 vcc, 0, v4
	s_andn2_b64 s[0:1], s[0:1], exec
	s_and_b64 s[10:11], vcc, exec
	v_mov_b32_e32 v3, 0
	s_or_b64 s[0:1], s[0:1], s[10:11]
	s_or_b64 exec, exec, s[8:9]
	s_and_saveexec_b64 s[8:9], s[0:1]
	s_cbranch_execnz .LBB48_189
	s_branch .LBB48_190
.LBB48_209:
	s_mov_b64 s[2:3], -1
                                        ; implicit-def: $vgpr3
.LBB48_210:
	s_mov_b64 s[8:9], 0
.LBB48_211:
	s_and_b64 vcc, exec, s[8:9]
	s_cbranch_vccz .LBB48_215
; %bb.212:
	s_cmp_eq_u32 s12, 11
	s_cbranch_scc0 .LBB48_214
; %bb.213:
	global_load_ubyte v3, v[1:2], off
	s_mov_b64 s[0:1], -1
	s_mov_b64 s[2:3], 0
	s_waitcnt vmcnt(0)
	v_cmp_ne_u16_e32 vcc, 0, v3
	v_cndmask_b32_e64 v3, 0, 1.0, vcc
	s_branch .LBB48_215
.LBB48_214:
	s_mov_b64 s[2:3], -1
                                        ; implicit-def: $vgpr3
.LBB48_215:
	s_branch .LBB48_24
.LBB48_216:
	s_cmp_lt_i32 s12, 5
	s_cbranch_scc1 .LBB48_221
; %bb.217:
	s_cmp_lt_i32 s12, 8
	s_cbranch_scc1 .LBB48_222
; %bb.218:
	;; [unrolled: 3-line block ×3, first 2 shown]
	s_cmp_gt_i32 s12, 9
	s_cbranch_scc0 .LBB48_224
; %bb.220:
	global_load_dwordx2 v[3:4], v[1:2], off
	s_mov_b64 s[0:1], 0
	s_waitcnt vmcnt(0)
	v_cvt_f32_f64_e32 v3, v[3:4]
	s_branch .LBB48_225
.LBB48_221:
                                        ; implicit-def: $vgpr3
	s_branch .LBB48_243
.LBB48_222:
	s_mov_b64 s[0:1], -1
                                        ; implicit-def: $vgpr3
	s_branch .LBB48_231
.LBB48_223:
	s_mov_b64 s[0:1], -1
                                        ; implicit-def: $vgpr3
	s_branch .LBB48_228
.LBB48_224:
	s_mov_b64 s[0:1], -1
                                        ; implicit-def: $vgpr3
.LBB48_225:
	s_andn2_b64 vcc, exec, s[0:1]
	s_cbranch_vccnz .LBB48_227
; %bb.226:
	global_load_dword v3, v[1:2], off
.LBB48_227:
	s_mov_b64 s[0:1], 0
.LBB48_228:
	s_andn2_b64 vcc, exec, s[0:1]
	s_cbranch_vccnz .LBB48_230
; %bb.229:
	global_load_dword v3, v[1:2], off
	s_waitcnt vmcnt(0)
	v_cvt_f32_f16_e32 v3, v3
.LBB48_230:
	s_mov_b64 s[0:1], 0
.LBB48_231:
	s_andn2_b64 vcc, exec, s[0:1]
	s_cbranch_vccnz .LBB48_242
; %bb.232:
	s_cmp_lt_i32 s12, 6
	s_cbranch_scc1 .LBB48_235
; %bb.233:
	s_cmp_gt_i32 s12, 6
	s_cbranch_scc0 .LBB48_236
; %bb.234:
	global_load_dwordx2 v[3:4], v[1:2], off
	s_mov_b64 s[0:1], 0
	s_waitcnt vmcnt(0)
	v_cvt_f32_f64_e32 v3, v[3:4]
	s_branch .LBB48_237
.LBB48_235:
	s_mov_b64 s[0:1], -1
                                        ; implicit-def: $vgpr3
	s_branch .LBB48_240
.LBB48_236:
	s_mov_b64 s[0:1], -1
                                        ; implicit-def: $vgpr3
.LBB48_237:
	s_andn2_b64 vcc, exec, s[0:1]
	s_cbranch_vccnz .LBB48_239
; %bb.238:
	global_load_dword v3, v[1:2], off
.LBB48_239:
	s_mov_b64 s[0:1], 0
.LBB48_240:
	s_andn2_b64 vcc, exec, s[0:1]
	s_cbranch_vccnz .LBB48_242
; %bb.241:
	global_load_ushort v3, v[1:2], off
	s_waitcnt vmcnt(0)
	v_cvt_f32_f16_e32 v3, v3
.LBB48_242:
	s_cbranch_execnz .LBB48_262
.LBB48_243:
	s_cmp_lt_i32 s12, 2
	s_cbranch_scc1 .LBB48_247
; %bb.244:
	s_cmp_lt_i32 s12, 3
	s_cbranch_scc1 .LBB48_248
; %bb.245:
	s_cmp_gt_i32 s12, 3
	s_cbranch_scc0 .LBB48_249
; %bb.246:
	global_load_dwordx2 v[3:4], v[1:2], off
	s_mov_b64 s[0:1], 0
	s_waitcnt vmcnt(0)
	v_xor_b32_e32 v6, v3, v4
	v_ffbh_i32_e32 v5, v4
	v_ashrrev_i32_e32 v6, 31, v6
	v_add_u32_e32 v5, -1, v5
	v_add_u32_e32 v6, 32, v6
	v_min_u32_e32 v5, v5, v6
	v_lshlrev_b64 v[3:4], v5, v[3:4]
	v_min_u32_e32 v3, 1, v3
	v_or_b32_e32 v3, v4, v3
	v_cvt_f32_i32_e32 v3, v3
	v_sub_u32_e32 v4, 32, v5
	v_ldexp_f32 v3, v3, v4
	s_branch .LBB48_250
.LBB48_247:
	s_mov_b64 s[0:1], -1
                                        ; implicit-def: $vgpr3
	s_branch .LBB48_256
.LBB48_248:
	s_mov_b64 s[0:1], -1
                                        ; implicit-def: $vgpr3
	s_branch .LBB48_253
.LBB48_249:
	s_mov_b64 s[0:1], -1
                                        ; implicit-def: $vgpr3
.LBB48_250:
	s_andn2_b64 vcc, exec, s[0:1]
	s_cbranch_vccnz .LBB48_252
; %bb.251:
	global_load_dword v3, v[1:2], off
	s_waitcnt vmcnt(0)
	v_cvt_f32_i32_e32 v3, v3
.LBB48_252:
	s_mov_b64 s[0:1], 0
.LBB48_253:
	s_andn2_b64 vcc, exec, s[0:1]
	s_cbranch_vccnz .LBB48_255
; %bb.254:
	global_load_sshort v3, v[1:2], off
	s_waitcnt vmcnt(0)
	v_cvt_f32_i32_e32 v3, v3
.LBB48_255:
	s_mov_b64 s[0:1], 0
.LBB48_256:
	s_andn2_b64 vcc, exec, s[0:1]
	s_cbranch_vccnz .LBB48_262
; %bb.257:
	s_cmp_gt_i32 s12, 0
	s_cbranch_scc0 .LBB48_259
; %bb.258:
	global_load_sbyte v3, v[1:2], off
	s_mov_b64 s[0:1], 0
	s_waitcnt vmcnt(0)
	v_cvt_f32_i32_e32 v3, v3
	s_branch .LBB48_260
.LBB48_259:
	s_mov_b64 s[0:1], -1
                                        ; implicit-def: $vgpr3
.LBB48_260:
	s_andn2_b64 vcc, exec, s[0:1]
	s_cbranch_vccnz .LBB48_262
; %bb.261:
	global_load_ubyte v1, v[1:2], off
	s_waitcnt vmcnt(0)
	v_cvt_f32_ubyte0_e32 v3, v1
.LBB48_262:
	s_branch .LBB48_25
.LBB48_263:
	s_mov_b64 s[0:1], 0
.LBB48_264:
	s_mov_b64 s[8:9], 0
                                        ; implicit-def: $vgpr8
.LBB48_265:
	s_and_b64 s[52:53], s[0:1], exec
	s_and_b64 s[54:55], s[2:3], exec
	s_orn2_b64 s[2:3], s[8:9], exec
.LBB48_266:
	s_or_b64 exec, exec, s[56:57]
	s_mov_b64 s[10:11], 0
	s_mov_b64 s[0:1], 0
                                        ; implicit-def: $vgpr1_vgpr2
                                        ; implicit-def: $vgpr0
                                        ; implicit-def: $vgpr4
	s_and_saveexec_b64 s[56:57], s[2:3]
	s_cbranch_execz .LBB48_273
; %bb.267:
	v_cmp_gt_i32_e32 vcc, s70, v8
	s_mov_b64 s[0:1], -1
	s_mov_b64 s[58:59], s[54:55]
	s_mov_b64 s[60:61], s[52:53]
	s_and_saveexec_b64 s[62:63], vcc
	s_cbranch_execz .LBB48_542
; %bb.268:
	s_andn2_b64 vcc, exec, s[40:41]
	s_cbranch_vccnz .LBB48_276
; %bb.269:
	s_andn2_b64 vcc, exec, s[50:51]
	s_cbranch_vccnz .LBB48_277
; %bb.270:
	s_add_i32 s65, s75, 1
	s_cmp_eq_u32 s72, 2
	s_cbranch_scc1 .LBB48_278
; %bb.271:
	s_and_b32 s64, s65, 28
	v_mov_b32_e32 v2, 0
	s_mov_b32 s66, 0
	s_mov_b64 s[58:59], s[34:35]
	s_mov_b64 s[60:61], s[48:49]
	v_mov_b32_e32 v0, 0
	v_mov_b32_e32 v1, v8
.LBB48_272:                             ; =>This Inner Loop Header: Depth=1
	s_load_dwordx8 s[16:23], s[58:59], 0x4
	s_load_dwordx4 s[0:3], s[58:59], 0x24
	s_load_dwordx8 s[8:15], s[60:61], 0x0
	s_add_u32 s58, s58, 48
	s_addc_u32 s59, s59, 0
	s_waitcnt vmcnt(0) lgkmcnt(0)
	v_mul_hi_u32 v3, s17, v1
	s_add_i32 s66, s66, 4
	s_add_u32 s60, s60, 32
	s_addc_u32 s61, s61, 0
	v_add_u32_e32 v3, v1, v3
	v_lshrrev_b32_e32 v3, s18, v3
	v_mul_lo_u32 v4, v3, s16
	v_mul_hi_u32 v5, s20, v3
	s_cmp_eq_u32 s64, s66
	v_sub_u32_e32 v1, v1, v4
	v_add_u32_e32 v4, v3, v5
	v_mul_lo_u32 v5, v1, s8
	v_mul_lo_u32 v6, v1, s9
	v_lshrrev_b32_e32 v1, s21, v4
	v_mul_lo_u32 v4, v1, s19
	v_mul_hi_u32 v7, s23, v1
	v_sub_u32_e32 v3, v3, v4
	v_add_u32_e32 v4, v1, v7
	v_lshrrev_b32_e32 v4, s0, v4
	v_mul_hi_u32 v9, s2, v4
	v_mul_lo_u32 v10, v4, s22
	v_mul_lo_u32 v7, v3, s10
	;; [unrolled: 1-line block ×3, first 2 shown]
	v_sub_u32_e32 v10, v1, v10
	v_add_u32_e32 v1, v4, v9
	v_lshrrev_b32_e32 v1, s3, v1
	v_mul_lo_u32 v9, v1, s1
	v_mul_lo_u32 v11, v10, s12
	;; [unrolled: 1-line block ×3, first 2 shown]
	v_add3_u32 v0, v5, v0, v7
	v_sub_u32_e32 v4, v4, v9
	v_mul_lo_u32 v9, v4, s14
	v_mul_lo_u32 v4, v4, s15
	v_add3_u32 v2, v6, v2, v3
	v_add3_u32 v0, v11, v0, v9
	;; [unrolled: 1-line block ×3, first 2 shown]
	s_cbranch_scc0 .LBB48_272
	s_branch .LBB48_279
.LBB48_273:
	s_or_b64 exec, exec, s[56:57]
	s_mov_b64 s[2:3], 0
	s_and_saveexec_b64 s[8:9], s[54:55]
	s_cbranch_execnz .LBB48_918
.LBB48_274:
	s_or_b64 exec, exec, s[8:9]
	s_and_saveexec_b64 s[8:9], s[60:61]
	s_xor_b64 s[8:9], exec, s[8:9]
	s_cbranch_execz .LBB48_919
.LBB48_275:
	global_load_ubyte v3, v[1:2], off
	s_or_b64 s[0:1], s[0:1], exec
	s_waitcnt vmcnt(0)
	v_cmp_ne_u16_e32 vcc, 0, v3
	v_cndmask_b32_e64 v4, 0, 1.0, vcc
	s_or_b64 exec, exec, s[8:9]
	s_and_saveexec_b64 s[8:9], s[10:11]
	s_cbranch_execz .LBB48_965
	s_branch .LBB48_920
.LBB48_276:
                                        ; implicit-def: $vgpr0
                                        ; implicit-def: $vgpr2
	s_andn2_b64 vcc, exec, s[0:1]
	s_cbranch_vccz .LBB48_283
	s_branch .LBB48_285
.LBB48_277:
	v_mov_b32_e32 v0, 0
	v_mov_b32_e32 v2, 0
	s_branch .LBB48_282
.LBB48_278:
	s_mov_b32 s64, 0
	v_mov_b32_e32 v0, 0
	v_mov_b32_e32 v2, 0
	;; [unrolled: 1-line block ×3, first 2 shown]
.LBB48_279:
	s_and_b32 s8, s65, 3
	s_cmp_eq_u32 s8, 0
	s_cbranch_scc1 .LBB48_282
; %bb.280:
	s_lshl_b32 s0, s64, 3
	s_add_u32 s0, s34, s0
	s_addc_u32 s1, s35, 0
	s_add_u32 s0, s0, 0xc4
	s_addc_u32 s1, s1, 0
	s_mul_i32 s2, s64, 12
	s_add_u32 s2, s34, s2
	s_addc_u32 s3, s35, 0
.LBB48_281:                             ; =>This Inner Loop Header: Depth=1
	s_load_dwordx2 s[10:11], s[2:3], 0x4
	s_load_dword s9, s[2:3], 0xc
	s_load_dwordx2 s[12:13], s[0:1], 0x0
	s_add_u32 s2, s2, 12
	s_addc_u32 s3, s3, 0
	s_waitcnt vmcnt(0) lgkmcnt(0)
	v_mul_hi_u32 v3, s11, v1
	s_add_u32 s0, s0, 8
	s_addc_u32 s1, s1, 0
	s_add_i32 s8, s8, -1
	v_add_u32_e32 v3, v1, v3
	v_lshrrev_b32_e32 v4, s9, v3
	v_mul_lo_u32 v3, v4, s10
	s_cmp_lg_u32 s8, 0
	v_sub_u32_e32 v3, v1, v3
	v_mad_u64_u32 v[0:1], s[10:11], v3, s12, v[0:1]
	v_mad_u64_u32 v[2:3], s[10:11], v3, s13, v[2:3]
	v_mov_b32_e32 v1, v4
	s_cbranch_scc1 .LBB48_281
.LBB48_282:
	s_cbranch_execnz .LBB48_285
.LBB48_283:
	s_waitcnt lgkmcnt(0)
	v_mul_hi_u32 v0, s37, v8
	s_andn2_b64 vcc, exec, s[46:47]
	v_add_u32_e32 v0, v8, v0
	v_lshrrev_b32_e32 v1, s38, v0
	v_mul_lo_u32 v0, v1, s36
	v_sub_u32_e32 v2, v8, v0
	v_mul_lo_u32 v0, v2, s28
	v_mul_lo_u32 v2, v2, s29
	s_cbranch_vccnz .LBB48_285
; %bb.284:
	s_waitcnt vmcnt(0)
	v_mul_hi_u32 v3, s44, v1
	v_add_u32_e32 v3, v1, v3
	v_lshrrev_b32_e32 v3, s45, v3
	v_mul_lo_u32 v3, v3, s39
	v_sub_u32_e32 v3, v1, v3
	v_mad_u64_u32 v[0:1], s[0:1], v3, s30, v[0:1]
	v_mad_u64_u32 v[2:3], s[0:1], v3, s31, v[2:3]
.LBB48_285:
	s_waitcnt vmcnt(0) lgkmcnt(0)
	v_mov_b32_e32 v3, s27
	s_and_b32 s12, 0xffff, s74
	v_add_co_u32_e32 v1, vcc, s26, v2
	s_cmp_lt_i32 s12, 11
	v_addc_co_u32_e32 v2, vcc, 0, v3, vcc
	s_cbranch_scc1 .LBB48_292
; %bb.286:
	s_cmp_gt_i32 s12, 25
	s_cbranch_scc0 .LBB48_301
; %bb.287:
	s_cmp_gt_i32 s12, 28
	s_cbranch_scc0 .LBB48_303
	;; [unrolled: 3-line block ×4, first 2 shown]
; %bb.290:
	s_cmp_eq_u32 s12, 46
	s_mov_b64 s[8:9], 0
	s_cbranch_scc0 .LBB48_313
; %bb.291:
	global_load_dword v3, v[1:2], off
	s_mov_b64 s[0:1], -1
	s_mov_b64 s[2:3], 0
	s_waitcnt vmcnt(0)
	v_lshlrev_b32_e32 v3, 16, v3
	s_branch .LBB48_314
.LBB48_292:
	s_mov_b64 s[0:1], 0
                                        ; implicit-def: $vgpr3
	s_mov_b64 s[2:3], s[54:55]
	s_cbranch_execnz .LBB48_491
.LBB48_293:
	s_andn2_b64 vcc, exec, s[0:1]
	s_cbranch_vccnz .LBB48_539
.LBB48_294:
	s_waitcnt vmcnt(0)
	v_fma_f32 v1, |v3|, -0.5, 0.5
	v_mul_f32_e32 v2, v3, v3
	v_cmp_ge_f32_e64 vcc, |v3|, 0.5
	v_cndmask_b32_e32 v1, v2, v1, vcc
	v_mov_b32_e32 v2, 0x3c5fc5da
	v_fmac_f32_e32 v2, 0x3d1c21a7, v1
	v_mov_b32_e32 v4, 0x3d034c3c
	v_fmac_f32_e32 v4, v1, v2
	;; [unrolled: 2-line block ×4, first 2 shown]
	v_sqrt_f32_e32 v2, v1
	v_mov_b32_e32 v5, 0x3e2aaaac
	v_fmac_f32_e32 v5, v1, v4
	v_mul_f32_e32 v1, v1, v5
	v_fmac_f32_e32 v2, v2, v1
	v_add_f32_e32 v2, v2, v2
	v_sub_f32_e32 v2, 0x3fc90fdb, v2
	v_fma_f32 v1, |v3|, v1, |v3|
	v_cmp_lt_f32_e64 vcc, |v3|, 0.5
	v_cndmask_b32_e32 v4, v2, v1, vcc
	s_brev_b32 s0, -2
	v_mov_b32_e32 v1, s25
	s_and_b32 s14, s73, 0xff
	v_add_co_u32_e32 v0, vcc, s24, v0
	v_bfi_b32 v2, s0, v4, v3
	s_cmp_lt_i32 s14, 11
	v_addc_co_u32_e32 v1, vcc, 0, v1, vcc
	s_cbranch_scc1 .LBB48_302
; %bb.295:
	s_and_b32 s15, 0xffff, s14
	s_cmp_gt_i32 s15, 25
	s_cbranch_scc0 .LBB48_304
; %bb.296:
	s_cmp_gt_i32 s15, 28
	s_cbranch_scc0 .LBB48_306
; %bb.297:
	;; [unrolled: 3-line block ×4, first 2 shown]
	s_mov_b64 s[10:11], 0
	s_mov_b64 s[0:1], -1
	s_cmp_eq_u32 s15, 46
	s_mov_b64 s[8:9], 0
	s_cbranch_scc0 .LBB48_318
; %bb.300:
	v_bfe_u32 v3, v2, 16, 1
	s_movk_i32 s0, 0x7fff
	v_add3_u32 v3, v2, v3, s0
	v_cmp_o_f32_e32 vcc, v2, v2
	v_mov_b32_e32 v5, 0x7fc0
	v_cndmask_b32_sdwa v3, v5, v3, vcc dst_sel:DWORD dst_unused:UNUSED_PAD src0_sel:DWORD src1_sel:WORD_1
	global_store_dword v[0:1], v3, off
	s_mov_b64 s[8:9], -1
	s_mov_b64 s[0:1], 0
	s_branch .LBB48_318
.LBB48_301:
	s_mov_b64 s[8:9], -1
	s_mov_b64 s[0:1], 0
	s_mov_b64 s[2:3], s[54:55]
                                        ; implicit-def: $vgpr3
	s_branch .LBB48_455
.LBB48_302:
	s_mov_b64 s[10:11], -1
	s_mov_b64 s[8:9], 0
	s_mov_b64 s[0:1], s[52:53]
	s_branch .LBB48_387
.LBB48_303:
	s_mov_b64 s[8:9], -1
	s_mov_b64 s[0:1], 0
	s_mov_b64 s[2:3], s[54:55]
                                        ; implicit-def: $vgpr3
	s_branch .LBB48_436
.LBB48_304:
	s_mov_b64 s[10:11], -1
	s_mov_b64 s[8:9], 0
	s_mov_b64 s[0:1], s[52:53]
	s_branch .LBB48_345
.LBB48_305:
	s_mov_b64 s[8:9], -1
	s_mov_b64 s[0:1], 0
	s_mov_b64 s[2:3], s[54:55]
                                        ; implicit-def: $vgpr3
	s_branch .LBB48_431
.LBB48_306:
	s_mov_b64 s[10:11], -1
	s_mov_b64 s[8:9], 0
	s_mov_b64 s[0:1], s[52:53]
	s_branch .LBB48_328
.LBB48_307:
	s_andn2_saveexec_b64 s[12:13], s[12:13]
	s_cbranch_execz .LBB48_68
.LBB48_308:
	s_mov_b32 s16, 0x46000000
	v_add_f32_e64 v3, |v4|, s16
	v_and_b32_e32 v3, 0xff, v3
	v_cmp_ne_u32_e32 vcc, 0, v3
	s_andn2_b64 s[10:11], s[10:11], exec
	s_and_b64 s[16:17], vcc, exec
	s_or_b64 s[10:11], s[10:11], s[16:17]
	s_or_b64 exec, exec, s[12:13]
	v_mov_b32_e32 v5, 0
	s_and_saveexec_b64 s[12:13], s[10:11]
	s_cbranch_execnz .LBB48_69
	s_branch .LBB48_70
.LBB48_309:
	s_mov_b64 s[8:9], -1
	s_mov_b64 s[0:1], 0
	s_mov_b64 s[2:3], s[54:55]
                                        ; implicit-def: $vgpr3
	s_branch .LBB48_314
.LBB48_310:
	s_mov_b64 s[10:11], -1
	s_mov_b64 s[8:9], 0
	s_mov_b64 s[0:1], s[52:53]
	s_branch .LBB48_324
.LBB48_311:
	s_andn2_saveexec_b64 s[12:13], s[12:13]
	s_cbranch_execz .LBB48_81
.LBB48_312:
	s_mov_b32 s16, 0x42800000
	v_add_f32_e64 v3, |v4|, s16
	v_and_b32_e32 v3, 0xff, v3
	v_cmp_ne_u32_e32 vcc, 0, v3
	s_andn2_b64 s[10:11], s[10:11], exec
	s_and_b64 s[16:17], vcc, exec
	s_or_b64 s[10:11], s[10:11], s[16:17]
	s_or_b64 exec, exec, s[12:13]
	v_mov_b32_e32 v5, 0
	s_and_saveexec_b64 s[12:13], s[10:11]
	s_cbranch_execnz .LBB48_82
	s_branch .LBB48_83
.LBB48_313:
	s_mov_b64 s[2:3], -1
                                        ; implicit-def: $vgpr3
	s_mov_b64 s[0:1], 0
.LBB48_314:
	s_and_b64 vcc, exec, s[8:9]
	s_cbranch_vccz .LBB48_430
; %bb.315:
	s_cmp_eq_u32 s12, 44
	s_cbranch_scc0 .LBB48_429
; %bb.316:
	global_load_ubyte v3, v[1:2], off
	s_movk_i32 s2, 0xff
	v_mov_b32_e32 v4, 0x7f800001
	v_mov_b32_e32 v5, 0x400000
	s_mov_b64 s[0:1], -1
	s_waitcnt vmcnt(0)
	v_lshlrev_b32_e32 v6, 23, v3
	v_cmp_ne_u32_e32 vcc, s2, v3
	v_cndmask_b32_e32 v4, v4, v6, vcc
	v_cmp_ne_u32_e32 vcc, 0, v3
	v_cndmask_b32_e32 v3, v5, v4, vcc
	s_mov_b64 s[2:3], 0
	s_branch .LBB48_430
.LBB48_317:
	s_mov_b64 s[10:11], -1
	s_mov_b64 s[8:9], 0
	s_mov_b64 s[0:1], s[52:53]
.LBB48_318:
	s_and_b64 vcc, exec, s[10:11]
	s_cbranch_vccz .LBB48_323
; %bb.319:
	s_cmp_eq_u32 s15, 44
	s_mov_b64 s[0:1], -1
	s_cbranch_scc0 .LBB48_323
; %bb.320:
	v_bfe_u32 v3, v2, 23, 8
	s_movk_i32 s0, 0xff
	v_cmp_ne_u32_e32 vcc, s0, v3
	v_mov_b32_e32 v5, 0xff
	s_and_saveexec_b64 s[8:9], vcc
; %bb.321:
	s_mov_b32 s0, 0x3fffff
	v_and_b32_e32 v6, 0x400000, v2
	v_and_or_b32 v3, v2, s0, v3
	v_cmp_ne_u32_e32 vcc, 0, v6
	v_cmp_ne_u32_e64 s[0:1], 0, v3
	s_and_b64 s[0:1], vcc, s[0:1]
	v_lshrrev_b32_e32 v5, 23, v2
	v_cndmask_b32_e64 v3, 0, 1, s[0:1]
	v_add_u32_e32 v5, v5, v3
; %bb.322:
	s_or_b64 exec, exec, s[8:9]
	s_mov_b64 s[8:9], -1
	s_mov_b64 s[0:1], 0
	global_store_byte v[0:1], v5, off
.LBB48_323:
	s_mov_b64 s[10:11], 0
.LBB48_324:
	s_and_b64 vcc, exec, s[10:11]
	s_cbranch_vccz .LBB48_327
; %bb.325:
	s_cmp_eq_u32 s15, 29
	s_mov_b64 s[0:1], -1
	s_cbranch_scc0 .LBB48_327
; %bb.326:
	v_trunc_f32_e32 v3, v2
	v_mul_f32_e32 v5, 0x2f800000, v3
	v_floor_f32_e32 v5, v5
	v_fmac_f32_e32 v3, 0xcf800000, v5
	v_cvt_u32_f32_e32 v6, v5
	v_cvt_u32_f32_e32 v5, v3
	s_mov_b64 s[8:9], -1
	s_mov_b64 s[0:1], 0
	s_mov_b64 s[10:11], 0
	global_store_dwordx2 v[0:1], v[5:6], off
	s_branch .LBB48_328
.LBB48_327:
	s_mov_b64 s[10:11], 0
.LBB48_328:
	s_and_b64 vcc, exec, s[10:11]
	s_cbranch_vccz .LBB48_344
; %bb.329:
	s_cmp_lt_i32 s15, 27
	s_mov_b64 s[8:9], -1
	s_cbranch_scc1 .LBB48_335
; %bb.330:
	v_cvt_u32_f32_e32 v3, v2
	s_cmp_gt_i32 s15, 27
	s_cbranch_scc0 .LBB48_332
; %bb.331:
	s_mov_b64 s[8:9], 0
	global_store_dword v[0:1], v3, off
.LBB48_332:
	s_andn2_b64 vcc, exec, s[8:9]
	s_cbranch_vccnz .LBB48_334
; %bb.333:
	global_store_short v[0:1], v3, off
.LBB48_334:
	s_mov_b64 s[8:9], 0
.LBB48_335:
	s_andn2_b64 vcc, exec, s[8:9]
	s_cbranch_vccnz .LBB48_343
; %bb.336:
	v_and_b32_e32 v3, 0x7fffffff, v4
	s_mov_b32 s8, 0x43800000
	v_cmp_gt_u32_e32 vcc, s8, v3
	v_mov_b32_e32 v5, 0x80
	s_and_saveexec_b64 s[8:9], vcc
	s_cbranch_execz .LBB48_342
; %bb.337:
	s_mov_b32 s10, 0x3bffffff
	v_cmp_lt_u32_e32 vcc, s10, v3
	s_mov_b64 s[10:11], 0
                                        ; implicit-def: $vgpr3
	s_and_saveexec_b64 s[12:13], vcc
	s_xor_b64 s[12:13], exec, s[12:13]
	s_cbranch_execz .LBB48_570
; %bb.338:
	v_bfe_u32 v3, v2, 20, 1
	s_mov_b32 s16, 0x487ffff
	v_add3_u32 v3, v2, v3, s16
	s_mov_b64 s[10:11], exec
	v_lshrrev_b32_e32 v3, 20, v3
	s_andn2_saveexec_b64 s[12:13], s[12:13]
	s_cbranch_execnz .LBB48_571
.LBB48_339:
	s_or_b64 exec, exec, s[12:13]
	v_mov_b32_e32 v5, 0
	s_and_saveexec_b64 s[12:13], s[10:11]
.LBB48_340:
	v_lshrrev_b32_e32 v5, 24, v2
	s_movk_i32 s10, 0x80
	v_and_or_b32 v5, v5, s10, v3
.LBB48_341:
	s_or_b64 exec, exec, s[12:13]
.LBB48_342:
	s_or_b64 exec, exec, s[8:9]
	global_store_byte v[0:1], v5, off
.LBB48_343:
	s_mov_b64 s[8:9], -1
.LBB48_344:
	s_mov_b64 s[10:11], 0
.LBB48_345:
	s_and_b64 vcc, exec, s[10:11]
	s_cbranch_vccz .LBB48_386
; %bb.346:
	s_cmp_gt_i32 s15, 22
	s_mov_b64 s[10:11], -1
	s_cbranch_scc0 .LBB48_378
; %bb.347:
	s_cmp_lt_i32 s15, 24
	s_mov_b64 s[8:9], -1
	s_cbranch_scc1 .LBB48_367
; %bb.348:
	s_cmp_gt_i32 s15, 24
	s_cbranch_scc0 .LBB48_356
; %bb.349:
	v_and_b32_e32 v3, 0x7fffffff, v4
	s_mov_b32 s8, 0x47800000
	v_cmp_gt_u32_e32 vcc, s8, v3
	v_mov_b32_e32 v5, 0x80
	s_and_saveexec_b64 s[8:9], vcc
	s_cbranch_execz .LBB48_355
; %bb.350:
	s_mov_b32 s10, 0x37ffffff
	v_cmp_lt_u32_e32 vcc, s10, v3
	s_mov_b64 s[10:11], 0
                                        ; implicit-def: $vgpr3
	s_and_saveexec_b64 s[12:13], vcc
	s_xor_b64 s[12:13], exec, s[12:13]
	s_cbranch_execz .LBB48_573
; %bb.351:
	v_bfe_u32 v3, v2, 21, 1
	s_mov_b32 s16, 0x88fffff
	v_add3_u32 v3, v2, v3, s16
	s_mov_b64 s[10:11], exec
	v_lshrrev_b32_e32 v3, 21, v3
	s_andn2_saveexec_b64 s[12:13], s[12:13]
	s_cbranch_execnz .LBB48_574
.LBB48_352:
	s_or_b64 exec, exec, s[12:13]
	v_mov_b32_e32 v5, 0
	s_and_saveexec_b64 s[12:13], s[10:11]
.LBB48_353:
	v_lshrrev_b32_e32 v5, 24, v2
	s_movk_i32 s10, 0x80
	v_and_or_b32 v5, v5, s10, v3
.LBB48_354:
	s_or_b64 exec, exec, s[12:13]
.LBB48_355:
	s_or_b64 exec, exec, s[8:9]
	s_mov_b64 s[8:9], 0
	global_store_byte v[0:1], v5, off
.LBB48_356:
	s_and_b64 vcc, exec, s[8:9]
	s_cbranch_vccz .LBB48_366
; %bb.357:
	v_and_b32_e32 v5, 0x7fffffff, v4
	s_mov_b32 s8, 0x43f00000
	v_cmp_gt_u32_e32 vcc, s8, v5
                                        ; implicit-def: $vgpr3
	s_and_saveexec_b64 s[8:9], vcc
	s_xor_b64 s[8:9], exec, s[8:9]
	s_cbranch_execz .LBB48_363
; %bb.358:
	s_mov_b32 s10, 0x3c7fffff
	v_cmp_lt_u32_e32 vcc, s10, v5
                                        ; implicit-def: $vgpr3
	s_and_saveexec_b64 s[10:11], vcc
	s_xor_b64 s[10:11], exec, s[10:11]
; %bb.359:
	v_bfe_u32 v3, v2, 20, 1
	s_mov_b32 s12, 0x407ffff
	v_add3_u32 v3, v2, v3, s12
	v_lshrrev_b32_e32 v5, 20, v3
	v_and_b32_e32 v3, 0xff00000, v3
	s_mov_b32 s12, 0x7f00000
	v_mov_b32_e32 v6, 0x7e
	v_cmp_ne_u32_e32 vcc, s12, v3
	v_cndmask_b32_e32 v3, v6, v5, vcc
; %bb.360:
	s_andn2_saveexec_b64 s[10:11], s[10:11]
; %bb.361:
	s_mov_b32 s12, 0x46800000
	v_add_f32_e64 v3, |v4|, s12
; %bb.362:
	s_or_b64 exec, exec, s[10:11]
                                        ; implicit-def: $vgpr5
.LBB48_363:
	s_andn2_saveexec_b64 s[8:9], s[8:9]
; %bb.364:
	s_mov_b32 s10, 0x7f800000
	v_mov_b32_e32 v3, 0x7e
	v_mov_b32_e32 v6, 0x7f
	v_cmp_lt_u32_e32 vcc, s10, v5
	v_cndmask_b32_e32 v3, v3, v6, vcc
; %bb.365:
	s_or_b64 exec, exec, s[8:9]
	v_lshrrev_b32_e32 v5, 24, v2
	s_movk_i32 s8, 0x80
	v_and_or_b32 v3, v5, s8, v3
	global_store_byte v[0:1], v3, off
.LBB48_366:
	s_mov_b64 s[8:9], 0
.LBB48_367:
	s_andn2_b64 vcc, exec, s[8:9]
	s_cbranch_vccnz .LBB48_377
; %bb.368:
	v_and_b32_e32 v5, 0x7fffffff, v4
	s_mov_b32 s8, 0x47800000
	v_cmp_gt_u32_e32 vcc, s8, v5
                                        ; implicit-def: $vgpr3
	s_and_saveexec_b64 s[8:9], vcc
	s_xor_b64 s[8:9], exec, s[8:9]
	s_cbranch_execz .LBB48_374
; %bb.369:
	s_mov_b32 s10, 0x387fffff
	v_cmp_lt_u32_e32 vcc, s10, v5
                                        ; implicit-def: $vgpr3
	s_and_saveexec_b64 s[10:11], vcc
	s_xor_b64 s[10:11], exec, s[10:11]
; %bb.370:
	v_bfe_u32 v3, v2, 21, 1
	s_mov_b32 s12, 0x80fffff
	v_add3_u32 v3, v2, v3, s12
	v_lshrrev_b32_e32 v3, 21, v3
                                        ; implicit-def: $vgpr4
; %bb.371:
	s_andn2_saveexec_b64 s[10:11], s[10:11]
; %bb.372:
	s_mov_b32 s12, 0x43000000
	v_add_f32_e64 v3, |v4|, s12
; %bb.373:
	s_or_b64 exec, exec, s[10:11]
                                        ; implicit-def: $vgpr5
.LBB48_374:
	s_andn2_saveexec_b64 s[8:9], s[8:9]
; %bb.375:
	s_mov_b32 s10, 0x7f800000
	v_mov_b32_e32 v3, 0x7c
	v_mov_b32_e32 v4, 0x7f
	v_cmp_lt_u32_e32 vcc, s10, v5
	v_cndmask_b32_e32 v3, v3, v4, vcc
; %bb.376:
	s_or_b64 exec, exec, s[8:9]
	v_lshrrev_b32_e32 v4, 24, v2
	s_movk_i32 s8, 0x80
	v_and_or_b32 v3, v4, s8, v3
	global_store_byte v[0:1], v3, off
.LBB48_377:
	s_mov_b64 s[10:11], 0
	s_mov_b64 s[8:9], -1
.LBB48_378:
	s_andn2_b64 vcc, exec, s[10:11]
	s_cbranch_vccnz .LBB48_386
; %bb.379:
	s_cmp_gt_i32 s15, 14
	s_mov_b64 s[10:11], -1
	s_cbranch_scc0 .LBB48_383
; %bb.380:
	s_cmp_eq_u32 s15, 15
	s_mov_b64 s[0:1], -1
	s_cbranch_scc0 .LBB48_382
; %bb.381:
	v_bfe_u32 v3, v2, 16, 1
	s_movk_i32 s0, 0x7fff
	v_add3_u32 v3, v2, v3, s0
	v_cmp_o_f32_e32 vcc, v2, v2
	v_mov_b32_e32 v4, 0x7fc0
	v_cndmask_b32_sdwa v3, v4, v3, vcc dst_sel:DWORD dst_unused:UNUSED_PAD src0_sel:DWORD src1_sel:WORD_1
	global_store_short v[0:1], v3, off
	s_mov_b64 s[8:9], -1
	s_mov_b64 s[0:1], 0
.LBB48_382:
	s_mov_b64 s[10:11], 0
.LBB48_383:
	s_and_b64 vcc, exec, s[10:11]
	s_cbranch_vccz .LBB48_386
; %bb.384:
	s_cmp_eq_u32 s15, 11
	s_mov_b64 s[0:1], -1
	s_cbranch_scc0 .LBB48_386
; %bb.385:
	v_cmp_neq_f32_e32 vcc, 0, v2
	v_cndmask_b32_e64 v3, 0, 1, vcc
	s_mov_b64 s[8:9], -1
	s_mov_b64 s[0:1], 0
	global_store_byte v[0:1], v3, off
.LBB48_386:
	s_mov_b64 s[10:11], 0
.LBB48_387:
	s_and_b64 vcc, exec, s[10:11]
	s_cbranch_vccz .LBB48_426
; %bb.388:
	s_and_b32 s10, 0xffff, s14
	s_cmp_lt_i32 s10, 5
	s_mov_b64 s[8:9], -1
	s_cbranch_scc1 .LBB48_409
; %bb.389:
	s_cmp_lt_i32 s10, 8
	s_cbranch_scc1 .LBB48_399
; %bb.390:
	s_cmp_lt_i32 s10, 9
	s_cbranch_scc1 .LBB48_396
; %bb.391:
	s_cmp_gt_i32 s10, 9
	s_cbranch_scc0 .LBB48_393
; %bb.392:
	v_cvt_f64_f32_e32 v[3:4], v2
	v_mov_b32_e32 v5, 0
	v_mov_b32_e32 v6, v5
	s_mov_b64 s[8:9], 0
	global_store_dwordx4 v[0:1], v[3:6], off
.LBB48_393:
	s_andn2_b64 vcc, exec, s[8:9]
	s_cbranch_vccnz .LBB48_395
; %bb.394:
	v_mov_b32_e32 v3, 0
	global_store_dwordx2 v[0:1], v[2:3], off
.LBB48_395:
	s_mov_b64 s[8:9], 0
.LBB48_396:
	s_andn2_b64 vcc, exec, s[8:9]
	s_cbranch_vccnz .LBB48_398
; %bb.397:
	v_cvt_f16_f32_e32 v3, v2
	global_store_dword v[0:1], v3, off
.LBB48_398:
	s_mov_b64 s[8:9], 0
.LBB48_399:
	s_andn2_b64 vcc, exec, s[8:9]
	s_cbranch_vccnz .LBB48_408
; %bb.400:
	s_cmp_lt_i32 s10, 6
	s_mov_b64 s[8:9], -1
	s_cbranch_scc1 .LBB48_406
; %bb.401:
	s_cmp_gt_i32 s10, 6
	s_cbranch_scc0 .LBB48_403
; %bb.402:
	v_cvt_f64_f32_e32 v[3:4], v2
	s_mov_b64 s[8:9], 0
	global_store_dwordx2 v[0:1], v[3:4], off
.LBB48_403:
	s_andn2_b64 vcc, exec, s[8:9]
	s_cbranch_vccnz .LBB48_405
; %bb.404:
	global_store_dword v[0:1], v2, off
.LBB48_405:
	s_mov_b64 s[8:9], 0
.LBB48_406:
	s_andn2_b64 vcc, exec, s[8:9]
	s_cbranch_vccnz .LBB48_408
; %bb.407:
	v_cvt_f16_f32_e32 v3, v2
	global_store_short v[0:1], v3, off
.LBB48_408:
	s_mov_b64 s[8:9], 0
.LBB48_409:
	s_andn2_b64 vcc, exec, s[8:9]
	s_cbranch_vccnz .LBB48_425
; %bb.410:
	s_cmp_lt_i32 s10, 2
	s_mov_b64 s[8:9], -1
	s_cbranch_scc1 .LBB48_420
; %bb.411:
	s_cmp_lt_i32 s10, 3
	s_cbranch_scc1 .LBB48_417
; %bb.412:
	s_cmp_gt_i32 s10, 3
	s_cbranch_scc0 .LBB48_414
; %bb.413:
	v_trunc_f32_e32 v3, v2
	s_mov_b32 s8, 0x2f800000
	v_mul_f32_e64 v4, |v3|, s8
	v_floor_f32_e32 v4, v4
	s_mov_b32 s8, 0xcf800000
	v_cvt_u32_f32_e32 v5, v4
	v_fma_f32 v4, v4, s8, |v3|
	v_cvt_u32_f32_e32 v4, v4
	v_ashrrev_i32_e32 v6, 31, v3
	v_xor_b32_e32 v5, v5, v6
	s_mov_b64 s[8:9], 0
	v_xor_b32_e32 v3, v4, v6
	v_sub_co_u32_e32 v3, vcc, v3, v6
	v_subb_co_u32_e32 v4, vcc, v5, v6, vcc
	global_store_dwordx2 v[0:1], v[3:4], off
.LBB48_414:
	s_andn2_b64 vcc, exec, s[8:9]
	s_cbranch_vccnz .LBB48_416
; %bb.415:
	v_cvt_i32_f32_e32 v3, v2
	global_store_dword v[0:1], v3, off
.LBB48_416:
	s_mov_b64 s[8:9], 0
.LBB48_417:
	s_andn2_b64 vcc, exec, s[8:9]
	s_cbranch_vccnz .LBB48_419
; %bb.418:
	v_cvt_i32_f32_e32 v3, v2
	global_store_short v[0:1], v3, off
.LBB48_419:
	s_mov_b64 s[8:9], 0
.LBB48_420:
	s_andn2_b64 vcc, exec, s[8:9]
	s_cbranch_vccnz .LBB48_425
; %bb.421:
	s_cmp_gt_i32 s10, 0
	s_mov_b64 s[8:9], -1
	s_cbranch_scc0 .LBB48_423
; %bb.422:
	v_cvt_i32_f32_e32 v3, v2
	s_mov_b64 s[8:9], 0
	global_store_byte v[0:1], v3, off
.LBB48_423:
	s_andn2_b64 vcc, exec, s[8:9]
	s_cbranch_vccnz .LBB48_425
; %bb.424:
	v_trunc_f32_e32 v2, v2
	s_mov_b32 s8, 0x2f800000
	v_mul_f32_e64 v3, |v2|, s8
	v_floor_f32_e32 v3, v3
	s_mov_b32 s8, 0xcf800000
	v_fma_f32 v3, v3, s8, |v2|
	v_cvt_u32_f32_e32 v3, v3
	v_ashrrev_i32_e32 v2, 31, v2
	v_xor_b32_e32 v3, v3, v2
	v_sub_u32_e32 v2, v3, v2
	global_store_byte v[0:1], v2, off
.LBB48_425:
	s_mov_b64 s[8:9], -1
.LBB48_426:
	s_andn2_b64 vcc, exec, s[8:9]
	s_cbranch_vccnz .LBB48_428
; %bb.427:
	v_add_u32_e32 v8, 0x80, v8
	s_mov_b64 s[8:9], -1
	s_branch .LBB48_541
.LBB48_428:
	s_mov_b64 s[8:9], 0
	s_branch .LBB48_540
.LBB48_429:
	s_mov_b64 s[2:3], -1
                                        ; implicit-def: $vgpr3
.LBB48_430:
	s_mov_b64 s[8:9], 0
.LBB48_431:
	s_and_b64 vcc, exec, s[8:9]
	s_cbranch_vccz .LBB48_435
; %bb.432:
	s_cmp_eq_u32 s12, 29
	s_cbranch_scc0 .LBB48_434
; %bb.433:
	global_load_dwordx2 v[3:4], v[1:2], off
	s_mov_b64 s[0:1], -1
	s_mov_b64 s[2:3], 0
	s_mov_b64 s[8:9], 0
	s_waitcnt vmcnt(0)
	v_ffbh_u32_e32 v5, v4
	v_min_u32_e32 v5, 32, v5
	v_lshlrev_b64 v[3:4], v5, v[3:4]
	v_min_u32_e32 v3, 1, v3
	v_or_b32_e32 v3, v4, v3
	v_cvt_f32_u32_e32 v3, v3
	v_sub_u32_e32 v4, 32, v5
	v_ldexp_f32 v3, v3, v4
	s_branch .LBB48_436
.LBB48_434:
	s_mov_b64 s[2:3], -1
                                        ; implicit-def: $vgpr3
.LBB48_435:
	s_mov_b64 s[8:9], 0
.LBB48_436:
	s_and_b64 vcc, exec, s[8:9]
	s_cbranch_vccz .LBB48_454
; %bb.437:
	s_cmp_lt_i32 s12, 27
	s_cbranch_scc1 .LBB48_440
; %bb.438:
	s_cmp_gt_i32 s12, 27
	s_cbranch_scc0 .LBB48_441
; %bb.439:
	global_load_dword v3, v[1:2], off
	s_mov_b64 s[0:1], 0
	s_waitcnt vmcnt(0)
	v_cvt_f32_u32_e32 v3, v3
	s_branch .LBB48_442
.LBB48_440:
	s_mov_b64 s[0:1], -1
                                        ; implicit-def: $vgpr3
	s_branch .LBB48_445
.LBB48_441:
	s_mov_b64 s[0:1], -1
                                        ; implicit-def: $vgpr3
.LBB48_442:
	s_andn2_b64 vcc, exec, s[0:1]
	s_cbranch_vccnz .LBB48_444
; %bb.443:
	global_load_ushort v3, v[1:2], off
	s_waitcnt vmcnt(0)
	v_cvt_f32_u32_e32 v3, v3
.LBB48_444:
	s_mov_b64 s[0:1], 0
.LBB48_445:
	s_andn2_b64 vcc, exec, s[0:1]
	s_cbranch_vccnz .LBB48_453
; %bb.446:
	global_load_ubyte v4, v[1:2], off
	s_movk_i32 s0, 0x7f
	s_waitcnt vmcnt(0)
	v_cmp_lt_i16_e32 vcc, s0, v4
	s_mov_b64 s[0:1], 0
	s_and_saveexec_b64 s[8:9], vcc
	s_xor_b64 s[8:9], exec, s[8:9]
	s_cbranch_execz .LBB48_467
; %bb.447:
	s_movk_i32 s0, 0x80
	v_cmp_eq_u16_e32 vcc, s0, v4
	s_mov_b64 s[0:1], -1
	s_and_saveexec_b64 s[10:11], vcc
; %bb.448:
	s_xor_b64 s[0:1], exec, -1
; %bb.449:
	s_or_b64 exec, exec, s[10:11]
	s_and_b64 s[0:1], s[0:1], exec
	s_or_saveexec_b64 s[8:9], s[8:9]
	v_mov_b32_e32 v3, 0x7f800001
	s_xor_b64 exec, exec, s[8:9]
	s_cbranch_execnz .LBB48_468
.LBB48_450:
	s_or_b64 exec, exec, s[8:9]
	s_and_saveexec_b64 s[8:9], s[0:1]
	s_cbranch_execz .LBB48_452
.LBB48_451:
	v_lshlrev_b32_e32 v3, 24, v4
	v_and_b32_e32 v4, 0xffff, v4
	v_and_b32_e32 v5, 7, v4
	v_ffbh_u32_e32 v7, v5
	v_min_u32_e32 v7, 32, v7
	v_subrev_u32_e32 v9, 28, v7
	v_bfe_u32 v6, v4, 3, 4
	v_lshlrev_b32_e32 v4, v9, v4
	v_sub_u32_e32 v7, 29, v7
	v_and_b32_e32 v4, 7, v4
	v_cmp_eq_u32_e32 vcc, 0, v6
	v_cndmask_b32_e32 v6, v6, v7, vcc
	v_cndmask_b32_e32 v4, v5, v4, vcc
	v_mov_b32_e32 v5, 0x3b800000
	v_lshlrev_b32_e32 v4, 20, v4
	v_and_b32_e32 v3, 0x80000000, v3
	v_lshl_add_u32 v5, v6, 23, v5
	v_or3_b32 v3, v3, v5, v4
.LBB48_452:
	s_or_b64 exec, exec, s[8:9]
.LBB48_453:
	s_mov_b64 s[0:1], -1
.LBB48_454:
	s_mov_b64 s[8:9], 0
.LBB48_455:
	s_and_b64 vcc, exec, s[8:9]
	s_cbranch_vccz .LBB48_490
; %bb.456:
	s_cmp_gt_i32 s12, 22
	s_cbranch_scc0 .LBB48_466
; %bb.457:
	s_cmp_lt_i32 s12, 24
	s_cbranch_scc1 .LBB48_469
; %bb.458:
	s_cmp_gt_i32 s12, 24
	s_cbranch_scc0 .LBB48_470
; %bb.459:
	global_load_ubyte v4, v[1:2], off
	s_movk_i32 s0, 0x7f
	s_waitcnt vmcnt(0)
	v_cmp_lt_i16_e32 vcc, s0, v4
	s_mov_b64 s[0:1], 0
	s_and_saveexec_b64 s[8:9], vcc
	s_xor_b64 s[8:9], exec, s[8:9]
	s_cbranch_execz .LBB48_482
; %bb.460:
	s_movk_i32 s0, 0x80
	v_cmp_eq_u16_e32 vcc, s0, v4
	s_mov_b64 s[0:1], -1
	s_and_saveexec_b64 s[10:11], vcc
; %bb.461:
	s_xor_b64 s[0:1], exec, -1
; %bb.462:
	s_or_b64 exec, exec, s[10:11]
	s_and_b64 s[0:1], s[0:1], exec
	s_or_saveexec_b64 s[8:9], s[8:9]
	v_mov_b32_e32 v3, 0x7f800001
	s_xor_b64 exec, exec, s[8:9]
	s_cbranch_execnz .LBB48_483
.LBB48_463:
	s_or_b64 exec, exec, s[8:9]
	s_and_saveexec_b64 s[8:9], s[0:1]
	s_cbranch_execz .LBB48_465
.LBB48_464:
	v_lshlrev_b32_e32 v3, 24, v4
	v_and_b32_e32 v4, 0xffff, v4
	v_and_b32_e32 v5, 3, v4
	v_ffbh_u32_e32 v7, v5
	v_min_u32_e32 v7, 32, v7
	v_subrev_u32_e32 v9, 29, v7
	v_bfe_u32 v6, v4, 2, 5
	v_lshlrev_b32_e32 v4, v9, v4
	v_sub_u32_e32 v7, 30, v7
	v_and_b32_e32 v4, 3, v4
	v_cmp_eq_u32_e32 vcc, 0, v6
	v_cndmask_b32_e32 v6, v6, v7, vcc
	v_cndmask_b32_e32 v4, v5, v4, vcc
	v_mov_b32_e32 v5, 0x37800000
	v_lshlrev_b32_e32 v4, 21, v4
	v_and_b32_e32 v3, 0x80000000, v3
	v_lshl_add_u32 v5, v6, 23, v5
	v_or3_b32 v3, v3, v5, v4
.LBB48_465:
	s_or_b64 exec, exec, s[8:9]
	s_mov_b64 s[0:1], 0
	s_branch .LBB48_471
.LBB48_466:
	s_mov_b64 s[8:9], -1
                                        ; implicit-def: $vgpr3
	s_branch .LBB48_477
.LBB48_467:
	s_or_saveexec_b64 s[8:9], s[8:9]
	v_mov_b32_e32 v3, 0x7f800001
	s_xor_b64 exec, exec, s[8:9]
	s_cbranch_execz .LBB48_450
.LBB48_468:
	v_cmp_ne_u16_e32 vcc, 0, v4
	s_andn2_b64 s[0:1], s[0:1], exec
	s_and_b64 s[10:11], vcc, exec
	v_mov_b32_e32 v3, 0
	s_or_b64 s[0:1], s[0:1], s[10:11]
	s_or_b64 exec, exec, s[8:9]
	s_and_saveexec_b64 s[8:9], s[0:1]
	s_cbranch_execnz .LBB48_451
	s_branch .LBB48_452
.LBB48_469:
	s_mov_b64 s[0:1], -1
                                        ; implicit-def: $vgpr3
	s_branch .LBB48_474
.LBB48_470:
	s_mov_b64 s[0:1], -1
                                        ; implicit-def: $vgpr3
.LBB48_471:
	s_and_b64 vcc, exec, s[0:1]
	s_cbranch_vccz .LBB48_473
; %bb.472:
	global_load_ubyte v3, v[1:2], off
	s_mov_b32 s0, 0x7f800000
	s_waitcnt vmcnt(0)
	v_lshlrev_b32_e32 v3, 24, v3
	v_and_b32_e32 v4, 0x7f000000, v3
	v_ffbh_u32_e32 v5, v4
	v_min_u32_e32 v5, 32, v5
	v_sub_u32_e64 v5, v5, 4 clamp
	v_lshlrev_b32_e32 v7, v5, v4
	v_lshlrev_b32_e32 v5, 23, v5
	v_lshrrev_b32_e32 v7, 4, v7
	v_add_u32_e32 v6, 0x1000000, v4
	v_sub_u32_e32 v5, v7, v5
	v_ashrrev_i32_e32 v6, 8, v6
	v_add_u32_e32 v5, 0x3c000000, v5
	v_and_or_b32 v5, v6, s0, v5
	v_cmp_ne_u32_e32 vcc, 0, v4
	v_cndmask_b32_e32 v4, 0, v5, vcc
	s_brev_b32 s0, 1
	v_and_or_b32 v3, v3, s0, v4
.LBB48_473:
	s_mov_b64 s[0:1], 0
.LBB48_474:
	s_andn2_b64 vcc, exec, s[0:1]
	s_cbranch_vccnz .LBB48_476
; %bb.475:
	global_load_ubyte v3, v[1:2], off
	s_movk_i32 s0, 0x7f00
	s_brev_b32 s1, 16
	s_waitcnt vmcnt(0)
	v_lshlrev_b16_e32 v4, 8, v3
	v_lshlrev_b32_e32 v3, 25, v3
	v_lshrrev_b32_e32 v5, 4, v3
	v_and_or_b32 v6, v4, s0, 0.5
	v_or_b32_e32 v5, 0x70000000, v5
	v_add_f32_e32 v6, -0.5, v6
	v_mul_f32_e32 v5, 0x7800000, v5
	v_cmp_gt_u32_e32 vcc, s1, v3
	v_bfe_i32 v4, v4, 0, 16
	v_cndmask_b32_e32 v3, v5, v6, vcc
	s_brev_b32 s0, 1
	v_and_or_b32 v3, v4, s0, v3
.LBB48_476:
	s_mov_b64 s[8:9], 0
	s_mov_b64 s[0:1], -1
.LBB48_477:
	s_andn2_b64 vcc, exec, s[8:9]
	s_cbranch_vccnz .LBB48_490
; %bb.478:
	s_cmp_gt_i32 s12, 14
	s_cbranch_scc0 .LBB48_481
; %bb.479:
	s_cmp_eq_u32 s12, 15
	s_cbranch_scc0 .LBB48_484
; %bb.480:
	global_load_ushort v3, v[1:2], off
	s_mov_b64 s[0:1], -1
	s_mov_b64 s[2:3], 0
	s_waitcnt vmcnt(0)
	v_lshlrev_b32_e32 v3, 16, v3
	s_branch .LBB48_485
.LBB48_481:
	s_mov_b64 s[8:9], -1
                                        ; implicit-def: $vgpr3
	s_branch .LBB48_486
.LBB48_482:
	s_or_saveexec_b64 s[8:9], s[8:9]
	v_mov_b32_e32 v3, 0x7f800001
	s_xor_b64 exec, exec, s[8:9]
	s_cbranch_execz .LBB48_463
.LBB48_483:
	v_cmp_ne_u16_e32 vcc, 0, v4
	s_andn2_b64 s[0:1], s[0:1], exec
	s_and_b64 s[10:11], vcc, exec
	v_mov_b32_e32 v3, 0
	s_or_b64 s[0:1], s[0:1], s[10:11]
	s_or_b64 exec, exec, s[8:9]
	s_and_saveexec_b64 s[8:9], s[0:1]
	s_cbranch_execnz .LBB48_464
	s_branch .LBB48_465
.LBB48_484:
	s_mov_b64 s[2:3], -1
                                        ; implicit-def: $vgpr3
.LBB48_485:
	s_mov_b64 s[8:9], 0
.LBB48_486:
	s_and_b64 vcc, exec, s[8:9]
	s_cbranch_vccz .LBB48_490
; %bb.487:
	s_cmp_eq_u32 s12, 11
	s_cbranch_scc0 .LBB48_489
; %bb.488:
	global_load_ubyte v3, v[1:2], off
	s_mov_b64 s[0:1], -1
	s_mov_b64 s[2:3], 0
	s_waitcnt vmcnt(0)
	v_cmp_ne_u16_e32 vcc, 0, v3
	v_cndmask_b32_e64 v3, 0, 1.0, vcc
	s_branch .LBB48_490
.LBB48_489:
	s_mov_b64 s[2:3], -1
                                        ; implicit-def: $vgpr3
.LBB48_490:
	s_branch .LBB48_293
.LBB48_491:
	s_cmp_lt_i32 s12, 5
	s_cbranch_scc1 .LBB48_496
; %bb.492:
	s_cmp_lt_i32 s12, 8
	s_cbranch_scc1 .LBB48_497
; %bb.493:
	;; [unrolled: 3-line block ×3, first 2 shown]
	s_cmp_gt_i32 s12, 9
	s_cbranch_scc0 .LBB48_499
; %bb.495:
	global_load_dwordx2 v[3:4], v[1:2], off
	s_mov_b64 s[0:1], 0
	s_waitcnt vmcnt(0)
	v_cvt_f32_f64_e32 v3, v[3:4]
	s_branch .LBB48_500
.LBB48_496:
	s_mov_b64 s[0:1], -1
                                        ; implicit-def: $vgpr3
	s_branch .LBB48_518
.LBB48_497:
	s_mov_b64 s[0:1], -1
                                        ; implicit-def: $vgpr3
	s_branch .LBB48_506
.LBB48_498:
	s_mov_b64 s[0:1], -1
                                        ; implicit-def: $vgpr3
	s_branch .LBB48_503
.LBB48_499:
	s_mov_b64 s[0:1], -1
                                        ; implicit-def: $vgpr3
.LBB48_500:
	s_andn2_b64 vcc, exec, s[0:1]
	s_cbranch_vccnz .LBB48_502
; %bb.501:
	global_load_dword v3, v[1:2], off
.LBB48_502:
	s_mov_b64 s[0:1], 0
.LBB48_503:
	s_andn2_b64 vcc, exec, s[0:1]
	s_cbranch_vccnz .LBB48_505
; %bb.504:
	global_load_dword v3, v[1:2], off
	s_waitcnt vmcnt(0)
	v_cvt_f32_f16_e32 v3, v3
.LBB48_505:
	s_mov_b64 s[0:1], 0
.LBB48_506:
	s_andn2_b64 vcc, exec, s[0:1]
	s_cbranch_vccnz .LBB48_517
; %bb.507:
	s_cmp_lt_i32 s12, 6
	s_cbranch_scc1 .LBB48_510
; %bb.508:
	s_cmp_gt_i32 s12, 6
	s_cbranch_scc0 .LBB48_511
; %bb.509:
	global_load_dwordx2 v[3:4], v[1:2], off
	s_mov_b64 s[0:1], 0
	s_waitcnt vmcnt(0)
	v_cvt_f32_f64_e32 v3, v[3:4]
	s_branch .LBB48_512
.LBB48_510:
	s_mov_b64 s[0:1], -1
                                        ; implicit-def: $vgpr3
	s_branch .LBB48_515
.LBB48_511:
	s_mov_b64 s[0:1], -1
                                        ; implicit-def: $vgpr3
.LBB48_512:
	s_andn2_b64 vcc, exec, s[0:1]
	s_cbranch_vccnz .LBB48_514
; %bb.513:
	global_load_dword v3, v[1:2], off
.LBB48_514:
	s_mov_b64 s[0:1], 0
.LBB48_515:
	s_andn2_b64 vcc, exec, s[0:1]
	s_cbranch_vccnz .LBB48_517
; %bb.516:
	global_load_ushort v3, v[1:2], off
	s_waitcnt vmcnt(0)
	v_cvt_f32_f16_e32 v3, v3
.LBB48_517:
	s_mov_b64 s[0:1], 0
.LBB48_518:
	s_andn2_b64 vcc, exec, s[0:1]
	s_cbranch_vccnz .LBB48_538
; %bb.519:
	s_cmp_lt_i32 s12, 2
	s_cbranch_scc1 .LBB48_523
; %bb.520:
	s_cmp_lt_i32 s12, 3
	s_cbranch_scc1 .LBB48_524
; %bb.521:
	s_cmp_gt_i32 s12, 3
	s_cbranch_scc0 .LBB48_525
; %bb.522:
	global_load_dwordx2 v[3:4], v[1:2], off
	s_mov_b64 s[0:1], 0
	s_waitcnt vmcnt(0)
	v_xor_b32_e32 v6, v3, v4
	v_ffbh_i32_e32 v5, v4
	v_ashrrev_i32_e32 v6, 31, v6
	v_add_u32_e32 v5, -1, v5
	v_add_u32_e32 v6, 32, v6
	v_min_u32_e32 v5, v5, v6
	v_lshlrev_b64 v[3:4], v5, v[3:4]
	v_min_u32_e32 v3, 1, v3
	v_or_b32_e32 v3, v4, v3
	v_cvt_f32_i32_e32 v3, v3
	v_sub_u32_e32 v4, 32, v5
	v_ldexp_f32 v3, v3, v4
	s_branch .LBB48_526
.LBB48_523:
	s_mov_b64 s[0:1], -1
                                        ; implicit-def: $vgpr3
	s_branch .LBB48_532
.LBB48_524:
	s_mov_b64 s[0:1], -1
                                        ; implicit-def: $vgpr3
	s_branch .LBB48_529
.LBB48_525:
	s_mov_b64 s[0:1], -1
                                        ; implicit-def: $vgpr3
.LBB48_526:
	s_andn2_b64 vcc, exec, s[0:1]
	s_cbranch_vccnz .LBB48_528
; %bb.527:
	global_load_dword v3, v[1:2], off
	s_waitcnt vmcnt(0)
	v_cvt_f32_i32_e32 v3, v3
.LBB48_528:
	s_mov_b64 s[0:1], 0
.LBB48_529:
	s_andn2_b64 vcc, exec, s[0:1]
	s_cbranch_vccnz .LBB48_531
; %bb.530:
	global_load_sshort v3, v[1:2], off
	s_waitcnt vmcnt(0)
	v_cvt_f32_i32_e32 v3, v3
.LBB48_531:
	s_mov_b64 s[0:1], 0
.LBB48_532:
	s_andn2_b64 vcc, exec, s[0:1]
	s_cbranch_vccnz .LBB48_538
; %bb.533:
	s_cmp_gt_i32 s12, 0
	s_cbranch_scc0 .LBB48_535
; %bb.534:
	global_load_sbyte v3, v[1:2], off
	s_mov_b64 s[0:1], 0
	s_waitcnt vmcnt(0)
	v_cvt_f32_i32_e32 v3, v3
	s_branch .LBB48_536
.LBB48_535:
	s_mov_b64 s[0:1], -1
                                        ; implicit-def: $vgpr3
.LBB48_536:
	s_andn2_b64 vcc, exec, s[0:1]
	s_cbranch_vccnz .LBB48_538
; %bb.537:
	global_load_ubyte v1, v[1:2], off
	s_waitcnt vmcnt(0)
	v_cvt_f32_ubyte0_e32 v3, v1
.LBB48_538:
	s_branch .LBB48_294
.LBB48_539:
	s_mov_b64 s[8:9], 0
	s_mov_b64 s[0:1], s[52:53]
.LBB48_540:
                                        ; implicit-def: $vgpr8
.LBB48_541:
	s_andn2_b64 s[10:11], s[52:53], exec
	s_and_b64 s[0:1], s[0:1], exec
	s_or_b64 s[60:61], s[10:11], s[0:1]
	s_andn2_b64 s[0:1], s[54:55], exec
	s_and_b64 s[2:3], s[2:3], exec
	s_or_b64 s[58:59], s[0:1], s[2:3]
	s_orn2_b64 s[0:1], s[8:9], exec
.LBB48_542:
	s_or_b64 exec, exec, s[62:63]
	s_mov_b64 s[2:3], 0
	s_mov_b64 s[8:9], 0
	;; [unrolled: 1-line block ×3, first 2 shown]
                                        ; implicit-def: $vgpr1_vgpr2
                                        ; implicit-def: $vgpr0
                                        ; implicit-def: $vgpr4
	s_and_saveexec_b64 s[62:63], s[0:1]
	s_cbranch_execz .LBB48_917
; %bb.543:
	v_cmp_gt_i32_e32 vcc, s70, v8
	s_mov_b64 s[2:3], -1
	s_mov_b64 s[66:67], s[58:59]
	s_mov_b64 s[68:69], s[60:61]
	s_and_saveexec_b64 s[64:65], vcc
	s_cbranch_execz .LBB48_817
; %bb.544:
	s_andn2_b64 vcc, exec, s[40:41]
	s_cbranch_vccnz .LBB48_549
; %bb.545:
	s_andn2_b64 vcc, exec, s[50:51]
	s_cbranch_vccnz .LBB48_550
; %bb.546:
	s_add_i32 s76, s75, 1
	s_cmp_eq_u32 s72, 2
	s_cbranch_scc1 .LBB48_551
; %bb.547:
	s_and_b32 s71, s76, 28
	v_mov_b32_e32 v2, 0
	s_mov_b32 s77, 0
	s_mov_b64 s[66:67], s[34:35]
	s_mov_b64 s[68:69], s[48:49]
	v_mov_b32_e32 v0, 0
	v_mov_b32_e32 v1, v8
.LBB48_548:                             ; =>This Inner Loop Header: Depth=1
	s_load_dwordx8 s[16:23], s[66:67], 0x4
	s_load_dwordx4 s[0:3], s[66:67], 0x24
	s_load_dwordx8 s[8:15], s[68:69], 0x0
	s_add_u32 s66, s66, 48
	s_addc_u32 s67, s67, 0
	s_waitcnt vmcnt(0) lgkmcnt(0)
	v_mul_hi_u32 v3, s17, v1
	s_add_i32 s77, s77, 4
	s_add_u32 s68, s68, 32
	s_addc_u32 s69, s69, 0
	v_add_u32_e32 v3, v1, v3
	v_lshrrev_b32_e32 v3, s18, v3
	v_mul_lo_u32 v4, v3, s16
	v_mul_hi_u32 v5, s20, v3
	s_cmp_eq_u32 s71, s77
	v_sub_u32_e32 v1, v1, v4
	v_add_u32_e32 v4, v3, v5
	v_mul_lo_u32 v5, v1, s8
	v_mul_lo_u32 v6, v1, s9
	v_lshrrev_b32_e32 v1, s21, v4
	v_mul_lo_u32 v4, v1, s19
	v_mul_hi_u32 v7, s23, v1
	v_sub_u32_e32 v3, v3, v4
	v_add_u32_e32 v4, v1, v7
	v_lshrrev_b32_e32 v4, s0, v4
	v_mul_hi_u32 v9, s2, v4
	v_mul_lo_u32 v10, v4, s22
	v_mul_lo_u32 v7, v3, s10
	;; [unrolled: 1-line block ×3, first 2 shown]
	v_sub_u32_e32 v10, v1, v10
	v_add_u32_e32 v1, v4, v9
	v_lshrrev_b32_e32 v1, s3, v1
	v_mul_lo_u32 v9, v1, s1
	v_mul_lo_u32 v11, v10, s12
	;; [unrolled: 1-line block ×3, first 2 shown]
	v_add3_u32 v0, v5, v0, v7
	v_sub_u32_e32 v4, v4, v9
	v_mul_lo_u32 v9, v4, s14
	v_mul_lo_u32 v4, v4, s15
	v_add3_u32 v2, v6, v2, v3
	v_add3_u32 v0, v11, v0, v9
	;; [unrolled: 1-line block ×3, first 2 shown]
	s_cbranch_scc0 .LBB48_548
	s_branch .LBB48_552
.LBB48_549:
	s_mov_b64 s[0:1], -1
                                        ; implicit-def: $vgpr0
                                        ; implicit-def: $vgpr2
	s_branch .LBB48_556
.LBB48_550:
	v_mov_b32_e32 v0, 0
	v_mov_b32_e32 v2, 0
	s_branch .LBB48_555
.LBB48_551:
	s_mov_b32 s71, 0
	v_mov_b32_e32 v0, 0
	v_mov_b32_e32 v2, 0
	;; [unrolled: 1-line block ×3, first 2 shown]
.LBB48_552:
	s_and_b32 s8, s76, 3
	s_cmp_eq_u32 s8, 0
	s_cbranch_scc1 .LBB48_555
; %bb.553:
	s_lshl_b32 s0, s71, 3
	s_add_u32 s0, s34, s0
	s_addc_u32 s1, s35, 0
	s_add_u32 s0, s0, 0xc4
	s_addc_u32 s1, s1, 0
	s_mul_i32 s2, s71, 12
	s_add_u32 s2, s34, s2
	s_addc_u32 s3, s35, 0
.LBB48_554:                             ; =>This Inner Loop Header: Depth=1
	s_load_dwordx2 s[10:11], s[2:3], 0x4
	s_load_dword s9, s[2:3], 0xc
	s_load_dwordx2 s[12:13], s[0:1], 0x0
	s_add_u32 s2, s2, 12
	s_addc_u32 s3, s3, 0
	s_waitcnt vmcnt(0) lgkmcnt(0)
	v_mul_hi_u32 v3, s11, v1
	s_add_u32 s0, s0, 8
	s_addc_u32 s1, s1, 0
	s_add_i32 s8, s8, -1
	v_add_u32_e32 v3, v1, v3
	v_lshrrev_b32_e32 v4, s9, v3
	v_mul_lo_u32 v3, v4, s10
	s_cmp_lg_u32 s8, 0
	v_sub_u32_e32 v3, v1, v3
	v_mad_u64_u32 v[0:1], s[10:11], v3, s12, v[0:1]
	v_mad_u64_u32 v[2:3], s[10:11], v3, s13, v[2:3]
	v_mov_b32_e32 v1, v4
	s_cbranch_scc1 .LBB48_554
.LBB48_555:
	s_mov_b64 s[0:1], 0
.LBB48_556:
	s_andn2_b64 vcc, exec, s[0:1]
	s_cbranch_vccnz .LBB48_559
; %bb.557:
	s_waitcnt lgkmcnt(0)
	v_mul_hi_u32 v0, s37, v8
	s_andn2_b64 vcc, exec, s[46:47]
	v_add_u32_e32 v0, v8, v0
	v_lshrrev_b32_e32 v1, s38, v0
	v_mul_lo_u32 v0, v1, s36
	v_sub_u32_e32 v2, v8, v0
	v_mul_lo_u32 v0, v2, s28
	v_mul_lo_u32 v2, v2, s29
	s_cbranch_vccnz .LBB48_559
; %bb.558:
	s_waitcnt vmcnt(0)
	v_mul_hi_u32 v3, s44, v1
	v_add_u32_e32 v3, v1, v3
	v_lshrrev_b32_e32 v3, s45, v3
	v_mul_lo_u32 v3, v3, s39
	v_sub_u32_e32 v3, v1, v3
	v_mad_u64_u32 v[0:1], s[0:1], v3, s30, v[0:1]
	v_mad_u64_u32 v[2:3], s[0:1], v3, s31, v[2:3]
.LBB48_559:
	s_waitcnt vmcnt(0) lgkmcnt(0)
	v_mov_b32_e32 v3, s27
	s_and_b32 s12, 0xffff, s74
	v_add_co_u32_e32 v1, vcc, s26, v2
	s_cmp_lt_i32 s12, 11
	v_addc_co_u32_e32 v2, vcc, 0, v3, vcc
	s_cbranch_scc1 .LBB48_566
; %bb.560:
	s_cmp_gt_i32 s12, 25
	s_cbranch_scc0 .LBB48_567
; %bb.561:
	s_cmp_gt_i32 s12, 28
	s_cbranch_scc0 .LBB48_568
	;; [unrolled: 3-line block ×4, first 2 shown]
; %bb.564:
	s_cmp_eq_u32 s12, 46
	s_mov_b64 s[8:9], 0
	s_cbranch_scc0 .LBB48_575
; %bb.565:
	global_load_dword v3, v[1:2], off
	s_mov_b64 s[0:1], -1
	s_mov_b64 s[2:3], 0
	s_waitcnt vmcnt(0)
	v_lshlrev_b32_e32 v3, 16, v3
	s_branch .LBB48_576
.LBB48_566:
	s_mov_b64 s[8:9], -1
	s_mov_b64 s[0:1], 0
                                        ; implicit-def: $vgpr3
	s_mov_b64 s[2:3], s[58:59]
	s_branch .LBB48_641
.LBB48_567:
	s_mov_b64 s[8:9], -1
	s_mov_b64 s[0:1], 0
	s_mov_b64 s[2:3], s[58:59]
                                        ; implicit-def: $vgpr3
	s_branch .LBB48_605
.LBB48_568:
	s_mov_b64 s[8:9], -1
	s_mov_b64 s[0:1], 0
	s_mov_b64 s[2:3], s[58:59]
                                        ; implicit-def: $vgpr3
	s_branch .LBB48_586
.LBB48_569:
	s_mov_b64 s[8:9], -1
	s_mov_b64 s[0:1], 0
	s_mov_b64 s[2:3], s[58:59]
                                        ; implicit-def: $vgpr3
	s_branch .LBB48_581
.LBB48_570:
	s_andn2_saveexec_b64 s[12:13], s[12:13]
	s_cbranch_execz .LBB48_339
.LBB48_571:
	s_mov_b32 s16, 0x46000000
	v_add_f32_e64 v3, |v4|, s16
	v_and_b32_e32 v3, 0xff, v3
	v_cmp_ne_u32_e32 vcc, 0, v3
	s_andn2_b64 s[10:11], s[10:11], exec
	s_and_b64 s[16:17], vcc, exec
	s_or_b64 s[10:11], s[10:11], s[16:17]
	s_or_b64 exec, exec, s[12:13]
	v_mov_b32_e32 v5, 0
	s_and_saveexec_b64 s[12:13], s[10:11]
	s_cbranch_execnz .LBB48_340
	s_branch .LBB48_341
.LBB48_572:
	s_mov_b64 s[8:9], -1
	s_mov_b64 s[0:1], 0
	s_mov_b64 s[2:3], s[58:59]
                                        ; implicit-def: $vgpr3
	s_branch .LBB48_576
.LBB48_573:
	s_andn2_saveexec_b64 s[12:13], s[12:13]
	s_cbranch_execz .LBB48_352
.LBB48_574:
	s_mov_b32 s16, 0x42800000
	v_add_f32_e64 v3, |v4|, s16
	v_and_b32_e32 v3, 0xff, v3
	v_cmp_ne_u32_e32 vcc, 0, v3
	s_andn2_b64 s[10:11], s[10:11], exec
	s_and_b64 s[16:17], vcc, exec
	s_or_b64 s[10:11], s[10:11], s[16:17]
	s_or_b64 exec, exec, s[12:13]
	v_mov_b32_e32 v5, 0
	s_and_saveexec_b64 s[12:13], s[10:11]
	s_cbranch_execnz .LBB48_353
	s_branch .LBB48_354
.LBB48_575:
	s_mov_b64 s[2:3], -1
                                        ; implicit-def: $vgpr3
	s_mov_b64 s[0:1], 0
.LBB48_576:
	s_and_b64 vcc, exec, s[8:9]
	s_cbranch_vccz .LBB48_580
; %bb.577:
	s_cmp_eq_u32 s12, 44
	s_cbranch_scc0 .LBB48_579
; %bb.578:
	global_load_ubyte v3, v[1:2], off
	s_movk_i32 s2, 0xff
	v_mov_b32_e32 v4, 0x7f800001
	v_mov_b32_e32 v5, 0x400000
	s_mov_b64 s[0:1], -1
	s_waitcnt vmcnt(0)
	v_lshlrev_b32_e32 v6, 23, v3
	v_cmp_ne_u32_e32 vcc, s2, v3
	v_cndmask_b32_e32 v4, v4, v6, vcc
	v_cmp_ne_u32_e32 vcc, 0, v3
	v_cndmask_b32_e32 v3, v5, v4, vcc
	s_mov_b64 s[2:3], 0
	s_branch .LBB48_580
.LBB48_579:
	s_mov_b64 s[2:3], -1
                                        ; implicit-def: $vgpr3
.LBB48_580:
	s_mov_b64 s[8:9], 0
.LBB48_581:
	s_and_b64 vcc, exec, s[8:9]
	s_cbranch_vccz .LBB48_585
; %bb.582:
	s_cmp_eq_u32 s12, 29
	s_cbranch_scc0 .LBB48_584
; %bb.583:
	global_load_dwordx2 v[3:4], v[1:2], off
	s_mov_b64 s[0:1], -1
	s_mov_b64 s[2:3], 0
	s_mov_b64 s[8:9], 0
	s_waitcnt vmcnt(0)
	v_ffbh_u32_e32 v5, v4
	v_min_u32_e32 v5, 32, v5
	v_lshlrev_b64 v[3:4], v5, v[3:4]
	v_min_u32_e32 v3, 1, v3
	v_or_b32_e32 v3, v4, v3
	v_cvt_f32_u32_e32 v3, v3
	v_sub_u32_e32 v4, 32, v5
	v_ldexp_f32 v3, v3, v4
	s_branch .LBB48_586
.LBB48_584:
	s_mov_b64 s[2:3], -1
                                        ; implicit-def: $vgpr3
.LBB48_585:
	s_mov_b64 s[8:9], 0
.LBB48_586:
	s_and_b64 vcc, exec, s[8:9]
	s_cbranch_vccz .LBB48_604
; %bb.587:
	s_cmp_lt_i32 s12, 27
	s_cbranch_scc1 .LBB48_590
; %bb.588:
	s_cmp_gt_i32 s12, 27
	s_cbranch_scc0 .LBB48_591
; %bb.589:
	global_load_dword v3, v[1:2], off
	s_mov_b64 s[0:1], 0
	s_waitcnt vmcnt(0)
	v_cvt_f32_u32_e32 v3, v3
	s_branch .LBB48_592
.LBB48_590:
	s_mov_b64 s[0:1], -1
                                        ; implicit-def: $vgpr3
	s_branch .LBB48_595
.LBB48_591:
	s_mov_b64 s[0:1], -1
                                        ; implicit-def: $vgpr3
.LBB48_592:
	s_andn2_b64 vcc, exec, s[0:1]
	s_cbranch_vccnz .LBB48_594
; %bb.593:
	global_load_ushort v3, v[1:2], off
	s_waitcnt vmcnt(0)
	v_cvt_f32_u32_e32 v3, v3
.LBB48_594:
	s_mov_b64 s[0:1], 0
.LBB48_595:
	s_andn2_b64 vcc, exec, s[0:1]
	s_cbranch_vccnz .LBB48_603
; %bb.596:
	global_load_ubyte v4, v[1:2], off
	s_movk_i32 s0, 0x7f
	s_waitcnt vmcnt(0)
	v_cmp_lt_i16_e32 vcc, s0, v4
	s_mov_b64 s[0:1], 0
	s_and_saveexec_b64 s[8:9], vcc
	s_xor_b64 s[8:9], exec, s[8:9]
	s_cbranch_execz .LBB48_617
; %bb.597:
	s_movk_i32 s0, 0x80
	v_cmp_eq_u16_e32 vcc, s0, v4
	s_mov_b64 s[0:1], -1
	s_and_saveexec_b64 s[10:11], vcc
; %bb.598:
	s_xor_b64 s[0:1], exec, -1
; %bb.599:
	s_or_b64 exec, exec, s[10:11]
	s_and_b64 s[0:1], s[0:1], exec
	s_or_saveexec_b64 s[8:9], s[8:9]
	v_mov_b32_e32 v3, 0x7f800001
	s_xor_b64 exec, exec, s[8:9]
	s_cbranch_execnz .LBB48_618
.LBB48_600:
	s_or_b64 exec, exec, s[8:9]
	s_and_saveexec_b64 s[8:9], s[0:1]
	s_cbranch_execz .LBB48_602
.LBB48_601:
	v_lshlrev_b32_e32 v3, 24, v4
	v_and_b32_e32 v4, 0xffff, v4
	v_and_b32_e32 v5, 7, v4
	v_ffbh_u32_e32 v7, v5
	v_min_u32_e32 v7, 32, v7
	v_subrev_u32_e32 v9, 28, v7
	v_bfe_u32 v6, v4, 3, 4
	v_lshlrev_b32_e32 v4, v9, v4
	v_sub_u32_e32 v7, 29, v7
	v_and_b32_e32 v4, 7, v4
	v_cmp_eq_u32_e32 vcc, 0, v6
	v_cndmask_b32_e32 v6, v6, v7, vcc
	v_cndmask_b32_e32 v4, v5, v4, vcc
	v_mov_b32_e32 v5, 0x3b800000
	v_lshlrev_b32_e32 v4, 20, v4
	v_and_b32_e32 v3, 0x80000000, v3
	v_lshl_add_u32 v5, v6, 23, v5
	v_or3_b32 v3, v3, v5, v4
.LBB48_602:
	s_or_b64 exec, exec, s[8:9]
.LBB48_603:
	s_mov_b64 s[0:1], -1
.LBB48_604:
	s_mov_b64 s[8:9], 0
.LBB48_605:
	s_and_b64 vcc, exec, s[8:9]
	s_cbranch_vccz .LBB48_640
; %bb.606:
	s_cmp_gt_i32 s12, 22
	s_cbranch_scc0 .LBB48_616
; %bb.607:
	s_cmp_lt_i32 s12, 24
	s_cbranch_scc1 .LBB48_619
; %bb.608:
	s_cmp_gt_i32 s12, 24
	s_cbranch_scc0 .LBB48_620
; %bb.609:
	global_load_ubyte v4, v[1:2], off
	s_movk_i32 s0, 0x7f
	s_waitcnt vmcnt(0)
	v_cmp_lt_i16_e32 vcc, s0, v4
	s_mov_b64 s[0:1], 0
	s_and_saveexec_b64 s[8:9], vcc
	s_xor_b64 s[8:9], exec, s[8:9]
	s_cbranch_execz .LBB48_632
; %bb.610:
	s_movk_i32 s0, 0x80
	v_cmp_eq_u16_e32 vcc, s0, v4
	s_mov_b64 s[0:1], -1
	s_and_saveexec_b64 s[10:11], vcc
; %bb.611:
	s_xor_b64 s[0:1], exec, -1
; %bb.612:
	s_or_b64 exec, exec, s[10:11]
	s_and_b64 s[0:1], s[0:1], exec
	s_or_saveexec_b64 s[8:9], s[8:9]
	v_mov_b32_e32 v3, 0x7f800001
	s_xor_b64 exec, exec, s[8:9]
	s_cbranch_execnz .LBB48_633
.LBB48_613:
	s_or_b64 exec, exec, s[8:9]
	s_and_saveexec_b64 s[8:9], s[0:1]
	s_cbranch_execz .LBB48_615
.LBB48_614:
	v_lshlrev_b32_e32 v3, 24, v4
	v_and_b32_e32 v4, 0xffff, v4
	v_and_b32_e32 v5, 3, v4
	v_ffbh_u32_e32 v7, v5
	v_min_u32_e32 v7, 32, v7
	v_subrev_u32_e32 v9, 29, v7
	v_bfe_u32 v6, v4, 2, 5
	v_lshlrev_b32_e32 v4, v9, v4
	v_sub_u32_e32 v7, 30, v7
	v_and_b32_e32 v4, 3, v4
	v_cmp_eq_u32_e32 vcc, 0, v6
	v_cndmask_b32_e32 v6, v6, v7, vcc
	v_cndmask_b32_e32 v4, v5, v4, vcc
	v_mov_b32_e32 v5, 0x37800000
	v_lshlrev_b32_e32 v4, 21, v4
	v_and_b32_e32 v3, 0x80000000, v3
	v_lshl_add_u32 v5, v6, 23, v5
	v_or3_b32 v3, v3, v5, v4
.LBB48_615:
	s_or_b64 exec, exec, s[8:9]
	s_mov_b64 s[0:1], 0
	s_branch .LBB48_621
.LBB48_616:
	s_mov_b64 s[8:9], -1
                                        ; implicit-def: $vgpr3
	s_branch .LBB48_627
.LBB48_617:
	s_or_saveexec_b64 s[8:9], s[8:9]
	v_mov_b32_e32 v3, 0x7f800001
	s_xor_b64 exec, exec, s[8:9]
	s_cbranch_execz .LBB48_600
.LBB48_618:
	v_cmp_ne_u16_e32 vcc, 0, v4
	s_andn2_b64 s[0:1], s[0:1], exec
	s_and_b64 s[10:11], vcc, exec
	v_mov_b32_e32 v3, 0
	s_or_b64 s[0:1], s[0:1], s[10:11]
	s_or_b64 exec, exec, s[8:9]
	s_and_saveexec_b64 s[8:9], s[0:1]
	s_cbranch_execnz .LBB48_601
	s_branch .LBB48_602
.LBB48_619:
	s_mov_b64 s[0:1], -1
                                        ; implicit-def: $vgpr3
	s_branch .LBB48_624
.LBB48_620:
	s_mov_b64 s[0:1], -1
                                        ; implicit-def: $vgpr3
.LBB48_621:
	s_and_b64 vcc, exec, s[0:1]
	s_cbranch_vccz .LBB48_623
; %bb.622:
	global_load_ubyte v3, v[1:2], off
	s_mov_b32 s0, 0x7f800000
	s_waitcnt vmcnt(0)
	v_lshlrev_b32_e32 v3, 24, v3
	v_and_b32_e32 v4, 0x7f000000, v3
	v_ffbh_u32_e32 v5, v4
	v_min_u32_e32 v5, 32, v5
	v_sub_u32_e64 v5, v5, 4 clamp
	v_lshlrev_b32_e32 v7, v5, v4
	v_lshlrev_b32_e32 v5, 23, v5
	v_lshrrev_b32_e32 v7, 4, v7
	v_add_u32_e32 v6, 0x1000000, v4
	v_sub_u32_e32 v5, v7, v5
	v_ashrrev_i32_e32 v6, 8, v6
	v_add_u32_e32 v5, 0x3c000000, v5
	v_and_or_b32 v5, v6, s0, v5
	v_cmp_ne_u32_e32 vcc, 0, v4
	v_cndmask_b32_e32 v4, 0, v5, vcc
	s_brev_b32 s0, 1
	v_and_or_b32 v3, v3, s0, v4
.LBB48_623:
	s_mov_b64 s[0:1], 0
.LBB48_624:
	s_andn2_b64 vcc, exec, s[0:1]
	s_cbranch_vccnz .LBB48_626
; %bb.625:
	global_load_ubyte v3, v[1:2], off
	s_movk_i32 s0, 0x7f00
	s_brev_b32 s1, 16
	s_waitcnt vmcnt(0)
	v_lshlrev_b16_e32 v4, 8, v3
	v_lshlrev_b32_e32 v3, 25, v3
	v_lshrrev_b32_e32 v5, 4, v3
	v_and_or_b32 v6, v4, s0, 0.5
	v_or_b32_e32 v5, 0x70000000, v5
	v_add_f32_e32 v6, -0.5, v6
	v_mul_f32_e32 v5, 0x7800000, v5
	v_cmp_gt_u32_e32 vcc, s1, v3
	v_bfe_i32 v4, v4, 0, 16
	v_cndmask_b32_e32 v3, v5, v6, vcc
	s_brev_b32 s0, 1
	v_and_or_b32 v3, v4, s0, v3
.LBB48_626:
	s_mov_b64 s[8:9], 0
	s_mov_b64 s[0:1], -1
.LBB48_627:
	s_andn2_b64 vcc, exec, s[8:9]
	s_cbranch_vccnz .LBB48_640
; %bb.628:
	s_cmp_gt_i32 s12, 14
	s_cbranch_scc0 .LBB48_631
; %bb.629:
	s_cmp_eq_u32 s12, 15
	s_cbranch_scc0 .LBB48_634
; %bb.630:
	global_load_ushort v3, v[1:2], off
	s_mov_b64 s[0:1], -1
	s_mov_b64 s[2:3], 0
	s_waitcnt vmcnt(0)
	v_lshlrev_b32_e32 v3, 16, v3
	s_branch .LBB48_635
.LBB48_631:
	s_mov_b64 s[8:9], -1
                                        ; implicit-def: $vgpr3
	s_branch .LBB48_636
.LBB48_632:
	s_or_saveexec_b64 s[8:9], s[8:9]
	v_mov_b32_e32 v3, 0x7f800001
	s_xor_b64 exec, exec, s[8:9]
	s_cbranch_execz .LBB48_613
.LBB48_633:
	v_cmp_ne_u16_e32 vcc, 0, v4
	s_andn2_b64 s[0:1], s[0:1], exec
	s_and_b64 s[10:11], vcc, exec
	v_mov_b32_e32 v3, 0
	s_or_b64 s[0:1], s[0:1], s[10:11]
	s_or_b64 exec, exec, s[8:9]
	s_and_saveexec_b64 s[8:9], s[0:1]
	s_cbranch_execnz .LBB48_614
	s_branch .LBB48_615
.LBB48_634:
	s_mov_b64 s[2:3], -1
                                        ; implicit-def: $vgpr3
.LBB48_635:
	s_mov_b64 s[8:9], 0
.LBB48_636:
	s_and_b64 vcc, exec, s[8:9]
	s_cbranch_vccz .LBB48_640
; %bb.637:
	s_cmp_eq_u32 s12, 11
	s_cbranch_scc0 .LBB48_639
; %bb.638:
	global_load_ubyte v3, v[1:2], off
	s_mov_b64 s[0:1], -1
	s_mov_b64 s[2:3], 0
	s_waitcnt vmcnt(0)
	v_cmp_ne_u16_e32 vcc, 0, v3
	v_cndmask_b32_e64 v3, 0, 1.0, vcc
	s_branch .LBB48_640
.LBB48_639:
	s_mov_b64 s[2:3], -1
                                        ; implicit-def: $vgpr3
.LBB48_640:
	s_mov_b64 s[8:9], 0
.LBB48_641:
	s_and_b64 vcc, exec, s[8:9]
	s_cbranch_vccz .LBB48_690
; %bb.642:
	s_cmp_lt_i32 s12, 5
	s_cbranch_scc1 .LBB48_647
; %bb.643:
	s_cmp_lt_i32 s12, 8
	s_cbranch_scc1 .LBB48_648
	;; [unrolled: 3-line block ×3, first 2 shown]
; %bb.645:
	s_cmp_gt_i32 s12, 9
	s_cbranch_scc0 .LBB48_650
; %bb.646:
	global_load_dwordx2 v[3:4], v[1:2], off
	s_mov_b64 s[0:1], 0
	s_waitcnt vmcnt(0)
	v_cvt_f32_f64_e32 v3, v[3:4]
	s_branch .LBB48_651
.LBB48_647:
	s_mov_b64 s[0:1], -1
                                        ; implicit-def: $vgpr3
	s_branch .LBB48_669
.LBB48_648:
	s_mov_b64 s[0:1], -1
                                        ; implicit-def: $vgpr3
	s_branch .LBB48_657
.LBB48_649:
	s_mov_b64 s[0:1], -1
                                        ; implicit-def: $vgpr3
	s_branch .LBB48_654
.LBB48_650:
	s_mov_b64 s[0:1], -1
                                        ; implicit-def: $vgpr3
.LBB48_651:
	s_andn2_b64 vcc, exec, s[0:1]
	s_cbranch_vccnz .LBB48_653
; %bb.652:
	global_load_dword v3, v[1:2], off
.LBB48_653:
	s_mov_b64 s[0:1], 0
.LBB48_654:
	s_andn2_b64 vcc, exec, s[0:1]
	s_cbranch_vccnz .LBB48_656
; %bb.655:
	global_load_dword v3, v[1:2], off
	s_waitcnt vmcnt(0)
	v_cvt_f32_f16_e32 v3, v3
.LBB48_656:
	s_mov_b64 s[0:1], 0
.LBB48_657:
	s_andn2_b64 vcc, exec, s[0:1]
	s_cbranch_vccnz .LBB48_668
; %bb.658:
	s_cmp_lt_i32 s12, 6
	s_cbranch_scc1 .LBB48_661
; %bb.659:
	s_cmp_gt_i32 s12, 6
	s_cbranch_scc0 .LBB48_662
; %bb.660:
	global_load_dwordx2 v[3:4], v[1:2], off
	s_mov_b64 s[0:1], 0
	s_waitcnt vmcnt(0)
	v_cvt_f32_f64_e32 v3, v[3:4]
	s_branch .LBB48_663
.LBB48_661:
	s_mov_b64 s[0:1], -1
                                        ; implicit-def: $vgpr3
	s_branch .LBB48_666
.LBB48_662:
	s_mov_b64 s[0:1], -1
                                        ; implicit-def: $vgpr3
.LBB48_663:
	s_andn2_b64 vcc, exec, s[0:1]
	s_cbranch_vccnz .LBB48_665
; %bb.664:
	global_load_dword v3, v[1:2], off
.LBB48_665:
	s_mov_b64 s[0:1], 0
.LBB48_666:
	s_andn2_b64 vcc, exec, s[0:1]
	s_cbranch_vccnz .LBB48_668
; %bb.667:
	global_load_ushort v3, v[1:2], off
	s_waitcnt vmcnt(0)
	v_cvt_f32_f16_e32 v3, v3
.LBB48_668:
	s_mov_b64 s[0:1], 0
.LBB48_669:
	s_andn2_b64 vcc, exec, s[0:1]
	s_cbranch_vccnz .LBB48_689
; %bb.670:
	s_cmp_lt_i32 s12, 2
	s_cbranch_scc1 .LBB48_674
; %bb.671:
	s_cmp_lt_i32 s12, 3
	s_cbranch_scc1 .LBB48_675
; %bb.672:
	s_cmp_gt_i32 s12, 3
	s_cbranch_scc0 .LBB48_676
; %bb.673:
	global_load_dwordx2 v[3:4], v[1:2], off
	s_mov_b64 s[0:1], 0
	s_waitcnt vmcnt(0)
	v_xor_b32_e32 v6, v3, v4
	v_ffbh_i32_e32 v5, v4
	v_ashrrev_i32_e32 v6, 31, v6
	v_add_u32_e32 v5, -1, v5
	v_add_u32_e32 v6, 32, v6
	v_min_u32_e32 v5, v5, v6
	v_lshlrev_b64 v[3:4], v5, v[3:4]
	v_min_u32_e32 v3, 1, v3
	v_or_b32_e32 v3, v4, v3
	v_cvt_f32_i32_e32 v3, v3
	v_sub_u32_e32 v4, 32, v5
	v_ldexp_f32 v3, v3, v4
	s_branch .LBB48_677
.LBB48_674:
	s_mov_b64 s[0:1], -1
                                        ; implicit-def: $vgpr3
	s_branch .LBB48_683
.LBB48_675:
	s_mov_b64 s[0:1], -1
                                        ; implicit-def: $vgpr3
	s_branch .LBB48_680
.LBB48_676:
	s_mov_b64 s[0:1], -1
                                        ; implicit-def: $vgpr3
.LBB48_677:
	s_andn2_b64 vcc, exec, s[0:1]
	s_cbranch_vccnz .LBB48_679
; %bb.678:
	global_load_dword v3, v[1:2], off
	s_waitcnt vmcnt(0)
	v_cvt_f32_i32_e32 v3, v3
.LBB48_679:
	s_mov_b64 s[0:1], 0
.LBB48_680:
	s_andn2_b64 vcc, exec, s[0:1]
	s_cbranch_vccnz .LBB48_682
; %bb.681:
	global_load_sshort v3, v[1:2], off
	s_waitcnt vmcnt(0)
	v_cvt_f32_i32_e32 v3, v3
.LBB48_682:
	s_mov_b64 s[0:1], 0
.LBB48_683:
	s_andn2_b64 vcc, exec, s[0:1]
	s_cbranch_vccnz .LBB48_689
; %bb.684:
	s_cmp_gt_i32 s12, 0
	s_cbranch_scc0 .LBB48_686
; %bb.685:
	global_load_sbyte v3, v[1:2], off
	s_mov_b64 s[0:1], 0
	s_waitcnt vmcnt(0)
	v_cvt_f32_i32_e32 v3, v3
	s_branch .LBB48_687
.LBB48_686:
	s_mov_b64 s[0:1], -1
                                        ; implicit-def: $vgpr3
.LBB48_687:
	s_andn2_b64 vcc, exec, s[0:1]
	s_cbranch_vccnz .LBB48_689
; %bb.688:
	global_load_ubyte v1, v[1:2], off
	s_waitcnt vmcnt(0)
	v_cvt_f32_ubyte0_e32 v3, v1
.LBB48_689:
	s_mov_b64 s[0:1], -1
.LBB48_690:
	s_andn2_b64 vcc, exec, s[0:1]
	s_cbranch_vccnz .LBB48_698
; %bb.691:
	s_waitcnt vmcnt(0)
	v_fma_f32 v1, |v3|, -0.5, 0.5
	v_mul_f32_e32 v2, v3, v3
	v_cmp_ge_f32_e64 vcc, |v3|, 0.5
	v_cndmask_b32_e32 v1, v2, v1, vcc
	v_mov_b32_e32 v2, 0x3c5fc5da
	v_fmac_f32_e32 v2, 0x3d1c21a7, v1
	v_mov_b32_e32 v4, 0x3d034c3c
	v_fmac_f32_e32 v4, v1, v2
	;; [unrolled: 2-line block ×4, first 2 shown]
	v_sqrt_f32_e32 v2, v1
	v_mov_b32_e32 v5, 0x3e2aaaac
	v_fmac_f32_e32 v5, v1, v4
	v_mul_f32_e32 v1, v1, v5
	v_fmac_f32_e32 v2, v2, v1
	v_add_f32_e32 v2, v2, v2
	v_sub_f32_e32 v2, 0x3fc90fdb, v2
	v_fma_f32 v1, |v3|, v1, |v3|
	v_cmp_lt_f32_e64 vcc, |v3|, 0.5
	v_cndmask_b32_e32 v4, v2, v1, vcc
	s_brev_b32 s0, -2
	v_mov_b32_e32 v1, s25
	s_and_b32 s14, s73, 0xff
	v_add_co_u32_e32 v0, vcc, s24, v0
	v_bfi_b32 v2, s0, v4, v3
	s_cmp_lt_i32 s14, 11
	v_addc_co_u32_e32 v1, vcc, 0, v1, vcc
	s_cbranch_scc1 .LBB48_699
; %bb.692:
	s_and_b32 s15, 0xffff, s14
	s_cmp_gt_i32 s15, 25
	s_cbranch_scc0 .LBB48_700
; %bb.693:
	s_cmp_gt_i32 s15, 28
	s_cbranch_scc0 .LBB48_701
; %bb.694:
	;; [unrolled: 3-line block ×4, first 2 shown]
	s_mov_b64 s[10:11], 0
	s_mov_b64 s[0:1], -1
	s_cmp_eq_u32 s15, 46
	s_mov_b64 s[8:9], 0
	s_cbranch_scc0 .LBB48_704
; %bb.697:
	v_bfe_u32 v3, v2, 16, 1
	s_movk_i32 s0, 0x7fff
	v_add3_u32 v3, v2, v3, s0
	v_cmp_o_f32_e32 vcc, v2, v2
	v_mov_b32_e32 v5, 0x7fc0
	v_cndmask_b32_sdwa v3, v5, v3, vcc dst_sel:DWORD dst_unused:UNUSED_PAD src0_sel:DWORD src1_sel:WORD_1
	global_store_dword v[0:1], v3, off
	s_mov_b64 s[8:9], -1
	s_mov_b64 s[0:1], 0
	s_branch .LBB48_704
.LBB48_698:
	s_mov_b64 s[8:9], 0
	s_mov_b64 s[0:1], s[60:61]
	s_branch .LBB48_815
.LBB48_699:
	s_mov_b64 s[10:11], -1
	s_mov_b64 s[8:9], 0
	s_mov_b64 s[0:1], s[60:61]
	s_branch .LBB48_773
.LBB48_700:
	s_mov_b64 s[10:11], -1
	s_mov_b64 s[8:9], 0
	s_mov_b64 s[0:1], s[60:61]
	s_branch .LBB48_731
.LBB48_701:
	s_mov_b64 s[10:11], -1
	s_mov_b64 s[8:9], 0
	s_mov_b64 s[0:1], s[60:61]
	s_branch .LBB48_714
.LBB48_702:
	s_mov_b64 s[10:11], -1
	s_mov_b64 s[8:9], 0
	s_mov_b64 s[0:1], s[60:61]
	s_branch .LBB48_710
.LBB48_703:
	s_mov_b64 s[10:11], -1
	s_mov_b64 s[8:9], 0
	s_mov_b64 s[0:1], s[60:61]
.LBB48_704:
	s_and_b64 vcc, exec, s[10:11]
	s_cbranch_vccz .LBB48_709
; %bb.705:
	s_cmp_eq_u32 s15, 44
	s_mov_b64 s[0:1], -1
	s_cbranch_scc0 .LBB48_709
; %bb.706:
	v_bfe_u32 v3, v2, 23, 8
	s_movk_i32 s0, 0xff
	v_cmp_ne_u32_e32 vcc, s0, v3
	v_mov_b32_e32 v5, 0xff
	s_and_saveexec_b64 s[8:9], vcc
; %bb.707:
	s_mov_b32 s0, 0x3fffff
	v_and_b32_e32 v6, 0x400000, v2
	v_and_or_b32 v3, v2, s0, v3
	v_cmp_ne_u32_e32 vcc, 0, v6
	v_cmp_ne_u32_e64 s[0:1], 0, v3
	s_and_b64 s[0:1], vcc, s[0:1]
	v_lshrrev_b32_e32 v5, 23, v2
	v_cndmask_b32_e64 v3, 0, 1, s[0:1]
	v_add_u32_e32 v5, v5, v3
; %bb.708:
	s_or_b64 exec, exec, s[8:9]
	s_mov_b64 s[8:9], -1
	s_mov_b64 s[0:1], 0
	global_store_byte v[0:1], v5, off
.LBB48_709:
	s_mov_b64 s[10:11], 0
.LBB48_710:
	s_and_b64 vcc, exec, s[10:11]
	s_cbranch_vccz .LBB48_713
; %bb.711:
	s_cmp_eq_u32 s15, 29
	s_mov_b64 s[0:1], -1
	s_cbranch_scc0 .LBB48_713
; %bb.712:
	v_trunc_f32_e32 v3, v2
	v_mul_f32_e32 v5, 0x2f800000, v3
	v_floor_f32_e32 v5, v5
	v_fmac_f32_e32 v3, 0xcf800000, v5
	v_cvt_u32_f32_e32 v6, v5
	v_cvt_u32_f32_e32 v5, v3
	s_mov_b64 s[8:9], -1
	s_mov_b64 s[0:1], 0
	s_mov_b64 s[10:11], 0
	global_store_dwordx2 v[0:1], v[5:6], off
	s_branch .LBB48_714
.LBB48_713:
	s_mov_b64 s[10:11], 0
.LBB48_714:
	s_and_b64 vcc, exec, s[10:11]
	s_cbranch_vccz .LBB48_730
; %bb.715:
	s_cmp_lt_i32 s15, 27
	s_mov_b64 s[8:9], -1
	s_cbranch_scc1 .LBB48_721
; %bb.716:
	v_cvt_u32_f32_e32 v3, v2
	s_cmp_gt_i32 s15, 27
	s_cbranch_scc0 .LBB48_718
; %bb.717:
	s_mov_b64 s[8:9], 0
	global_store_dword v[0:1], v3, off
.LBB48_718:
	s_andn2_b64 vcc, exec, s[8:9]
	s_cbranch_vccnz .LBB48_720
; %bb.719:
	global_store_short v[0:1], v3, off
.LBB48_720:
	s_mov_b64 s[8:9], 0
.LBB48_721:
	s_andn2_b64 vcc, exec, s[8:9]
	s_cbranch_vccnz .LBB48_729
; %bb.722:
	v_and_b32_e32 v3, 0x7fffffff, v4
	s_mov_b32 s8, 0x43800000
	v_cmp_gt_u32_e32 vcc, s8, v3
	v_mov_b32_e32 v5, 0x80
	s_and_saveexec_b64 s[8:9], vcc
	s_cbranch_execz .LBB48_728
; %bb.723:
	s_mov_b32 s10, 0x3bffffff
	v_cmp_lt_u32_e32 vcc, s10, v3
	s_mov_b64 s[10:11], 0
                                        ; implicit-def: $vgpr3
	s_and_saveexec_b64 s[12:13], vcc
	s_xor_b64 s[12:13], exec, s[12:13]
	s_cbranch_execz .LBB48_845
; %bb.724:
	v_bfe_u32 v3, v2, 20, 1
	s_mov_b32 s16, 0x487ffff
	v_add3_u32 v3, v2, v3, s16
	s_mov_b64 s[10:11], exec
	v_lshrrev_b32_e32 v3, 20, v3
	s_andn2_saveexec_b64 s[12:13], s[12:13]
	s_cbranch_execnz .LBB48_846
.LBB48_725:
	s_or_b64 exec, exec, s[12:13]
	v_mov_b32_e32 v5, 0
	s_and_saveexec_b64 s[12:13], s[10:11]
.LBB48_726:
	v_lshrrev_b32_e32 v5, 24, v2
	s_movk_i32 s10, 0x80
	v_and_or_b32 v5, v5, s10, v3
.LBB48_727:
	s_or_b64 exec, exec, s[12:13]
.LBB48_728:
	s_or_b64 exec, exec, s[8:9]
	global_store_byte v[0:1], v5, off
.LBB48_729:
	s_mov_b64 s[8:9], -1
.LBB48_730:
	s_mov_b64 s[10:11], 0
.LBB48_731:
	s_and_b64 vcc, exec, s[10:11]
	s_cbranch_vccz .LBB48_772
; %bb.732:
	s_cmp_gt_i32 s15, 22
	s_mov_b64 s[10:11], -1
	s_cbranch_scc0 .LBB48_764
; %bb.733:
	s_cmp_lt_i32 s15, 24
	s_mov_b64 s[8:9], -1
	s_cbranch_scc1 .LBB48_753
; %bb.734:
	s_cmp_gt_i32 s15, 24
	s_cbranch_scc0 .LBB48_742
; %bb.735:
	v_and_b32_e32 v3, 0x7fffffff, v4
	s_mov_b32 s8, 0x47800000
	v_cmp_gt_u32_e32 vcc, s8, v3
	v_mov_b32_e32 v5, 0x80
	s_and_saveexec_b64 s[8:9], vcc
	s_cbranch_execz .LBB48_741
; %bb.736:
	s_mov_b32 s10, 0x37ffffff
	v_cmp_lt_u32_e32 vcc, s10, v3
	s_mov_b64 s[10:11], 0
                                        ; implicit-def: $vgpr3
	s_and_saveexec_b64 s[12:13], vcc
	s_xor_b64 s[12:13], exec, s[12:13]
	s_cbranch_execz .LBB48_848
; %bb.737:
	v_bfe_u32 v3, v2, 21, 1
	s_mov_b32 s16, 0x88fffff
	v_add3_u32 v3, v2, v3, s16
	s_mov_b64 s[10:11], exec
	v_lshrrev_b32_e32 v3, 21, v3
	s_andn2_saveexec_b64 s[12:13], s[12:13]
	s_cbranch_execnz .LBB48_849
.LBB48_738:
	s_or_b64 exec, exec, s[12:13]
	v_mov_b32_e32 v5, 0
	s_and_saveexec_b64 s[12:13], s[10:11]
.LBB48_739:
	v_lshrrev_b32_e32 v5, 24, v2
	s_movk_i32 s10, 0x80
	v_and_or_b32 v5, v5, s10, v3
.LBB48_740:
	s_or_b64 exec, exec, s[12:13]
.LBB48_741:
	s_or_b64 exec, exec, s[8:9]
	s_mov_b64 s[8:9], 0
	global_store_byte v[0:1], v5, off
.LBB48_742:
	s_and_b64 vcc, exec, s[8:9]
	s_cbranch_vccz .LBB48_752
; %bb.743:
	v_and_b32_e32 v5, 0x7fffffff, v4
	s_mov_b32 s8, 0x43f00000
	v_cmp_gt_u32_e32 vcc, s8, v5
                                        ; implicit-def: $vgpr3
	s_and_saveexec_b64 s[8:9], vcc
	s_xor_b64 s[8:9], exec, s[8:9]
	s_cbranch_execz .LBB48_749
; %bb.744:
	s_mov_b32 s10, 0x3c7fffff
	v_cmp_lt_u32_e32 vcc, s10, v5
                                        ; implicit-def: $vgpr3
	s_and_saveexec_b64 s[10:11], vcc
	s_xor_b64 s[10:11], exec, s[10:11]
; %bb.745:
	v_bfe_u32 v3, v2, 20, 1
	s_mov_b32 s12, 0x407ffff
	v_add3_u32 v3, v2, v3, s12
	v_lshrrev_b32_e32 v5, 20, v3
	v_and_b32_e32 v3, 0xff00000, v3
	s_mov_b32 s12, 0x7f00000
	v_mov_b32_e32 v6, 0x7e
	v_cmp_ne_u32_e32 vcc, s12, v3
	v_cndmask_b32_e32 v3, v6, v5, vcc
; %bb.746:
	s_andn2_saveexec_b64 s[10:11], s[10:11]
; %bb.747:
	s_mov_b32 s12, 0x46800000
	v_add_f32_e64 v3, |v4|, s12
; %bb.748:
	s_or_b64 exec, exec, s[10:11]
                                        ; implicit-def: $vgpr5
.LBB48_749:
	s_andn2_saveexec_b64 s[8:9], s[8:9]
; %bb.750:
	s_mov_b32 s10, 0x7f800000
	v_mov_b32_e32 v3, 0x7e
	v_mov_b32_e32 v6, 0x7f
	v_cmp_lt_u32_e32 vcc, s10, v5
	v_cndmask_b32_e32 v3, v3, v6, vcc
; %bb.751:
	s_or_b64 exec, exec, s[8:9]
	v_lshrrev_b32_e32 v5, 24, v2
	s_movk_i32 s8, 0x80
	v_and_or_b32 v3, v5, s8, v3
	global_store_byte v[0:1], v3, off
.LBB48_752:
	s_mov_b64 s[8:9], 0
.LBB48_753:
	s_andn2_b64 vcc, exec, s[8:9]
	s_cbranch_vccnz .LBB48_763
; %bb.754:
	v_and_b32_e32 v5, 0x7fffffff, v4
	s_mov_b32 s8, 0x47800000
	v_cmp_gt_u32_e32 vcc, s8, v5
                                        ; implicit-def: $vgpr3
	s_and_saveexec_b64 s[8:9], vcc
	s_xor_b64 s[8:9], exec, s[8:9]
	s_cbranch_execz .LBB48_760
; %bb.755:
	s_mov_b32 s10, 0x387fffff
	v_cmp_lt_u32_e32 vcc, s10, v5
                                        ; implicit-def: $vgpr3
	s_and_saveexec_b64 s[10:11], vcc
	s_xor_b64 s[10:11], exec, s[10:11]
; %bb.756:
	v_bfe_u32 v3, v2, 21, 1
	s_mov_b32 s12, 0x80fffff
	v_add3_u32 v3, v2, v3, s12
	v_lshrrev_b32_e32 v3, 21, v3
                                        ; implicit-def: $vgpr4
; %bb.757:
	s_andn2_saveexec_b64 s[10:11], s[10:11]
; %bb.758:
	s_mov_b32 s12, 0x43000000
	v_add_f32_e64 v3, |v4|, s12
; %bb.759:
	s_or_b64 exec, exec, s[10:11]
                                        ; implicit-def: $vgpr5
.LBB48_760:
	s_andn2_saveexec_b64 s[8:9], s[8:9]
; %bb.761:
	s_mov_b32 s10, 0x7f800000
	v_mov_b32_e32 v3, 0x7c
	v_mov_b32_e32 v4, 0x7f
	v_cmp_lt_u32_e32 vcc, s10, v5
	v_cndmask_b32_e32 v3, v3, v4, vcc
; %bb.762:
	s_or_b64 exec, exec, s[8:9]
	v_lshrrev_b32_e32 v4, 24, v2
	s_movk_i32 s8, 0x80
	v_and_or_b32 v3, v4, s8, v3
	global_store_byte v[0:1], v3, off
.LBB48_763:
	s_mov_b64 s[10:11], 0
	s_mov_b64 s[8:9], -1
.LBB48_764:
	s_andn2_b64 vcc, exec, s[10:11]
	s_cbranch_vccnz .LBB48_772
; %bb.765:
	s_cmp_gt_i32 s15, 14
	s_mov_b64 s[10:11], -1
	s_cbranch_scc0 .LBB48_769
; %bb.766:
	s_cmp_eq_u32 s15, 15
	s_mov_b64 s[0:1], -1
	s_cbranch_scc0 .LBB48_768
; %bb.767:
	v_bfe_u32 v3, v2, 16, 1
	s_movk_i32 s0, 0x7fff
	v_add3_u32 v3, v2, v3, s0
	v_cmp_o_f32_e32 vcc, v2, v2
	v_mov_b32_e32 v4, 0x7fc0
	v_cndmask_b32_sdwa v3, v4, v3, vcc dst_sel:DWORD dst_unused:UNUSED_PAD src0_sel:DWORD src1_sel:WORD_1
	global_store_short v[0:1], v3, off
	s_mov_b64 s[8:9], -1
	s_mov_b64 s[0:1], 0
.LBB48_768:
	s_mov_b64 s[10:11], 0
.LBB48_769:
	s_and_b64 vcc, exec, s[10:11]
	s_cbranch_vccz .LBB48_772
; %bb.770:
	s_cmp_eq_u32 s15, 11
	s_mov_b64 s[0:1], -1
	s_cbranch_scc0 .LBB48_772
; %bb.771:
	v_cmp_neq_f32_e32 vcc, 0, v2
	v_cndmask_b32_e64 v3, 0, 1, vcc
	s_mov_b64 s[8:9], -1
	s_mov_b64 s[0:1], 0
	global_store_byte v[0:1], v3, off
.LBB48_772:
	s_mov_b64 s[10:11], 0
.LBB48_773:
	s_and_b64 vcc, exec, s[10:11]
	s_cbranch_vccz .LBB48_812
; %bb.774:
	s_and_b32 s10, 0xffff, s14
	s_cmp_lt_i32 s10, 5
	s_mov_b64 s[8:9], -1
	s_cbranch_scc1 .LBB48_795
; %bb.775:
	s_cmp_lt_i32 s10, 8
	s_cbranch_scc1 .LBB48_785
; %bb.776:
	s_cmp_lt_i32 s10, 9
	s_cbranch_scc1 .LBB48_782
; %bb.777:
	s_cmp_gt_i32 s10, 9
	s_cbranch_scc0 .LBB48_779
; %bb.778:
	v_cvt_f64_f32_e32 v[3:4], v2
	v_mov_b32_e32 v5, 0
	v_mov_b32_e32 v6, v5
	s_mov_b64 s[8:9], 0
	global_store_dwordx4 v[0:1], v[3:6], off
.LBB48_779:
	s_andn2_b64 vcc, exec, s[8:9]
	s_cbranch_vccnz .LBB48_781
; %bb.780:
	v_mov_b32_e32 v3, 0
	global_store_dwordx2 v[0:1], v[2:3], off
.LBB48_781:
	s_mov_b64 s[8:9], 0
.LBB48_782:
	s_andn2_b64 vcc, exec, s[8:9]
	s_cbranch_vccnz .LBB48_784
; %bb.783:
	v_cvt_f16_f32_e32 v3, v2
	global_store_dword v[0:1], v3, off
.LBB48_784:
	s_mov_b64 s[8:9], 0
.LBB48_785:
	s_andn2_b64 vcc, exec, s[8:9]
	s_cbranch_vccnz .LBB48_794
; %bb.786:
	s_cmp_lt_i32 s10, 6
	s_mov_b64 s[8:9], -1
	s_cbranch_scc1 .LBB48_792
; %bb.787:
	s_cmp_gt_i32 s10, 6
	s_cbranch_scc0 .LBB48_789
; %bb.788:
	v_cvt_f64_f32_e32 v[3:4], v2
	s_mov_b64 s[8:9], 0
	global_store_dwordx2 v[0:1], v[3:4], off
.LBB48_789:
	s_andn2_b64 vcc, exec, s[8:9]
	s_cbranch_vccnz .LBB48_791
; %bb.790:
	global_store_dword v[0:1], v2, off
.LBB48_791:
	s_mov_b64 s[8:9], 0
.LBB48_792:
	s_andn2_b64 vcc, exec, s[8:9]
	s_cbranch_vccnz .LBB48_794
; %bb.793:
	v_cvt_f16_f32_e32 v3, v2
	global_store_short v[0:1], v3, off
.LBB48_794:
	s_mov_b64 s[8:9], 0
.LBB48_795:
	s_andn2_b64 vcc, exec, s[8:9]
	s_cbranch_vccnz .LBB48_811
; %bb.796:
	s_cmp_lt_i32 s10, 2
	s_mov_b64 s[8:9], -1
	s_cbranch_scc1 .LBB48_806
; %bb.797:
	s_cmp_lt_i32 s10, 3
	s_cbranch_scc1 .LBB48_803
; %bb.798:
	s_cmp_gt_i32 s10, 3
	s_cbranch_scc0 .LBB48_800
; %bb.799:
	v_trunc_f32_e32 v3, v2
	s_mov_b32 s8, 0x2f800000
	v_mul_f32_e64 v4, |v3|, s8
	v_floor_f32_e32 v4, v4
	s_mov_b32 s8, 0xcf800000
	v_cvt_u32_f32_e32 v5, v4
	v_fma_f32 v4, v4, s8, |v3|
	v_cvt_u32_f32_e32 v4, v4
	v_ashrrev_i32_e32 v6, 31, v3
	v_xor_b32_e32 v5, v5, v6
	s_mov_b64 s[8:9], 0
	v_xor_b32_e32 v3, v4, v6
	v_sub_co_u32_e32 v3, vcc, v3, v6
	v_subb_co_u32_e32 v4, vcc, v5, v6, vcc
	global_store_dwordx2 v[0:1], v[3:4], off
.LBB48_800:
	s_andn2_b64 vcc, exec, s[8:9]
	s_cbranch_vccnz .LBB48_802
; %bb.801:
	v_cvt_i32_f32_e32 v3, v2
	global_store_dword v[0:1], v3, off
.LBB48_802:
	s_mov_b64 s[8:9], 0
.LBB48_803:
	s_andn2_b64 vcc, exec, s[8:9]
	s_cbranch_vccnz .LBB48_805
; %bb.804:
	v_cvt_i32_f32_e32 v3, v2
	global_store_short v[0:1], v3, off
.LBB48_805:
	s_mov_b64 s[8:9], 0
.LBB48_806:
	s_andn2_b64 vcc, exec, s[8:9]
	s_cbranch_vccnz .LBB48_811
; %bb.807:
	s_cmp_gt_i32 s10, 0
	s_mov_b64 s[8:9], -1
	s_cbranch_scc0 .LBB48_809
; %bb.808:
	v_cvt_i32_f32_e32 v3, v2
	s_mov_b64 s[8:9], 0
	global_store_byte v[0:1], v3, off
.LBB48_809:
	s_andn2_b64 vcc, exec, s[8:9]
	s_cbranch_vccnz .LBB48_811
; %bb.810:
	v_trunc_f32_e32 v2, v2
	s_mov_b32 s8, 0x2f800000
	v_mul_f32_e64 v3, |v2|, s8
	v_floor_f32_e32 v3, v3
	s_mov_b32 s8, 0xcf800000
	v_fma_f32 v3, v3, s8, |v2|
	v_cvt_u32_f32_e32 v3, v3
	v_ashrrev_i32_e32 v2, 31, v2
	v_xor_b32_e32 v3, v3, v2
	v_sub_u32_e32 v2, v3, v2
	global_store_byte v[0:1], v2, off
.LBB48_811:
	s_mov_b64 s[8:9], -1
.LBB48_812:
	s_andn2_b64 vcc, exec, s[8:9]
	s_cbranch_vccnz .LBB48_814
; %bb.813:
	v_add_u32_e32 v8, 0x80, v8
	s_mov_b64 s[8:9], -1
	s_branch .LBB48_816
.LBB48_814:
	s_mov_b64 s[8:9], 0
.LBB48_815:
                                        ; implicit-def: $vgpr8
.LBB48_816:
	s_andn2_b64 s[10:11], s[60:61], exec
	s_and_b64 s[0:1], s[0:1], exec
	s_or_b64 s[68:69], s[10:11], s[0:1]
	s_andn2_b64 s[0:1], s[58:59], exec
	s_and_b64 s[2:3], s[2:3], exec
	s_or_b64 s[66:67], s[0:1], s[2:3]
	s_orn2_b64 s[2:3], s[8:9], exec
.LBB48_817:
	s_or_b64 exec, exec, s[64:65]
	s_mov_b64 s[0:1], 0
	s_mov_b64 s[8:9], 0
	;; [unrolled: 1-line block ×3, first 2 shown]
                                        ; implicit-def: $vgpr1_vgpr2
                                        ; implicit-def: $vgpr0
                                        ; implicit-def: $vgpr4
	s_and_saveexec_b64 s[64:65], s[2:3]
	s_cbranch_execz .LBB48_916
; %bb.818:
	v_cmp_gt_i32_e32 vcc, s70, v8
	s_mov_b64 s[2:3], 0
	s_mov_b64 s[12:13], s[66:67]
                                        ; implicit-def: $vgpr1_vgpr2
                                        ; implicit-def: $vgpr0
                                        ; implicit-def: $vgpr4
	s_and_saveexec_b64 s[70:71], vcc
	s_cbranch_execz .LBB48_915
; %bb.819:
	s_andn2_b64 vcc, exec, s[40:41]
	s_cbranch_vccnz .LBB48_824
; %bb.820:
	s_andn2_b64 vcc, exec, s[50:51]
	s_cbranch_vccnz .LBB48_825
; %bb.821:
	s_add_i32 s76, s75, 1
	s_cmp_eq_u32 s72, 2
	s_cbranch_scc1 .LBB48_826
; %bb.822:
	s_and_b32 s75, s76, 28
	v_mov_b32_e32 v2, 0
	s_mov_b32 s77, 0
	s_mov_b64 s[50:51], s[34:35]
	v_mov_b32_e32 v0, 0
	v_mov_b32_e32 v1, v8
.LBB48_823:                             ; =>This Inner Loop Header: Depth=1
	s_load_dwordx8 s[16:23], s[50:51], 0x4
	s_load_dwordx4 s[0:3], s[50:51], 0x24
	s_load_dwordx8 s[8:15], s[48:49], 0x0
	s_add_u32 s50, s50, 48
	s_addc_u32 s51, s51, 0
	s_waitcnt vmcnt(0) lgkmcnt(0)
	v_mul_hi_u32 v3, s17, v1
	s_add_i32 s77, s77, 4
	s_add_u32 s48, s48, 32
	s_addc_u32 s49, s49, 0
	v_add_u32_e32 v3, v1, v3
	v_lshrrev_b32_e32 v3, s18, v3
	v_mul_lo_u32 v4, v3, s16
	v_mul_hi_u32 v5, s20, v3
	s_cmp_eq_u32 s75, s77
	v_sub_u32_e32 v1, v1, v4
	v_add_u32_e32 v4, v3, v5
	v_mul_lo_u32 v5, v1, s8
	v_mul_lo_u32 v6, v1, s9
	v_lshrrev_b32_e32 v1, s21, v4
	v_mul_lo_u32 v4, v1, s19
	v_mul_hi_u32 v7, s23, v1
	v_sub_u32_e32 v3, v3, v4
	v_add_u32_e32 v4, v1, v7
	v_lshrrev_b32_e32 v4, s0, v4
	v_mul_hi_u32 v9, s2, v4
	v_mul_lo_u32 v10, v4, s22
	v_mul_lo_u32 v7, v3, s10
	;; [unrolled: 1-line block ×3, first 2 shown]
	v_sub_u32_e32 v10, v1, v10
	v_add_u32_e32 v1, v4, v9
	v_lshrrev_b32_e32 v1, s3, v1
	v_mul_lo_u32 v9, v1, s1
	v_mul_lo_u32 v11, v10, s12
	;; [unrolled: 1-line block ×3, first 2 shown]
	v_add3_u32 v0, v5, v0, v7
	v_sub_u32_e32 v4, v4, v9
	v_mul_lo_u32 v9, v4, s14
	v_mul_lo_u32 v4, v4, s15
	v_add3_u32 v2, v6, v2, v3
	v_add3_u32 v0, v11, v0, v9
	;; [unrolled: 1-line block ×3, first 2 shown]
	s_cbranch_scc0 .LBB48_823
	s_branch .LBB48_827
.LBB48_824:
	s_mov_b64 s[0:1], -1
                                        ; implicit-def: $vgpr0
                                        ; implicit-def: $vgpr2
	s_branch .LBB48_831
.LBB48_825:
	v_mov_b32_e32 v0, 0
	v_mov_b32_e32 v2, 0
	s_branch .LBB48_830
.LBB48_826:
	s_mov_b32 s75, 0
	v_mov_b32_e32 v0, 0
	v_mov_b32_e32 v2, 0
	;; [unrolled: 1-line block ×3, first 2 shown]
.LBB48_827:
	s_and_b32 s8, s76, 3
	s_cmp_eq_u32 s8, 0
	s_cbranch_scc1 .LBB48_830
; %bb.828:
	s_lshl_b32 s0, s75, 3
	s_add_u32 s0, s34, s0
	s_addc_u32 s1, s35, 0
	s_add_u32 s0, s0, 0xc4
	s_addc_u32 s1, s1, 0
	s_mul_i32 s2, s75, 12
	s_add_u32 s2, s34, s2
	s_addc_u32 s3, s35, 0
.LBB48_829:                             ; =>This Inner Loop Header: Depth=1
	s_load_dwordx2 s[10:11], s[2:3], 0x4
	s_load_dword s9, s[2:3], 0xc
	s_load_dwordx2 s[12:13], s[0:1], 0x0
	s_add_u32 s2, s2, 12
	s_addc_u32 s3, s3, 0
	s_waitcnt vmcnt(0) lgkmcnt(0)
	v_mul_hi_u32 v3, s11, v1
	s_add_u32 s0, s0, 8
	s_addc_u32 s1, s1, 0
	s_add_i32 s8, s8, -1
	v_add_u32_e32 v3, v1, v3
	v_lshrrev_b32_e32 v4, s9, v3
	v_mul_lo_u32 v3, v4, s10
	s_cmp_lg_u32 s8, 0
	v_sub_u32_e32 v3, v1, v3
	v_mad_u64_u32 v[0:1], s[10:11], v3, s12, v[0:1]
	v_mad_u64_u32 v[2:3], s[10:11], v3, s13, v[2:3]
	v_mov_b32_e32 v1, v4
	s_cbranch_scc1 .LBB48_829
.LBB48_830:
	s_mov_b64 s[0:1], 0
.LBB48_831:
	s_andn2_b64 vcc, exec, s[0:1]
	s_cbranch_vccnz .LBB48_834
; %bb.832:
	s_waitcnt lgkmcnt(0)
	v_mul_hi_u32 v0, s37, v8
	s_andn2_b64 vcc, exec, s[46:47]
	v_add_u32_e32 v0, v8, v0
	v_lshrrev_b32_e32 v1, s38, v0
	v_mul_lo_u32 v0, v1, s36
	v_sub_u32_e32 v2, v8, v0
	v_mul_lo_u32 v0, v2, s28
	v_mul_lo_u32 v2, v2, s29
	s_cbranch_vccnz .LBB48_834
; %bb.833:
	s_waitcnt vmcnt(0)
	v_mul_hi_u32 v3, s44, v1
	v_add_u32_e32 v3, v1, v3
	v_lshrrev_b32_e32 v3, s45, v3
	v_mul_lo_u32 v3, v3, s39
	v_sub_u32_e32 v3, v1, v3
	v_mad_u64_u32 v[0:1], s[0:1], v3, s30, v[0:1]
	v_mad_u64_u32 v[2:3], s[0:1], v3, s31, v[2:3]
.LBB48_834:
	s_waitcnt vmcnt(0) lgkmcnt(0)
	v_mov_b32_e32 v3, s27
	s_and_b32 s14, 0xffff, s74
	v_add_co_u32_e32 v1, vcc, s26, v2
	s_cmp_lt_i32 s14, 11
	v_addc_co_u32_e32 v2, vcc, 0, v3, vcc
	s_cbranch_scc1 .LBB48_841
; %bb.835:
	s_cmp_gt_i32 s14, 25
	s_mov_b64 s[2:3], 0
	s_cbranch_scc0 .LBB48_842
; %bb.836:
	s_cmp_gt_i32 s14, 28
	s_cbranch_scc0 .LBB48_843
; %bb.837:
	s_cmp_gt_i32 s14, 43
	;; [unrolled: 3-line block ×3, first 2 shown]
	s_cbranch_scc0 .LBB48_847
; %bb.839:
	s_cmp_eq_u32 s14, 46
	s_mov_b64 s[10:11], 0
	s_cbranch_scc0 .LBB48_850
; %bb.840:
	global_load_dword v3, v[1:2], off
	s_mov_b64 s[0:1], 0
	s_mov_b64 s[8:9], -1
	s_waitcnt vmcnt(0)
	v_lshlrev_b32_e32 v4, 16, v3
	s_branch .LBB48_851
.LBB48_841:
	s_mov_b64 s[12:13], -1
	s_mov_b64 s[8:9], 0
	s_mov_b64 s[2:3], 0
	s_mov_b64 s[0:1], s[66:67]
                                        ; implicit-def: $vgpr4
	s_branch .LBB48_914
.LBB48_842:
	s_mov_b64 s[10:11], -1
	s_mov_b64 s[8:9], 0
	s_mov_b64 s[0:1], s[66:67]
                                        ; implicit-def: $vgpr4
	s_branch .LBB48_880
.LBB48_843:
	s_mov_b64 s[10:11], -1
	s_mov_b64 s[8:9], 0
	s_mov_b64 s[0:1], s[66:67]
                                        ; implicit-def: $vgpr4
	s_branch .LBB48_861
.LBB48_844:
	s_mov_b64 s[10:11], -1
	s_mov_b64 s[8:9], 0
	s_mov_b64 s[0:1], s[66:67]
                                        ; implicit-def: $vgpr4
	s_branch .LBB48_856
.LBB48_845:
	s_andn2_saveexec_b64 s[12:13], s[12:13]
	s_cbranch_execz .LBB48_725
.LBB48_846:
	s_mov_b32 s16, 0x46000000
	v_add_f32_e64 v3, |v4|, s16
	v_and_b32_e32 v3, 0xff, v3
	v_cmp_ne_u32_e32 vcc, 0, v3
	s_andn2_b64 s[10:11], s[10:11], exec
	s_and_b64 s[16:17], vcc, exec
	s_or_b64 s[10:11], s[10:11], s[16:17]
	s_or_b64 exec, exec, s[12:13]
	v_mov_b32_e32 v5, 0
	s_and_saveexec_b64 s[12:13], s[10:11]
	s_cbranch_execnz .LBB48_726
	s_branch .LBB48_727
.LBB48_847:
	s_mov_b64 s[10:11], -1
	s_mov_b64 s[8:9], 0
	s_mov_b64 s[0:1], s[66:67]
                                        ; implicit-def: $vgpr4
	s_branch .LBB48_851
.LBB48_848:
	s_andn2_saveexec_b64 s[12:13], s[12:13]
	s_cbranch_execz .LBB48_738
.LBB48_849:
	s_mov_b32 s16, 0x42800000
	v_add_f32_e64 v3, |v4|, s16
	v_and_b32_e32 v3, 0xff, v3
	v_cmp_ne_u32_e32 vcc, 0, v3
	s_andn2_b64 s[10:11], s[10:11], exec
	s_and_b64 s[16:17], vcc, exec
	s_or_b64 s[10:11], s[10:11], s[16:17]
	s_or_b64 exec, exec, s[12:13]
	v_mov_b32_e32 v5, 0
	s_and_saveexec_b64 s[12:13], s[10:11]
	s_cbranch_execnz .LBB48_739
	s_branch .LBB48_740
.LBB48_850:
	s_mov_b64 s[0:1], -1
                                        ; implicit-def: $vgpr4
	s_mov_b64 s[8:9], 0
.LBB48_851:
	s_and_b64 vcc, exec, s[10:11]
	s_cbranch_vccz .LBB48_855
; %bb.852:
	s_cmp_eq_u32 s14, 44
	s_cbranch_scc0 .LBB48_854
; %bb.853:
	global_load_ubyte v3, v[1:2], off
	s_movk_i32 s8, 0xff
	v_mov_b32_e32 v4, 0x7f800001
	v_mov_b32_e32 v5, 0x400000
	s_mov_b64 s[0:1], 0
	s_waitcnt vmcnt(0)
	v_lshlrev_b32_e32 v6, 23, v3
	v_cmp_ne_u32_e32 vcc, s8, v3
	v_cndmask_b32_e32 v4, v4, v6, vcc
	v_cmp_ne_u32_e32 vcc, 0, v3
	v_cndmask_b32_e32 v4, v5, v4, vcc
	s_mov_b64 s[8:9], -1
	s_branch .LBB48_855
.LBB48_854:
	s_mov_b64 s[0:1], -1
                                        ; implicit-def: $vgpr4
.LBB48_855:
	s_mov_b64 s[10:11], 0
.LBB48_856:
	s_and_b64 vcc, exec, s[10:11]
	s_cbranch_vccz .LBB48_860
; %bb.857:
	s_cmp_eq_u32 s14, 29
	s_cbranch_scc0 .LBB48_859
; %bb.858:
	global_load_dwordx2 v[3:4], v[1:2], off
	s_mov_b64 s[0:1], 0
	s_mov_b64 s[8:9], -1
	s_mov_b64 s[10:11], 0
	s_waitcnt vmcnt(0)
	v_ffbh_u32_e32 v5, v4
	v_min_u32_e32 v5, 32, v5
	v_lshlrev_b64 v[3:4], v5, v[3:4]
	v_min_u32_e32 v3, 1, v3
	v_or_b32_e32 v3, v4, v3
	v_cvt_f32_u32_e32 v3, v3
	v_sub_u32_e32 v4, 32, v5
	v_ldexp_f32 v4, v3, v4
	s_branch .LBB48_861
.LBB48_859:
	s_mov_b64 s[0:1], -1
                                        ; implicit-def: $vgpr4
.LBB48_860:
	s_mov_b64 s[10:11], 0
.LBB48_861:
	s_and_b64 vcc, exec, s[10:11]
	s_cbranch_vccz .LBB48_879
; %bb.862:
	s_cmp_lt_i32 s14, 27
	s_cbranch_scc1 .LBB48_865
; %bb.863:
	s_cmp_gt_i32 s14, 27
	s_cbranch_scc0 .LBB48_866
; %bb.864:
	global_load_dword v3, v[1:2], off
	s_mov_b64 s[8:9], 0
	s_waitcnt vmcnt(0)
	v_cvt_f32_u32_e32 v4, v3
	s_branch .LBB48_867
.LBB48_865:
	s_mov_b64 s[8:9], -1
                                        ; implicit-def: $vgpr4
	s_branch .LBB48_870
.LBB48_866:
	s_mov_b64 s[8:9], -1
                                        ; implicit-def: $vgpr4
.LBB48_867:
	s_andn2_b64 vcc, exec, s[8:9]
	s_cbranch_vccnz .LBB48_869
; %bb.868:
	global_load_ushort v3, v[1:2], off
	s_waitcnt vmcnt(0)
	v_cvt_f32_u32_e32 v4, v3
.LBB48_869:
	s_mov_b64 s[8:9], 0
.LBB48_870:
	s_andn2_b64 vcc, exec, s[8:9]
	s_cbranch_vccnz .LBB48_878
; %bb.871:
	global_load_ubyte v3, v[1:2], off
	s_movk_i32 s8, 0x7f
	s_waitcnt vmcnt(0)
	v_cmp_lt_i16_e32 vcc, s8, v3
	s_mov_b64 s[8:9], 0
	s_and_saveexec_b64 s[10:11], vcc
	s_xor_b64 s[10:11], exec, s[10:11]
	s_cbranch_execz .LBB48_892
; %bb.872:
	s_movk_i32 s8, 0x80
	v_cmp_eq_u16_e32 vcc, s8, v3
	s_mov_b64 s[8:9], -1
	s_and_saveexec_b64 s[12:13], vcc
; %bb.873:
	s_xor_b64 s[8:9], exec, -1
; %bb.874:
	s_or_b64 exec, exec, s[12:13]
	s_and_b64 s[8:9], s[8:9], exec
	s_or_saveexec_b64 s[10:11], s[10:11]
	v_mov_b32_e32 v4, 0x7f800001
	s_xor_b64 exec, exec, s[10:11]
	s_cbranch_execnz .LBB48_893
.LBB48_875:
	s_or_b64 exec, exec, s[10:11]
	s_and_saveexec_b64 s[10:11], s[8:9]
	s_cbranch_execz .LBB48_877
.LBB48_876:
	v_lshlrev_b32_e32 v4, 24, v3
	v_and_b32_e32 v3, 0xffff, v3
	v_and_b32_e32 v5, 7, v3
	v_ffbh_u32_e32 v7, v5
	v_min_u32_e32 v7, 32, v7
	v_subrev_u32_e32 v8, 28, v7
	v_bfe_u32 v6, v3, 3, 4
	v_lshlrev_b32_e32 v3, v8, v3
	v_sub_u32_e32 v7, 29, v7
	v_and_b32_e32 v3, 7, v3
	v_cmp_eq_u32_e32 vcc, 0, v6
	v_cndmask_b32_e32 v6, v6, v7, vcc
	v_cndmask_b32_e32 v3, v5, v3, vcc
	v_mov_b32_e32 v5, 0x3b800000
	v_lshlrev_b32_e32 v3, 20, v3
	v_and_b32_e32 v4, 0x80000000, v4
	v_lshl_add_u32 v5, v6, 23, v5
	v_or3_b32 v4, v4, v5, v3
.LBB48_877:
	s_or_b64 exec, exec, s[10:11]
.LBB48_878:
	s_mov_b64 s[8:9], -1
.LBB48_879:
	s_mov_b64 s[10:11], 0
.LBB48_880:
	s_and_b64 vcc, exec, s[10:11]
	s_cbranch_vccz .LBB48_913
; %bb.881:
	s_cmp_gt_i32 s14, 22
	s_cbranch_scc0 .LBB48_891
; %bb.882:
	s_cmp_lt_i32 s14, 24
	s_cbranch_scc1 .LBB48_894
; %bb.883:
	s_cmp_gt_i32 s14, 24
	s_cbranch_scc0 .LBB48_895
; %bb.884:
	global_load_ubyte v3, v[1:2], off
	s_movk_i32 s2, 0x7f
	s_waitcnt vmcnt(0)
	v_cmp_lt_i16_e32 vcc, s2, v3
	s_mov_b64 s[2:3], 0
	s_and_saveexec_b64 s[8:9], vcc
	s_xor_b64 s[8:9], exec, s[8:9]
	s_cbranch_execz .LBB48_907
; %bb.885:
	s_movk_i32 s2, 0x80
	v_cmp_eq_u16_e32 vcc, s2, v3
	s_mov_b64 s[2:3], -1
	s_and_saveexec_b64 s[10:11], vcc
; %bb.886:
	s_xor_b64 s[2:3], exec, -1
; %bb.887:
	s_or_b64 exec, exec, s[10:11]
	s_and_b64 s[2:3], s[2:3], exec
	s_or_saveexec_b64 s[8:9], s[8:9]
	v_mov_b32_e32 v4, 0x7f800001
	s_xor_b64 exec, exec, s[8:9]
	s_cbranch_execnz .LBB48_908
.LBB48_888:
	s_or_b64 exec, exec, s[8:9]
	s_and_saveexec_b64 s[8:9], s[2:3]
	s_cbranch_execz .LBB48_890
.LBB48_889:
	v_lshlrev_b32_e32 v4, 24, v3
	v_and_b32_e32 v3, 0xffff, v3
	v_and_b32_e32 v5, 3, v3
	v_ffbh_u32_e32 v7, v5
	v_min_u32_e32 v7, 32, v7
	v_subrev_u32_e32 v8, 29, v7
	v_bfe_u32 v6, v3, 2, 5
	v_lshlrev_b32_e32 v3, v8, v3
	v_sub_u32_e32 v7, 30, v7
	v_and_b32_e32 v3, 3, v3
	v_cmp_eq_u32_e32 vcc, 0, v6
	v_cndmask_b32_e32 v6, v6, v7, vcc
	v_cndmask_b32_e32 v3, v5, v3, vcc
	v_mov_b32_e32 v5, 0x37800000
	v_lshlrev_b32_e32 v3, 21, v3
	v_and_b32_e32 v4, 0x80000000, v4
	v_lshl_add_u32 v5, v6, 23, v5
	v_or3_b32 v4, v4, v5, v3
.LBB48_890:
	s_or_b64 exec, exec, s[8:9]
	s_mov_b64 s[2:3], 0
	s_branch .LBB48_896
.LBB48_891:
	s_mov_b64 s[2:3], -1
                                        ; implicit-def: $vgpr4
	s_branch .LBB48_902
.LBB48_892:
	s_or_saveexec_b64 s[10:11], s[10:11]
	v_mov_b32_e32 v4, 0x7f800001
	s_xor_b64 exec, exec, s[10:11]
	s_cbranch_execz .LBB48_875
.LBB48_893:
	v_cmp_ne_u16_e32 vcc, 0, v3
	s_andn2_b64 s[8:9], s[8:9], exec
	s_and_b64 s[12:13], vcc, exec
	v_mov_b32_e32 v4, 0
	s_or_b64 s[8:9], s[8:9], s[12:13]
	s_or_b64 exec, exec, s[10:11]
	s_and_saveexec_b64 s[10:11], s[8:9]
	s_cbranch_execnz .LBB48_876
	s_branch .LBB48_877
.LBB48_894:
	s_mov_b64 s[2:3], -1
                                        ; implicit-def: $vgpr4
	s_branch .LBB48_899
.LBB48_895:
	s_mov_b64 s[2:3], -1
                                        ; implicit-def: $vgpr4
.LBB48_896:
	s_and_b64 vcc, exec, s[2:3]
	s_cbranch_vccz .LBB48_898
; %bb.897:
	global_load_ubyte v3, v[1:2], off
	s_mov_b32 s2, 0x7f800000
	s_waitcnt vmcnt(0)
	v_lshlrev_b32_e32 v3, 24, v3
	v_and_b32_e32 v4, 0x7f000000, v3
	v_ffbh_u32_e32 v5, v4
	v_min_u32_e32 v5, 32, v5
	v_sub_u32_e64 v5, v5, 4 clamp
	v_lshlrev_b32_e32 v7, v5, v4
	v_lshlrev_b32_e32 v5, 23, v5
	v_lshrrev_b32_e32 v7, 4, v7
	v_add_u32_e32 v6, 0x1000000, v4
	v_sub_u32_e32 v5, v7, v5
	v_ashrrev_i32_e32 v6, 8, v6
	v_add_u32_e32 v5, 0x3c000000, v5
	v_and_or_b32 v5, v6, s2, v5
	v_cmp_ne_u32_e32 vcc, 0, v4
	v_cndmask_b32_e32 v4, 0, v5, vcc
	s_brev_b32 s2, 1
	v_and_or_b32 v4, v3, s2, v4
.LBB48_898:
	s_mov_b64 s[2:3], 0
.LBB48_899:
	s_andn2_b64 vcc, exec, s[2:3]
	s_cbranch_vccnz .LBB48_901
; %bb.900:
	global_load_ubyte v3, v[1:2], off
	s_movk_i32 s2, 0x7f00
	s_brev_b32 s3, 16
	s_waitcnt vmcnt(0)
	v_lshlrev_b16_e32 v4, 8, v3
	v_lshlrev_b32_e32 v3, 25, v3
	v_lshrrev_b32_e32 v5, 4, v3
	v_and_or_b32 v6, v4, s2, 0.5
	v_or_b32_e32 v5, 0x70000000, v5
	v_add_f32_e32 v6, -0.5, v6
	v_mul_f32_e32 v5, 0x7800000, v5
	v_cmp_gt_u32_e32 vcc, s3, v3
	v_bfe_i32 v4, v4, 0, 16
	v_cndmask_b32_e32 v3, v5, v6, vcc
	s_brev_b32 s2, 1
	v_and_or_b32 v4, v4, s2, v3
.LBB48_901:
	s_mov_b64 s[2:3], 0
	s_mov_b64 s[8:9], -1
.LBB48_902:
	s_andn2_b64 vcc, exec, s[2:3]
	s_mov_b64 s[2:3], 0
	s_cbranch_vccnz .LBB48_913
; %bb.903:
	s_cmp_gt_i32 s14, 14
	s_cbranch_scc0 .LBB48_906
; %bb.904:
	s_cmp_eq_u32 s14, 15
	s_cbranch_scc0 .LBB48_909
; %bb.905:
	global_load_ushort v3, v[1:2], off
	s_mov_b64 s[0:1], 0
	s_mov_b64 s[8:9], -1
	s_waitcnt vmcnt(0)
	v_lshlrev_b32_e32 v4, 16, v3
	s_branch .LBB48_910
.LBB48_906:
	s_mov_b64 s[10:11], -1
                                        ; implicit-def: $vgpr4
	s_branch .LBB48_911
.LBB48_907:
	s_or_saveexec_b64 s[8:9], s[8:9]
	v_mov_b32_e32 v4, 0x7f800001
	s_xor_b64 exec, exec, s[8:9]
	s_cbranch_execz .LBB48_888
.LBB48_908:
	v_cmp_ne_u16_e32 vcc, 0, v3
	s_andn2_b64 s[2:3], s[2:3], exec
	s_and_b64 s[10:11], vcc, exec
	v_mov_b32_e32 v4, 0
	s_or_b64 s[2:3], s[2:3], s[10:11]
	s_or_b64 exec, exec, s[8:9]
	s_and_saveexec_b64 s[8:9], s[2:3]
	s_cbranch_execnz .LBB48_889
	s_branch .LBB48_890
.LBB48_909:
	s_mov_b64 s[0:1], -1
                                        ; implicit-def: $vgpr4
.LBB48_910:
	s_mov_b64 s[10:11], 0
.LBB48_911:
	s_and_b64 vcc, exec, s[10:11]
	s_cbranch_vccz .LBB48_913
; %bb.912:
	s_cmp_lg_u32 s14, 11
	s_cselect_b64 s[10:11], -1, 0
	s_andn2_b64 s[0:1], s[0:1], exec
	s_and_b64 s[10:11], s[10:11], exec
	s_mov_b64 s[2:3], -1
	s_or_b64 s[0:1], s[0:1], s[10:11]
.LBB48_913:
	s_mov_b64 s[12:13], 0
.LBB48_914:
	s_and_b64 s[10:11], s[8:9], exec
	s_and_b64 s[8:9], s[12:13], exec
	s_andn2_b64 s[12:13], s[66:67], exec
	s_and_b64 s[0:1], s[0:1], exec
	s_and_b64 s[2:3], s[2:3], exec
	s_or_b64 s[12:13], s[12:13], s[0:1]
.LBB48_915:
	s_or_b64 exec, exec, s[70:71]
	s_and_b64 s[0:1], s[2:3], exec
	s_andn2_b64 s[2:3], s[66:67], exec
	s_and_b64 s[12:13], s[12:13], exec
	s_and_b64 s[10:11], s[10:11], exec
	s_and_b64 s[8:9], s[8:9], exec
	s_or_b64 s[66:67], s[2:3], s[12:13]
.LBB48_916:
	s_or_b64 exec, exec, s[64:65]
	s_andn2_b64 s[2:3], s[60:61], exec
	s_and_b64 s[12:13], s[68:69], exec
	s_or_b64 s[60:61], s[2:3], s[12:13]
	s_and_b64 s[2:3], s[0:1], exec
	s_andn2_b64 s[0:1], s[58:59], exec
	s_and_b64 s[12:13], s[66:67], exec
	s_and_b64 s[10:11], s[10:11], exec
	;; [unrolled: 1-line block ×3, first 2 shown]
	s_or_b64 s[58:59], s[0:1], s[12:13]
.LBB48_917:
	s_or_b64 exec, exec, s[62:63]
	s_andn2_b64 s[0:1], s[52:53], exec
	s_and_b64 s[12:13], s[60:61], exec
	s_or_b64 s[52:53], s[0:1], s[12:13]
	s_and_b64 s[0:1], s[10:11], exec
	s_and_b64 s[10:11], s[8:9], exec
	;; [unrolled: 1-line block ×3, first 2 shown]
	s_andn2_b64 s[2:3], s[54:55], exec
	s_and_b64 s[8:9], s[58:59], exec
	s_or_b64 s[54:55], s[2:3], s[8:9]
	s_or_b64 exec, exec, s[56:57]
	s_mov_b64 s[2:3], 0
	s_and_saveexec_b64 s[8:9], s[54:55]
	s_cbranch_execz .LBB48_274
.LBB48_918:
	s_mov_b64 s[2:3], exec
	s_andn2_b64 s[60:61], s[60:61], exec
	s_trap 2
	s_or_b64 exec, exec, s[8:9]
	s_and_saveexec_b64 s[8:9], s[60:61]
	s_xor_b64 s[8:9], exec, s[8:9]
	s_cbranch_execnz .LBB48_275
.LBB48_919:
	s_or_b64 exec, exec, s[8:9]
	s_and_saveexec_b64 s[8:9], s[10:11]
	s_cbranch_execz .LBB48_965
.LBB48_920:
	s_sext_i32_i16 s10, s74
	s_cmp_lt_i32 s10, 5
	s_cbranch_scc1 .LBB48_925
; %bb.921:
	s_cmp_lt_i32 s10, 8
	s_cbranch_scc1 .LBB48_926
; %bb.922:
	;; [unrolled: 3-line block ×3, first 2 shown]
	s_cmp_gt_i32 s10, 9
	s_cbranch_scc0 .LBB48_928
; %bb.924:
	global_load_dwordx2 v[3:4], v[1:2], off
	s_mov_b64 s[10:11], 0
	s_waitcnt vmcnt(0)
	v_cvt_f32_f64_e32 v4, v[3:4]
	s_branch .LBB48_929
.LBB48_925:
                                        ; implicit-def: $vgpr4
	s_branch .LBB48_946
.LBB48_926:
                                        ; implicit-def: $vgpr4
	s_branch .LBB48_935
.LBB48_927:
	s_mov_b64 s[10:11], -1
                                        ; implicit-def: $vgpr4
	s_branch .LBB48_932
.LBB48_928:
	s_mov_b64 s[10:11], -1
                                        ; implicit-def: $vgpr4
.LBB48_929:
	s_andn2_b64 vcc, exec, s[10:11]
	s_cbranch_vccnz .LBB48_931
; %bb.930:
	global_load_dword v4, v[1:2], off
.LBB48_931:
	s_mov_b64 s[10:11], 0
.LBB48_932:
	s_andn2_b64 vcc, exec, s[10:11]
	s_cbranch_vccnz .LBB48_934
; %bb.933:
	global_load_dword v3, v[1:2], off
	s_waitcnt vmcnt(0)
	v_cvt_f32_f16_e32 v4, v3
.LBB48_934:
	s_cbranch_execnz .LBB48_945
.LBB48_935:
	s_sext_i32_i16 s10, s74
	s_cmp_lt_i32 s10, 6
	s_cbranch_scc1 .LBB48_938
; %bb.936:
	s_cmp_gt_i32 s10, 6
	s_cbranch_scc0 .LBB48_939
; %bb.937:
	global_load_dwordx2 v[3:4], v[1:2], off
	s_mov_b64 s[10:11], 0
	s_waitcnt vmcnt(0)
	v_cvt_f32_f64_e32 v4, v[3:4]
	s_branch .LBB48_940
.LBB48_938:
	s_mov_b64 s[10:11], -1
                                        ; implicit-def: $vgpr4
	s_branch .LBB48_943
.LBB48_939:
	s_mov_b64 s[10:11], -1
                                        ; implicit-def: $vgpr4
.LBB48_940:
	s_andn2_b64 vcc, exec, s[10:11]
	s_cbranch_vccnz .LBB48_942
; %bb.941:
	global_load_dword v4, v[1:2], off
.LBB48_942:
	s_mov_b64 s[10:11], 0
.LBB48_943:
	s_andn2_b64 vcc, exec, s[10:11]
	s_cbranch_vccnz .LBB48_945
; %bb.944:
	global_load_ushort v3, v[1:2], off
	s_waitcnt vmcnt(0)
	v_cvt_f32_f16_e32 v4, v3
.LBB48_945:
	s_cbranch_execnz .LBB48_964
.LBB48_946:
	s_sext_i32_i16 s10, s74
	s_cmp_lt_i32 s10, 2
	s_cbranch_scc1 .LBB48_950
; %bb.947:
	s_cmp_lt_i32 s10, 3
	s_cbranch_scc1 .LBB48_951
; %bb.948:
	s_cmp_gt_i32 s10, 3
	s_cbranch_scc0 .LBB48_952
; %bb.949:
	global_load_dwordx2 v[3:4], v[1:2], off
	s_mov_b64 s[10:11], 0
	s_waitcnt vmcnt(0)
	v_xor_b32_e32 v6, v3, v4
	v_ffbh_i32_e32 v5, v4
	v_ashrrev_i32_e32 v6, 31, v6
	v_add_u32_e32 v5, -1, v5
	v_add_u32_e32 v6, 32, v6
	v_min_u32_e32 v5, v5, v6
	v_lshlrev_b64 v[3:4], v5, v[3:4]
	v_min_u32_e32 v3, 1, v3
	v_or_b32_e32 v3, v4, v3
	v_cvt_f32_i32_e32 v3, v3
	v_sub_u32_e32 v4, 32, v5
	v_ldexp_f32 v4, v3, v4
	s_branch .LBB48_953
.LBB48_950:
                                        ; implicit-def: $vgpr4
	s_branch .LBB48_959
.LBB48_951:
	s_mov_b64 s[10:11], -1
                                        ; implicit-def: $vgpr4
	s_branch .LBB48_956
.LBB48_952:
	s_mov_b64 s[10:11], -1
                                        ; implicit-def: $vgpr4
.LBB48_953:
	s_andn2_b64 vcc, exec, s[10:11]
	s_cbranch_vccnz .LBB48_955
; %bb.954:
	global_load_dword v3, v[1:2], off
	s_waitcnt vmcnt(0)
	v_cvt_f32_i32_e32 v4, v3
.LBB48_955:
	s_mov_b64 s[10:11], 0
.LBB48_956:
	s_andn2_b64 vcc, exec, s[10:11]
	s_cbranch_vccnz .LBB48_958
; %bb.957:
	global_load_sshort v3, v[1:2], off
	s_waitcnt vmcnt(0)
	v_cvt_f32_i32_e32 v4, v3
.LBB48_958:
	s_cbranch_execnz .LBB48_964
.LBB48_959:
	s_sext_i32_i16 s10, s74
	s_cmp_gt_i32 s10, 0
	s_cbranch_scc0 .LBB48_961
; %bb.960:
	global_load_sbyte v3, v[1:2], off
	s_mov_b64 s[10:11], 0
	s_waitcnt vmcnt(0)
	v_cvt_f32_i32_e32 v4, v3
	s_branch .LBB48_962
.LBB48_961:
	s_mov_b64 s[10:11], -1
                                        ; implicit-def: $vgpr4
.LBB48_962:
	s_andn2_b64 vcc, exec, s[10:11]
	s_cbranch_vccnz .LBB48_964
; %bb.963:
	global_load_ubyte v1, v[1:2], off
	s_waitcnt vmcnt(0)
	v_cvt_f32_ubyte0_e32 v4, v1
.LBB48_964:
	s_or_b64 s[0:1], s[0:1], exec
.LBB48_965:
	s_or_b64 exec, exec, s[8:9]
	s_mov_b64 s[12:13], 0
	s_mov_b64 s[10:11], 0
                                        ; implicit-def: $sgpr18
                                        ; implicit-def: $vgpr1_vgpr2
                                        ; implicit-def: $vgpr3
	s_and_saveexec_b64 s[8:9], s[0:1]
	s_cbranch_execz .LBB48_983
; %bb.966:
	s_waitcnt vmcnt(0)
	v_fma_f32 v1, |v4|, -0.5, 0.5
	v_mul_f32_e32 v2, v4, v4
	v_cmp_ge_f32_e64 vcc, |v4|, 0.5
	v_cndmask_b32_e32 v1, v2, v1, vcc
	v_mov_b32_e32 v2, 0x3c5fc5da
	v_fmac_f32_e32 v2, 0x3d1c21a7, v1
	v_mov_b32_e32 v3, 0x3d034c3c
	v_fmac_f32_e32 v3, v1, v2
	;; [unrolled: 2-line block ×4, first 2 shown]
	v_sqrt_f32_e32 v2, v1
	v_mov_b32_e32 v5, 0x3e2aaaac
	v_fmac_f32_e32 v5, v1, v3
	v_mul_f32_e32 v1, v1, v5
	v_fmac_f32_e32 v2, v2, v1
	v_add_f32_e32 v2, v2, v2
	v_sub_f32_e32 v2, 0x3fc90fdb, v2
	v_fma_f32 v1, |v4|, v1, |v4|
	v_cmp_lt_f32_e64 vcc, |v4|, 0.5
	v_cndmask_b32_e32 v5, v2, v1, vcc
	s_brev_b32 s0, -2
	s_waitcnt lgkmcnt(0)
	v_mov_b32_e32 v2, s25
	s_and_b32 s18, s73, 0xff
	v_add_co_u32_e32 v1, vcc, s24, v0
	v_bfi_b32 v3, s0, v5, v4
	s_cmp_lt_i32 s18, 11
	v_addc_co_u32_e32 v2, vcc, 0, v2, vcc
	s_cbranch_scc1 .LBB48_986
; %bb.967:
	s_and_b32 s19, 0xffff, s18
	s_mov_b64 s[12:13], -1
	s_cmp_gt_i32 s19, 25
	s_mov_b64 s[0:1], s[52:53]
	s_cbranch_scc0 .LBB48_1004
; %bb.968:
	s_mov_b64 s[10:11], -1
	s_cmp_gt_i32 s19, 28
	s_mov_b64 s[0:1], s[52:53]
	s_cbranch_scc0 .LBB48_988
; %bb.969:
	s_cmp_gt_i32 s19, 43
	s_mov_b64 s[0:1], s[52:53]
	s_cbranch_scc0 .LBB48_980
; %bb.970:
	;; [unrolled: 4-line block ×3, first 2 shown]
	s_cmp_eq_u32 s19, 46
	s_mov_b64 s[0:1], -1
	s_cbranch_scc0 .LBB48_973
; %bb.972:
	v_bfe_u32 v0, v3, 16, 1
	s_movk_i32 s0, 0x7fff
	v_add3_u32 v0, v3, v0, s0
	v_cmp_o_f32_e32 vcc, v3, v3
	v_mov_b32_e32 v4, 0x7fc0
	v_cndmask_b32_sdwa v0, v4, v0, vcc dst_sel:DWORD dst_unused:UNUSED_PAD src0_sel:DWORD src1_sel:WORD_1
	global_store_dword v[1:2], v0, off
	s_mov_b64 s[0:1], 0
.LBB48_973:
	s_mov_b64 s[10:11], 0
.LBB48_974:
	s_and_b64 vcc, exec, s[10:11]
	s_cbranch_vccz .LBB48_979
; %bb.975:
	s_cmp_eq_u32 s19, 44
	s_mov_b64 s[0:1], -1
	s_cbranch_scc0 .LBB48_979
; %bb.976:
	v_bfe_u32 v0, v3, 23, 8
	s_movk_i32 s0, 0xff
	v_cmp_ne_u32_e32 vcc, s0, v0
	v_mov_b32_e32 v4, 0xff
	s_and_saveexec_b64 s[10:11], vcc
; %bb.977:
	s_mov_b32 s0, 0x3fffff
	v_and_b32_e32 v6, 0x400000, v3
	v_and_or_b32 v0, v3, s0, v0
	v_cmp_ne_u32_e32 vcc, 0, v6
	v_cmp_ne_u32_e64 s[0:1], 0, v0
	s_and_b64 s[0:1], vcc, s[0:1]
	v_lshrrev_b32_e32 v4, 23, v3
	v_cndmask_b32_e64 v0, 0, 1, s[0:1]
	v_add_u32_e32 v4, v4, v0
; %bb.978:
	s_or_b64 exec, exec, s[10:11]
	s_mov_b64 s[0:1], 0
	global_store_byte v[1:2], v4, off
.LBB48_979:
	s_mov_b64 s[10:11], 0
.LBB48_980:
	s_and_b64 vcc, exec, s[10:11]
	s_cbranch_vccz .LBB48_987
; %bb.981:
	s_cmp_eq_u32 s19, 29
	s_mov_b64 s[0:1], -1
	s_cbranch_scc0 .LBB48_987
; %bb.982:
	v_trunc_f32_e32 v0, v3
	v_mul_f32_e32 v4, 0x2f800000, v0
	v_floor_f32_e32 v4, v4
	v_fmac_f32_e32 v0, 0xcf800000, v4
	v_cvt_u32_f32_e32 v7, v4
	v_cvt_u32_f32_e32 v6, v0
	s_mov_b64 s[0:1], 0
	s_mov_b64 s[10:11], 0
	global_store_dwordx2 v[1:2], v[6:7], off
	s_branch .LBB48_988
.LBB48_983:
	s_or_b64 exec, exec, s[8:9]
	s_and_saveexec_b64 s[0:1], s[52:53]
	s_cbranch_execnz .LBB48_1046
.LBB48_984:
	s_or_b64 exec, exec, s[0:1]
	s_and_saveexec_b64 s[0:1], s[12:13]
	s_xor_b64 s[0:1], exec, s[0:1]
	s_cbranch_execz .LBB48_1047
.LBB48_985:
	s_waitcnt vmcnt(0)
	v_cmp_neq_f32_e32 vcc, 0, v3
	v_cndmask_b32_e64 v0, 0, 1, vcc
	global_store_byte v[1:2], v0, off
	s_or_b64 exec, exec, s[0:1]
	s_and_saveexec_b64 s[0:1], s[10:11]
	s_xor_b64 s[0:1], exec, s[0:1]
	s_cbranch_execz .LBB48_1085
	s_branch .LBB48_1048
.LBB48_986:
	s_mov_b64 s[10:11], -1
	s_mov_b64 s[0:1], s[52:53]
	s_branch .LBB48_1045
.LBB48_987:
	s_mov_b64 s[10:11], 0
.LBB48_988:
	s_and_b64 vcc, exec, s[10:11]
	s_cbranch_vccz .LBB48_1003
; %bb.989:
	s_cmp_lt_i32 s19, 27
	s_mov_b64 s[10:11], -1
	s_cbranch_scc1 .LBB48_995
; %bb.990:
	s_cmp_gt_i32 s19, 27
	s_cbranch_scc0 .LBB48_992
; %bb.991:
	v_cvt_u32_f32_e32 v0, v3
	s_mov_b64 s[10:11], 0
	global_store_dword v[1:2], v0, off
.LBB48_992:
	s_andn2_b64 vcc, exec, s[10:11]
	s_cbranch_vccnz .LBB48_994
; %bb.993:
	v_cvt_u32_f32_e32 v0, v3
	global_store_short v[1:2], v0, off
.LBB48_994:
	s_mov_b64 s[10:11], 0
.LBB48_995:
	s_andn2_b64 vcc, exec, s[10:11]
	s_cbranch_vccnz .LBB48_1003
; %bb.996:
	v_and_b32_e32 v0, 0x7fffffff, v5
	s_mov_b32 s10, 0x43800000
	v_cmp_gt_u32_e32 vcc, s10, v0
	v_mov_b32_e32 v4, 0x80
	s_and_saveexec_b64 s[10:11], vcc
	s_cbranch_execz .LBB48_1002
; %bb.997:
	s_mov_b32 s12, 0x3bffffff
	v_cmp_lt_u32_e32 vcc, s12, v0
	s_mov_b64 s[12:13], 0
                                        ; implicit-def: $vgpr0
	s_and_saveexec_b64 s[14:15], vcc
	s_xor_b64 s[14:15], exec, s[14:15]
	s_cbranch_execz .LBB48_1156
; %bb.998:
	v_bfe_u32 v0, v3, 20, 1
	s_mov_b32 s16, 0x487ffff
	v_add3_u32 v0, v3, v0, s16
	s_mov_b64 s[12:13], exec
	v_lshrrev_b32_e32 v0, 20, v0
	s_andn2_saveexec_b64 s[14:15], s[14:15]
	s_cbranch_execnz .LBB48_1157
.LBB48_999:
	s_or_b64 exec, exec, s[14:15]
	v_mov_b32_e32 v4, 0
	s_and_saveexec_b64 s[14:15], s[12:13]
.LBB48_1000:
	v_lshrrev_b32_e32 v4, 24, v3
	s_movk_i32 s12, 0x80
	v_and_or_b32 v4, v4, s12, v0
.LBB48_1001:
	s_or_b64 exec, exec, s[14:15]
.LBB48_1002:
	s_or_b64 exec, exec, s[10:11]
	global_store_byte v[1:2], v4, off
.LBB48_1003:
	s_mov_b64 s[12:13], 0
.LBB48_1004:
	s_mov_b64 s[10:11], 0
	s_and_b64 vcc, exec, s[12:13]
	s_cbranch_vccz .LBB48_1044
; %bb.1005:
	s_cmp_gt_i32 s19, 22
	s_mov_b64 s[12:13], -1
	s_cbranch_scc0 .LBB48_1037
; %bb.1006:
	s_cmp_lt_i32 s19, 24
	s_cbranch_scc1 .LBB48_1026
; %bb.1007:
	s_cmp_gt_i32 s19, 24
	s_cbranch_scc0 .LBB48_1015
; %bb.1008:
	v_and_b32_e32 v0, 0x7fffffff, v5
	s_mov_b32 s12, 0x47800000
	v_cmp_gt_u32_e32 vcc, s12, v0
	v_mov_b32_e32 v4, 0x80
	s_and_saveexec_b64 s[12:13], vcc
	s_cbranch_execz .LBB48_1014
; %bb.1009:
	s_mov_b32 s14, 0x37ffffff
	v_cmp_lt_u32_e32 vcc, s14, v0
	s_mov_b64 s[14:15], 0
                                        ; implicit-def: $vgpr0
	s_and_saveexec_b64 s[16:17], vcc
	s_xor_b64 s[16:17], exec, s[16:17]
	s_cbranch_execz .LBB48_1281
; %bb.1010:
	v_bfe_u32 v0, v3, 21, 1
	s_mov_b32 s20, 0x88fffff
	v_add3_u32 v0, v3, v0, s20
	s_mov_b64 s[14:15], exec
	v_lshrrev_b32_e32 v0, 21, v0
	s_andn2_saveexec_b64 s[16:17], s[16:17]
	s_cbranch_execnz .LBB48_1282
.LBB48_1011:
	s_or_b64 exec, exec, s[16:17]
	v_mov_b32_e32 v4, 0
	s_and_saveexec_b64 s[16:17], s[14:15]
.LBB48_1012:
	v_lshrrev_b32_e32 v4, 24, v3
	s_movk_i32 s14, 0x80
	v_and_or_b32 v4, v4, s14, v0
.LBB48_1013:
	s_or_b64 exec, exec, s[16:17]
.LBB48_1014:
	s_or_b64 exec, exec, s[12:13]
	s_mov_b64 s[12:13], 0
	global_store_byte v[1:2], v4, off
.LBB48_1015:
	s_and_b64 vcc, exec, s[12:13]
	s_cbranch_vccz .LBB48_1025
; %bb.1016:
	v_and_b32_e32 v4, 0x7fffffff, v5
	s_mov_b32 s12, 0x43f00000
	v_cmp_gt_u32_e32 vcc, s12, v4
                                        ; implicit-def: $vgpr0
	s_and_saveexec_b64 s[12:13], vcc
	s_xor_b64 s[12:13], exec, s[12:13]
	s_cbranch_execz .LBB48_1022
; %bb.1017:
	s_mov_b32 s14, 0x3c7fffff
	v_cmp_lt_u32_e32 vcc, s14, v4
                                        ; implicit-def: $vgpr0
	s_and_saveexec_b64 s[14:15], vcc
	s_xor_b64 s[14:15], exec, s[14:15]
; %bb.1018:
	v_bfe_u32 v0, v3, 20, 1
	s_mov_b32 s16, 0x407ffff
	v_add3_u32 v0, v3, v0, s16
	v_lshrrev_b32_e32 v4, 20, v0
	v_and_b32_e32 v0, 0xff00000, v0
	s_mov_b32 s16, 0x7f00000
	v_mov_b32_e32 v6, 0x7e
	v_cmp_ne_u32_e32 vcc, s16, v0
	v_cndmask_b32_e32 v0, v6, v4, vcc
; %bb.1019:
	s_andn2_saveexec_b64 s[14:15], s[14:15]
; %bb.1020:
	s_mov_b32 s16, 0x46800000
	v_add_f32_e64 v0, |v5|, s16
; %bb.1021:
	s_or_b64 exec, exec, s[14:15]
                                        ; implicit-def: $vgpr4
.LBB48_1022:
	s_andn2_saveexec_b64 s[12:13], s[12:13]
; %bb.1023:
	s_mov_b32 s14, 0x7f800000
	v_mov_b32_e32 v0, 0x7e
	v_mov_b32_e32 v6, 0x7f
	v_cmp_lt_u32_e32 vcc, s14, v4
	v_cndmask_b32_e32 v0, v0, v6, vcc
; %bb.1024:
	s_or_b64 exec, exec, s[12:13]
	v_lshrrev_b32_e32 v4, 24, v3
	s_movk_i32 s12, 0x80
	v_and_or_b32 v0, v4, s12, v0
	global_store_byte v[1:2], v0, off
.LBB48_1025:
	s_mov_b64 s[12:13], 0
.LBB48_1026:
	s_andn2_b64 vcc, exec, s[12:13]
	s_cbranch_vccnz .LBB48_1036
; %bb.1027:
	v_and_b32_e32 v4, 0x7fffffff, v5
	s_mov_b32 s12, 0x47800000
	v_cmp_gt_u32_e32 vcc, s12, v4
                                        ; implicit-def: $vgpr0
	s_and_saveexec_b64 s[12:13], vcc
	s_xor_b64 s[12:13], exec, s[12:13]
	s_cbranch_execz .LBB48_1033
; %bb.1028:
	s_mov_b32 s14, 0x387fffff
	v_cmp_lt_u32_e32 vcc, s14, v4
                                        ; implicit-def: $vgpr0
	s_and_saveexec_b64 s[14:15], vcc
	s_xor_b64 s[14:15], exec, s[14:15]
; %bb.1029:
	v_bfe_u32 v0, v3, 21, 1
	s_mov_b32 s16, 0x80fffff
	v_add3_u32 v0, v3, v0, s16
	v_lshrrev_b32_e32 v0, 21, v0
                                        ; implicit-def: $vgpr5
; %bb.1030:
	s_andn2_saveexec_b64 s[14:15], s[14:15]
; %bb.1031:
	s_mov_b32 s16, 0x43000000
	v_add_f32_e64 v0, |v5|, s16
; %bb.1032:
	s_or_b64 exec, exec, s[14:15]
                                        ; implicit-def: $vgpr4
.LBB48_1033:
	s_andn2_saveexec_b64 s[12:13], s[12:13]
; %bb.1034:
	s_mov_b32 s14, 0x7f800000
	v_mov_b32_e32 v0, 0x7c
	v_mov_b32_e32 v5, 0x7f
	v_cmp_lt_u32_e32 vcc, s14, v4
	v_cndmask_b32_e32 v0, v0, v5, vcc
; %bb.1035:
	s_or_b64 exec, exec, s[12:13]
	v_lshrrev_b32_e32 v4, 24, v3
	s_movk_i32 s12, 0x80
	v_and_or_b32 v0, v4, s12, v0
	global_store_byte v[1:2], v0, off
.LBB48_1036:
	s_mov_b64 s[12:13], 0
.LBB48_1037:
	s_andn2_b64 vcc, exec, s[12:13]
	s_mov_b64 s[12:13], 0
	s_cbranch_vccnz .LBB48_1045
; %bb.1038:
	s_cmp_gt_i32 s19, 14
	s_mov_b64 s[14:15], -1
	s_cbranch_scc0 .LBB48_1042
; %bb.1039:
	s_cmp_eq_u32 s19, 15
	s_mov_b64 s[0:1], -1
	s_cbranch_scc0 .LBB48_1041
; %bb.1040:
	v_bfe_u32 v0, v3, 16, 1
	s_movk_i32 s0, 0x7fff
	v_add3_u32 v0, v3, v0, s0
	v_cmp_o_f32_e32 vcc, v3, v3
	v_mov_b32_e32 v4, 0x7fc0
	v_cndmask_b32_sdwa v0, v4, v0, vcc dst_sel:DWORD dst_unused:UNUSED_PAD src0_sel:DWORD src1_sel:WORD_1
	global_store_short v[1:2], v0, off
	s_mov_b64 s[0:1], 0
.LBB48_1041:
	s_mov_b64 s[14:15], 0
.LBB48_1042:
	s_and_b64 vcc, exec, s[14:15]
	s_cbranch_vccz .LBB48_1045
; %bb.1043:
	s_cmp_lg_u32 s19, 11
	s_cselect_b64 s[14:15], -1, 0
	s_andn2_b64 s[0:1], s[0:1], exec
	s_and_b64 s[14:15], s[14:15], exec
	s_mov_b64 s[12:13], -1
	s_or_b64 s[0:1], s[0:1], s[14:15]
	s_branch .LBB48_1045
.LBB48_1044:
	s_mov_b64 s[12:13], 0
.LBB48_1045:
	s_andn2_b64 s[14:15], s[52:53], exec
	s_and_b64 s[0:1], s[0:1], exec
	s_and_b64 s[10:11], s[10:11], exec
	;; [unrolled: 1-line block ×3, first 2 shown]
	s_or_b64 s[52:53], s[14:15], s[0:1]
	s_or_b64 exec, exec, s[8:9]
	s_and_saveexec_b64 s[0:1], s[52:53]
	s_cbranch_execz .LBB48_984
.LBB48_1046:
	s_or_b64 s[2:3], s[2:3], exec
	s_andn2_b64 s[12:13], s[12:13], exec
	s_trap 2
	s_or_b64 exec, exec, s[0:1]
	s_and_saveexec_b64 s[0:1], s[12:13]
	s_xor_b64 s[0:1], exec, s[0:1]
	s_cbranch_execnz .LBB48_985
.LBB48_1047:
	s_or_b64 exec, exec, s[0:1]
	s_and_saveexec_b64 s[0:1], s[10:11]
	s_xor_b64 s[0:1], exec, s[0:1]
	s_cbranch_execz .LBB48_1085
.LBB48_1048:
	s_sext_i32_i16 s10, s18
	s_cmp_lt_i32 s10, 5
	s_mov_b64 s[8:9], -1
	s_cbranch_scc1 .LBB48_1069
; %bb.1049:
	s_cmp_lt_i32 s10, 8
	s_cbranch_scc1 .LBB48_1059
; %bb.1050:
	s_cmp_lt_i32 s10, 9
	s_cbranch_scc1 .LBB48_1056
; %bb.1051:
	s_cmp_gt_i32 s10, 9
	s_cbranch_scc0 .LBB48_1053
; %bb.1052:
	s_waitcnt vmcnt(0)
	v_cvt_f64_f32_e32 v[4:5], v3
	v_mov_b32_e32 v6, 0
	v_mov_b32_e32 v7, v6
	s_mov_b64 s[8:9], 0
	global_store_dwordx4 v[1:2], v[4:7], off
.LBB48_1053:
	s_andn2_b64 vcc, exec, s[8:9]
	s_cbranch_vccnz .LBB48_1055
; %bb.1054:
	s_waitcnt vmcnt(0)
	v_mov_b32_e32 v4, 0
	global_store_dwordx2 v[1:2], v[3:4], off
.LBB48_1055:
	s_mov_b64 s[8:9], 0
.LBB48_1056:
	s_andn2_b64 vcc, exec, s[8:9]
	s_cbranch_vccnz .LBB48_1058
; %bb.1057:
	s_waitcnt vmcnt(0)
	v_cvt_f16_f32_e32 v0, v3
	global_store_dword v[1:2], v0, off
.LBB48_1058:
	s_mov_b64 s[8:9], 0
.LBB48_1059:
	s_andn2_b64 vcc, exec, s[8:9]
	s_cbranch_vccnz .LBB48_1068
; %bb.1060:
	s_sext_i32_i16 s10, s18
	s_cmp_lt_i32 s10, 6
	s_mov_b64 s[8:9], -1
	s_cbranch_scc1 .LBB48_1066
; %bb.1061:
	s_cmp_gt_i32 s10, 6
	s_cbranch_scc0 .LBB48_1063
; %bb.1062:
	s_waitcnt vmcnt(0)
	v_cvt_f64_f32_e32 v[4:5], v3
	s_mov_b64 s[8:9], 0
	global_store_dwordx2 v[1:2], v[4:5], off
.LBB48_1063:
	s_andn2_b64 vcc, exec, s[8:9]
	s_cbranch_vccnz .LBB48_1065
; %bb.1064:
	s_waitcnt vmcnt(0)
	global_store_dword v[1:2], v3, off
.LBB48_1065:
	s_mov_b64 s[8:9], 0
.LBB48_1066:
	s_andn2_b64 vcc, exec, s[8:9]
	s_cbranch_vccnz .LBB48_1068
; %bb.1067:
	s_waitcnt vmcnt(0)
	v_cvt_f16_f32_e32 v0, v3
	global_store_short v[1:2], v0, off
.LBB48_1068:
	s_mov_b64 s[8:9], 0
.LBB48_1069:
	s_andn2_b64 vcc, exec, s[8:9]
	s_cbranch_vccnz .LBB48_1085
; %bb.1070:
	s_sext_i32_i16 s10, s18
	s_cmp_lt_i32 s10, 2
	s_mov_b64 s[8:9], -1
	s_cbranch_scc1 .LBB48_1080
; %bb.1071:
	s_cmp_lt_i32 s10, 3
	s_cbranch_scc1 .LBB48_1077
; %bb.1072:
	s_cmp_gt_i32 s10, 3
	s_cbranch_scc0 .LBB48_1074
; %bb.1073:
	s_waitcnt vmcnt(0)
	v_trunc_f32_e32 v0, v3
	s_mov_b32 s8, 0x2f800000
	v_mul_f32_e64 v4, |v0|, s8
	v_floor_f32_e32 v4, v4
	s_mov_b32 s8, 0xcf800000
	v_cvt_u32_f32_e32 v5, v4
	v_fma_f32 v4, v4, s8, |v0|
	v_cvt_u32_f32_e32 v4, v4
	v_ashrrev_i32_e32 v0, 31, v0
	v_xor_b32_e32 v5, v5, v0
	s_mov_b64 s[8:9], 0
	v_xor_b32_e32 v4, v4, v0
	v_sub_co_u32_e32 v4, vcc, v4, v0
	v_subb_co_u32_e32 v5, vcc, v5, v0, vcc
	global_store_dwordx2 v[1:2], v[4:5], off
.LBB48_1074:
	s_andn2_b64 vcc, exec, s[8:9]
	s_cbranch_vccnz .LBB48_1076
; %bb.1075:
	s_waitcnt vmcnt(0)
	v_cvt_i32_f32_e32 v0, v3
	global_store_dword v[1:2], v0, off
.LBB48_1076:
	s_mov_b64 s[8:9], 0
.LBB48_1077:
	s_andn2_b64 vcc, exec, s[8:9]
	s_cbranch_vccnz .LBB48_1079
; %bb.1078:
	s_waitcnt vmcnt(0)
	v_cvt_i32_f32_e32 v0, v3
	global_store_short v[1:2], v0, off
.LBB48_1079:
	s_mov_b64 s[8:9], 0
.LBB48_1080:
	s_andn2_b64 vcc, exec, s[8:9]
	s_cbranch_vccnz .LBB48_1085
; %bb.1081:
	s_sext_i32_i16 s8, s18
	s_cmp_gt_i32 s8, 0
	s_mov_b64 s[8:9], -1
	s_cbranch_scc0 .LBB48_1083
; %bb.1082:
	s_waitcnt vmcnt(0)
	v_cvt_i32_f32_e32 v0, v3
	s_mov_b64 s[8:9], 0
	global_store_byte v[1:2], v0, off
.LBB48_1083:
	s_andn2_b64 vcc, exec, s[8:9]
	s_cbranch_vccnz .LBB48_1085
; %bb.1084:
	s_waitcnt vmcnt(0)
	v_trunc_f32_e32 v0, v3
	s_mov_b32 s8, 0x2f800000
	v_mul_f32_e64 v3, |v0|, s8
	v_floor_f32_e32 v3, v3
	s_mov_b32 s8, 0xcf800000
	v_fma_f32 v3, v3, s8, |v0|
	v_cvt_u32_f32_e32 v3, v3
	v_ashrrev_i32_e32 v0, 31, v0
	v_xor_b32_e32 v3, v3, v0
	v_sub_u32_e32 v0, v3, v0
	global_store_byte v[1:2], v0, off
.LBB48_1085:
	s_or_b64 exec, exec, s[0:1]
	s_waitcnt lgkmcnt(0)
	s_and_b64 s[28:29], s[2:3], exec
                                        ; implicit-def: $vgpr15
                                        ; implicit-def: $vgpr8
.LBB48_1086:
	s_or_saveexec_b64 s[30:31], s[42:43]
	s_mov_b64 s[0:1], 0
                                        ; implicit-def: $vgpr0_vgpr1
                                        ; implicit-def: $sgpr14
                                        ; implicit-def: $vgpr2
	s_xor_b64 exec, exec, s[30:31]
	s_cbranch_execz .LBB48_2090
; %bb.1087:
	v_cndmask_b32_e64 v0, 0, 1, s[40:41]
	v_cmp_ne_u32_e64 s[0:1], 1, v0
	s_andn2_b64 vcc, exec, s[40:41]
	s_cbranch_vccnz .LBB48_1093
; %bb.1088:
	s_cmp_lg_u32 s33, 0
	s_mov_b32 s36, 0
	s_cbranch_scc0 .LBB48_1094
; %bb.1089:
	s_min_u32 s37, s72, 15
	s_add_i32 s37, s37, 1
	s_cmp_eq_u32 s72, 2
	s_cbranch_scc1 .LBB48_1095
; %bb.1090:
	s_and_b32 s36, s37, 28
	s_add_u32 s2, s34, 0xc4
	s_addc_u32 s3, s35, 0
	v_mov_b32_e32 v13, 0
	s_mov_b32 s38, 0
	s_mov_b64 s[6:7], s[34:35]
	v_mov_b32_e32 v6, 0
	v_mov_b32_e32 v0, v8
.LBB48_1091:                            ; =>This Inner Loop Header: Depth=1
	s_load_dwordx8 s[16:23], s[6:7], 0x4
	s_load_dwordx4 s[24:27], s[6:7], 0x24
	s_load_dwordx8 s[8:15], s[2:3], 0x0
	s_add_u32 s6, s6, 48
	s_addc_u32 s7, s7, 0
	s_waitcnt lgkmcnt(0)
	v_mul_hi_u32 v1, s17, v0
	s_add_i32 s38, s38, 4
	s_add_u32 s2, s2, 32
	s_addc_u32 s3, s3, 0
	v_add_u32_e32 v1, v0, v1
	v_lshrrev_b32_e32 v1, s18, v1
	v_mul_lo_u32 v2, v1, s16
	s_waitcnt vmcnt(0)
	v_mul_hi_u32 v3, s20, v1
	s_cmp_lg_u32 s36, s38
	v_sub_u32_e32 v0, v0, v2
	v_add_u32_e32 v2, v1, v3
	v_mul_lo_u32 v3, v0, s8
	v_mul_lo_u32 v4, v0, s9
	v_lshrrev_b32_e32 v0, s21, v2
	v_mul_lo_u32 v2, v0, s19
	v_mul_hi_u32 v5, s23, v0
	v_sub_u32_e32 v1, v1, v2
	v_add_u32_e32 v2, v0, v5
	v_lshrrev_b32_e32 v2, s24, v2
	v_mul_hi_u32 v7, s26, v2
	v_mul_lo_u32 v9, v2, s22
	v_mul_lo_u32 v5, v1, s10
	;; [unrolled: 1-line block ×3, first 2 shown]
	v_sub_u32_e32 v9, v0, v9
	v_add_u32_e32 v0, v2, v7
	v_lshrrev_b32_e32 v0, s27, v0
	v_mul_lo_u32 v7, v0, s25
	v_mul_lo_u32 v10, v9, s12
	;; [unrolled: 1-line block ×3, first 2 shown]
	v_add3_u32 v3, v3, v6, v5
	v_sub_u32_e32 v2, v2, v7
	v_mul_lo_u32 v7, v2, s14
	v_mul_lo_u32 v2, v2, s15
	v_add3_u32 v1, v4, v13, v1
	v_add3_u32 v6, v10, v3, v7
	;; [unrolled: 1-line block ×3, first 2 shown]
	s_cbranch_scc1 .LBB48_1091
; %bb.1092:
	s_and_b32 s8, s37, 3
	s_cmp_eq_u32 s8, 0
	s_cbranch_scc0 .LBB48_1096
	s_branch .LBB48_1098
.LBB48_1093:
                                        ; implicit-def: $vgpr6
                                        ; implicit-def: $vgpr13
	s_branch .LBB48_1099
.LBB48_1094:
	v_mov_b32_e32 v6, 0
	v_mov_b32_e32 v13, 0
	s_branch .LBB48_1098
.LBB48_1095:
	v_mov_b32_e32 v6, 0
	v_mov_b32_e32 v13, 0
	;; [unrolled: 1-line block ×3, first 2 shown]
	s_and_b32 s8, s37, 3
	s_cmp_eq_u32 s8, 0
	s_cbranch_scc1 .LBB48_1098
.LBB48_1096:
	s_lshl_b32 s2, s36, 3
	s_add_u32 s2, s34, s2
	s_addc_u32 s3, s35, 0
	s_add_u32 s2, s2, 0xc4
	s_addc_u32 s3, s3, 0
	s_mul_i32 s6, s36, 12
	s_add_u32 s6, s34, s6
	s_addc_u32 s7, s35, 0
.LBB48_1097:                            ; =>This Inner Loop Header: Depth=1
	s_load_dwordx2 s[10:11], s[6:7], 0x4
	s_load_dword s9, s[6:7], 0xc
	s_load_dwordx2 s[12:13], s[2:3], 0x0
	s_add_u32 s6, s6, 12
	s_addc_u32 s7, s7, 0
	s_waitcnt lgkmcnt(0)
	v_mul_hi_u32 v1, s11, v0
	s_add_u32 s2, s2, 8
	s_addc_u32 s3, s3, 0
	s_add_i32 s8, s8, -1
	v_add_u32_e32 v1, v0, v1
	v_lshrrev_b32_e32 v1, s9, v1
	v_mul_lo_u32 v2, v1, s10
	s_cmp_lg_u32 s8, 0
	v_sub_u32_e32 v0, v0, v2
	v_mad_u64_u32 v[6:7], s[10:11], v0, s12, v[6:7]
	v_mad_u64_u32 v[13:14], s[10:11], v0, s13, v[13:14]
	v_mov_b32_e32 v0, v1
	s_cbranch_scc1 .LBB48_1097
.LBB48_1098:
	s_cbranch_execnz .LBB48_1101
.LBB48_1099:
	s_load_dwordx4 s[8:11], s[34:35], 0x4
	s_load_dwordx2 s[2:3], s[34:35], 0xc4
	s_cmp_lt_u32 s33, 2
	s_waitcnt lgkmcnt(0)
	v_mul_hi_u32 v0, s9, v8
	v_add_u32_e32 v0, v8, v0
	v_lshrrev_b32_e32 v0, s10, v0
	v_mul_lo_u32 v1, v0, s8
	v_sub_u32_e32 v1, v8, v1
	v_mul_lo_u32 v6, v1, s2
	v_mul_lo_u32 v13, v1, s3
	s_cbranch_scc1 .LBB48_1101
; %bb.1100:
	s_load_dwordx4 s[8:11], s[34:35], 0x10
	s_load_dwordx2 s[2:3], s[34:35], 0xcc
	s_waitcnt lgkmcnt(0)
	v_mul_hi_u32 v1, s9, v0
	v_add_u32_e32 v1, v0, v1
	v_lshrrev_b32_e32 v1, s10, v1
	v_mul_lo_u32 v1, v1, s8
	v_sub_u32_e32 v0, v0, v1
	v_mad_u64_u32 v[6:7], s[6:7], v0, s2, v[6:7]
	v_mad_u64_u32 v[13:14], s[2:3], v0, s3, v[13:14]
.LBB48_1101:
	s_and_b64 vcc, exec, s[0:1]
	v_add_u32_e32 v0, 0x80, v8
	s_cbranch_vccnz .LBB48_1107
; %bb.1102:
	s_cmp_lg_u32 s33, 0
	s_mov_b32 s36, 0
	s_cbranch_scc0 .LBB48_1108
; %bb.1103:
	s_min_u32 s37, s72, 15
	s_add_i32 s37, s37, 1
	s_cmp_eq_u32 s72, 2
	s_cbranch_scc1 .LBB48_1109
; %bb.1104:
	s_and_b32 s36, s37, 28
	s_add_u32 s2, s34, 0xc4
	s_addc_u32 s3, s35, 0
	v_mov_b32_e32 v11, 0
	s_mov_b32 s38, 0
	s_mov_b64 s[6:7], s[34:35]
	s_waitcnt vmcnt(0)
	v_mov_b32_e32 v4, 0
	v_mov_b32_e32 v1, v0
.LBB48_1105:                            ; =>This Inner Loop Header: Depth=1
	s_load_dwordx8 s[16:23], s[6:7], 0x4
	s_load_dwordx4 s[24:27], s[6:7], 0x24
	s_load_dwordx8 s[8:15], s[2:3], 0x0
	s_add_u32 s6, s6, 48
	s_addc_u32 s7, s7, 0
	s_waitcnt lgkmcnt(0)
	v_mul_hi_u32 v2, s17, v1
	s_add_i32 s38, s38, 4
	s_add_u32 s2, s2, 32
	s_addc_u32 s3, s3, 0
	v_add_u32_e32 v2, v1, v2
	v_lshrrev_b32_e32 v2, s18, v2
	v_mul_lo_u32 v3, v2, s16
	v_mul_hi_u32 v5, s20, v2
	s_cmp_lg_u32 s36, s38
	v_sub_u32_e32 v1, v1, v3
	v_add_u32_e32 v3, v2, v5
	v_mul_lo_u32 v5, v1, s8
	v_mul_lo_u32 v7, v1, s9
	v_lshrrev_b32_e32 v1, s21, v3
	v_mul_lo_u32 v3, v1, s19
	v_mul_hi_u32 v9, s23, v1
	v_sub_u32_e32 v2, v2, v3
	v_add_u32_e32 v3, v1, v9
	v_lshrrev_b32_e32 v3, s24, v3
	v_mul_hi_u32 v10, s26, v3
	v_mul_lo_u32 v12, v3, s22
	v_mul_lo_u32 v9, v2, s10
	;; [unrolled: 1-line block ×3, first 2 shown]
	v_sub_u32_e32 v12, v1, v12
	v_add_u32_e32 v1, v3, v10
	v_lshrrev_b32_e32 v1, s27, v1
	v_mul_lo_u32 v10, v1, s25
	v_mul_lo_u32 v14, v12, s12
	;; [unrolled: 1-line block ×3, first 2 shown]
	v_add3_u32 v4, v5, v4, v9
	v_sub_u32_e32 v3, v3, v10
	v_mul_lo_u32 v10, v3, s14
	v_mul_lo_u32 v3, v3, s15
	v_add3_u32 v2, v7, v11, v2
	v_add3_u32 v4, v14, v4, v10
	;; [unrolled: 1-line block ×3, first 2 shown]
	s_cbranch_scc1 .LBB48_1105
; %bb.1106:
	s_and_b32 s8, s37, 3
	s_cmp_eq_u32 s8, 0
	s_cbranch_scc0 .LBB48_1110
	s_branch .LBB48_1112
.LBB48_1107:
                                        ; implicit-def: $vgpr4
                                        ; implicit-def: $vgpr11
	s_branch .LBB48_1113
.LBB48_1108:
	s_waitcnt vmcnt(0)
	v_mov_b32_e32 v4, 0
	v_mov_b32_e32 v11, 0
	s_branch .LBB48_1112
.LBB48_1109:
	s_waitcnt vmcnt(0)
	v_mov_b32_e32 v4, 0
	v_mov_b32_e32 v11, 0
	;; [unrolled: 1-line block ×3, first 2 shown]
	s_and_b32 s8, s37, 3
	s_cmp_eq_u32 s8, 0
	s_cbranch_scc1 .LBB48_1112
.LBB48_1110:
	s_lshl_b32 s2, s36, 3
	s_add_u32 s2, s34, s2
	s_addc_u32 s3, s35, 0
	s_add_u32 s2, s2, 0xc4
	s_addc_u32 s3, s3, 0
	s_mul_i32 s6, s36, 12
	s_add_u32 s6, s34, s6
	s_addc_u32 s7, s35, 0
.LBB48_1111:                            ; =>This Inner Loop Header: Depth=1
	s_load_dwordx2 s[10:11], s[6:7], 0x4
	s_load_dword s9, s[6:7], 0xc
	s_load_dwordx2 s[12:13], s[2:3], 0x0
	s_add_u32 s6, s6, 12
	s_addc_u32 s7, s7, 0
	s_waitcnt lgkmcnt(0)
	v_mul_hi_u32 v2, s11, v1
	s_add_u32 s2, s2, 8
	s_addc_u32 s3, s3, 0
	s_add_i32 s8, s8, -1
	v_add_u32_e32 v2, v1, v2
	v_lshrrev_b32_e32 v2, s9, v2
	v_mul_lo_u32 v3, v2, s10
	s_cmp_lg_u32 s8, 0
	v_sub_u32_e32 v1, v1, v3
	v_mad_u64_u32 v[4:5], s[10:11], v1, s12, v[4:5]
	v_mad_u64_u32 v[11:12], s[10:11], v1, s13, v[11:12]
	v_mov_b32_e32 v1, v2
	s_cbranch_scc1 .LBB48_1111
.LBB48_1112:
	s_cbranch_execnz .LBB48_1115
.LBB48_1113:
	s_load_dwordx4 s[8:11], s[34:35], 0x4
	s_load_dwordx2 s[2:3], s[34:35], 0xc4
	s_cmp_lt_u32 s33, 2
	s_waitcnt lgkmcnt(0)
	v_mul_hi_u32 v1, s9, v0
	v_add_u32_e32 v1, v0, v1
	v_lshrrev_b32_e32 v1, s10, v1
	v_mul_lo_u32 v2, v1, s8
	v_sub_u32_e32 v0, v0, v2
	s_waitcnt vmcnt(0)
	v_mul_lo_u32 v4, v0, s2
	v_mul_lo_u32 v11, v0, s3
	s_cbranch_scc1 .LBB48_1115
; %bb.1114:
	s_load_dwordx4 s[8:11], s[34:35], 0x10
	s_load_dwordx2 s[2:3], s[34:35], 0xcc
	s_waitcnt lgkmcnt(0)
	v_mul_hi_u32 v0, s9, v1
	v_add_u32_e32 v0, v1, v0
	v_lshrrev_b32_e32 v0, s10, v0
	v_mul_lo_u32 v0, v0, s8
	v_sub_u32_e32 v0, v1, v0
	v_mad_u64_u32 v[4:5], s[6:7], v0, s2, v[4:5]
	v_mad_u64_u32 v[11:12], s[2:3], v0, s3, v[11:12]
.LBB48_1115:
	s_and_b64 vcc, exec, s[0:1]
	v_add_u32_e32 v0, 0x100, v8
	s_cbranch_vccnz .LBB48_1121
; %bb.1116:
	s_cmp_lg_u32 s33, 0
	s_mov_b32 s36, 0
	s_cbranch_scc0 .LBB48_1122
; %bb.1117:
	s_min_u32 s37, s72, 15
	s_add_i32 s37, s37, 1
	s_cmp_eq_u32 s72, 2
	s_cbranch_scc1 .LBB48_1123
; %bb.1118:
	s_and_b32 s36, s37, 28
	s_add_u32 s2, s34, 0xc4
	s_addc_u32 s3, s35, 0
	v_mov_b32_e32 v9, 0
	s_mov_b32 s38, 0
	s_mov_b64 s[6:7], s[34:35]
	v_mov_b32_e32 v2, 0
	v_mov_b32_e32 v1, v0
.LBB48_1119:                            ; =>This Inner Loop Header: Depth=1
	s_load_dwordx8 s[16:23], s[6:7], 0x4
	s_load_dwordx4 s[24:27], s[6:7], 0x24
	s_load_dwordx8 s[8:15], s[2:3], 0x0
	s_add_u32 s6, s6, 48
	s_addc_u32 s7, s7, 0
	s_waitcnt vmcnt(0) lgkmcnt(0)
	v_mul_hi_u32 v3, s17, v1
	s_add_i32 s38, s38, 4
	s_add_u32 s2, s2, 32
	s_addc_u32 s3, s3, 0
	v_add_u32_e32 v3, v1, v3
	v_lshrrev_b32_e32 v3, s18, v3
	v_mul_lo_u32 v5, v3, s16
	v_mul_hi_u32 v7, s20, v3
	s_cmp_lg_u32 s36, s38
	v_sub_u32_e32 v1, v1, v5
	v_add_u32_e32 v5, v3, v7
	v_mul_lo_u32 v7, v1, s8
	v_mul_lo_u32 v8, v1, s9
	v_lshrrev_b32_e32 v1, s21, v5
	v_mul_lo_u32 v5, v1, s19
	v_mul_hi_u32 v10, s23, v1
	v_sub_u32_e32 v3, v3, v5
	v_add_u32_e32 v5, v1, v10
	v_lshrrev_b32_e32 v5, s24, v5
	v_mul_hi_u32 v12, s26, v5
	v_mul_lo_u32 v14, v5, s22
	v_mul_lo_u32 v10, v3, s10
	v_mul_lo_u32 v3, v3, s11
	v_sub_u32_e32 v14, v1, v14
	v_add_u32_e32 v1, v5, v12
	v_lshrrev_b32_e32 v1, s27, v1
	v_mul_lo_u32 v12, v1, s25
	v_mul_lo_u32 v16, v14, s12
	;; [unrolled: 1-line block ×3, first 2 shown]
	v_add3_u32 v2, v7, v2, v10
	v_sub_u32_e32 v5, v5, v12
	v_mul_lo_u32 v12, v5, s14
	v_mul_lo_u32 v5, v5, s15
	v_add3_u32 v3, v8, v9, v3
	v_add3_u32 v2, v16, v2, v12
	;; [unrolled: 1-line block ×3, first 2 shown]
	s_cbranch_scc1 .LBB48_1119
; %bb.1120:
	s_and_b32 s8, s37, 3
	s_cmp_eq_u32 s8, 0
	s_cbranch_scc0 .LBB48_1124
	s_branch .LBB48_1126
.LBB48_1121:
                                        ; implicit-def: $vgpr2
                                        ; implicit-def: $vgpr9
	s_branch .LBB48_1127
.LBB48_1122:
	v_mov_b32_e32 v2, 0
	v_mov_b32_e32 v9, 0
	s_branch .LBB48_1126
.LBB48_1123:
	v_mov_b32_e32 v2, 0
	v_mov_b32_e32 v9, 0
	;; [unrolled: 1-line block ×3, first 2 shown]
	s_and_b32 s8, s37, 3
	s_cmp_eq_u32 s8, 0
	s_cbranch_scc1 .LBB48_1126
.LBB48_1124:
	s_lshl_b32 s2, s36, 3
	s_add_u32 s2, s34, s2
	s_addc_u32 s3, s35, 0
	s_add_u32 s2, s2, 0xc4
	s_addc_u32 s3, s3, 0
	s_mul_i32 s6, s36, 12
	s_add_u32 s6, s34, s6
	s_addc_u32 s7, s35, 0
.LBB48_1125:                            ; =>This Inner Loop Header: Depth=1
	s_load_dwordx2 s[10:11], s[6:7], 0x4
	s_load_dword s9, s[6:7], 0xc
	s_load_dwordx2 s[12:13], s[2:3], 0x0
	s_add_u32 s6, s6, 12
	s_addc_u32 s7, s7, 0
	s_waitcnt vmcnt(0) lgkmcnt(0)
	v_mul_hi_u32 v3, s11, v1
	s_add_u32 s2, s2, 8
	s_addc_u32 s3, s3, 0
	s_add_i32 s8, s8, -1
	v_add_u32_e32 v3, v1, v3
	v_lshrrev_b32_e32 v5, s9, v3
	v_mul_lo_u32 v3, v5, s10
	s_cmp_lg_u32 s8, 0
	v_sub_u32_e32 v1, v1, v3
	v_mad_u64_u32 v[2:3], s[10:11], v1, s12, v[2:3]
	v_mad_u64_u32 v[9:10], s[10:11], v1, s13, v[9:10]
	v_mov_b32_e32 v1, v5
	s_cbranch_scc1 .LBB48_1125
.LBB48_1126:
	s_cbranch_execnz .LBB48_1129
.LBB48_1127:
	s_load_dwordx4 s[8:11], s[34:35], 0x4
	s_load_dwordx2 s[2:3], s[34:35], 0xc4
	s_cmp_lt_u32 s33, 2
	s_waitcnt lgkmcnt(0)
	v_mul_hi_u32 v1, s9, v0
	v_add_u32_e32 v1, v0, v1
	v_lshrrev_b32_e32 v1, s10, v1
	v_mul_lo_u32 v2, v1, s8
	v_sub_u32_e32 v0, v0, v2
	v_mul_lo_u32 v2, v0, s2
	v_mul_lo_u32 v9, v0, s3
	s_cbranch_scc1 .LBB48_1129
; %bb.1128:
	s_load_dwordx4 s[8:11], s[34:35], 0x10
	s_load_dwordx2 s[2:3], s[34:35], 0xcc
	s_waitcnt lgkmcnt(0)
	v_mul_hi_u32 v0, s9, v1
	v_add_u32_e32 v0, v1, v0
	v_lshrrev_b32_e32 v0, s10, v0
	v_mul_lo_u32 v0, v0, s8
	v_sub_u32_e32 v0, v1, v0
	s_waitcnt vmcnt(0)
	v_mad_u64_u32 v[2:3], s[6:7], v0, s2, v[2:3]
	v_mad_u64_u32 v[9:10], s[2:3], v0, s3, v[9:10]
.LBB48_1129:
	s_and_b64 vcc, exec, s[0:1]
	s_cbranch_vccnz .LBB48_1135
; %bb.1130:
	s_cmp_lg_u32 s33, 0
	s_mov_b32 s26, 0
	s_cbranch_scc0 .LBB48_1136
; %bb.1131:
	s_min_u32 s27, s72, 15
	s_add_i32 s27, s27, 1
	s_cmp_eq_u32 s72, 2
	s_cbranch_scc1 .LBB48_1137
; %bb.1132:
	s_and_b32 s26, s27, 28
	s_add_u32 s6, s34, 0xc4
	s_addc_u32 s7, s35, 0
	v_mov_b32_e32 v7, 0
	s_mov_b32 s36, 0
	s_mov_b64 s[24:25], s[34:35]
	v_mov_b32_e32 v0, 0
	v_mov_b32_e32 v1, v15
.LBB48_1133:                            ; =>This Inner Loop Header: Depth=1
	s_load_dwordx8 s[16:23], s[24:25], 0x4
	s_load_dwordx4 s[0:3], s[24:25], 0x24
	s_load_dwordx8 s[8:15], s[6:7], 0x0
	s_add_u32 s24, s24, 48
	s_addc_u32 s25, s25, 0
	s_waitcnt vmcnt(0) lgkmcnt(0)
	v_mul_hi_u32 v3, s17, v1
	s_add_i32 s36, s36, 4
	s_add_u32 s6, s6, 32
	s_addc_u32 s7, s7, 0
	v_add_u32_e32 v3, v1, v3
	v_lshrrev_b32_e32 v3, s18, v3
	v_mul_lo_u32 v5, v3, s16
	v_mul_hi_u32 v8, s20, v3
	s_cmp_lg_u32 s26, s36
	v_sub_u32_e32 v1, v1, v5
	v_add_u32_e32 v5, v3, v8
	v_mul_lo_u32 v8, v1, s8
	v_mul_lo_u32 v10, v1, s9
	v_lshrrev_b32_e32 v1, s21, v5
	v_mul_lo_u32 v5, v1, s19
	v_mul_hi_u32 v12, s23, v1
	v_sub_u32_e32 v3, v3, v5
	v_add_u32_e32 v5, v1, v12
	v_lshrrev_b32_e32 v5, s0, v5
	v_mul_hi_u32 v14, s2, v5
	v_mul_lo_u32 v16, v5, s22
	v_mul_lo_u32 v12, v3, s10
	;; [unrolled: 1-line block ×3, first 2 shown]
	v_sub_u32_e32 v16, v1, v16
	v_add_u32_e32 v1, v5, v14
	v_lshrrev_b32_e32 v1, s3, v1
	v_mul_lo_u32 v14, v1, s1
	v_mul_lo_u32 v17, v16, s12
	v_mul_lo_u32 v16, v16, s13
	v_add3_u32 v0, v8, v0, v12
	v_sub_u32_e32 v5, v5, v14
	v_mul_lo_u32 v14, v5, s14
	v_mul_lo_u32 v5, v5, s15
	v_add3_u32 v3, v10, v7, v3
	v_add3_u32 v0, v17, v0, v14
	;; [unrolled: 1-line block ×3, first 2 shown]
	s_cbranch_scc1 .LBB48_1133
; %bb.1134:
	s_and_b32 s6, s27, 3
	s_cmp_eq_u32 s6, 0
	s_cbranch_scc0 .LBB48_1138
	s_branch .LBB48_1140
.LBB48_1135:
                                        ; implicit-def: $vgpr0
                                        ; implicit-def: $vgpr7
	s_branch .LBB48_1141
.LBB48_1136:
	v_mov_b32_e32 v0, 0
	v_mov_b32_e32 v7, 0
	s_branch .LBB48_1140
.LBB48_1137:
	v_mov_b32_e32 v0, 0
	v_mov_b32_e32 v7, 0
	;; [unrolled: 1-line block ×3, first 2 shown]
	s_and_b32 s6, s27, 3
	s_cmp_eq_u32 s6, 0
	s_cbranch_scc1 .LBB48_1140
.LBB48_1138:
	s_lshl_b32 s0, s26, 3
	s_add_u32 s0, s34, s0
	s_addc_u32 s1, s35, 0
	s_add_u32 s0, s0, 0xc4
	s_addc_u32 s1, s1, 0
	s_mul_i32 s2, s26, 12
	s_add_u32 s2, s34, s2
	s_addc_u32 s3, s35, 0
.LBB48_1139:                            ; =>This Inner Loop Header: Depth=1
	s_load_dwordx2 s[8:9], s[2:3], 0x4
	s_load_dword s7, s[2:3], 0xc
	s_load_dwordx2 s[10:11], s[0:1], 0x0
	s_add_u32 s2, s2, 12
	s_addc_u32 s3, s3, 0
	s_waitcnt vmcnt(0) lgkmcnt(0)
	v_mul_hi_u32 v3, s9, v1
	s_add_u32 s0, s0, 8
	s_addc_u32 s1, s1, 0
	s_add_i32 s6, s6, -1
	v_add_u32_e32 v3, v1, v3
	v_lshrrev_b32_e32 v3, s7, v3
	v_mul_lo_u32 v5, v3, s8
	s_cmp_lg_u32 s6, 0
	v_sub_u32_e32 v5, v1, v5
	v_mad_u64_u32 v[0:1], s[8:9], v5, s10, v[0:1]
	v_mad_u64_u32 v[7:8], s[8:9], v5, s11, v[7:8]
	v_mov_b32_e32 v1, v3
	s_cbranch_scc1 .LBB48_1139
.LBB48_1140:
	s_cbranch_execnz .LBB48_1143
.LBB48_1141:
	s_load_dwordx4 s[0:3], s[34:35], 0x4
	s_load_dwordx2 s[6:7], s[34:35], 0xc4
	s_cmp_lt_u32 s33, 2
	s_waitcnt lgkmcnt(0)
	v_mul_hi_u32 v0, s1, v15
	v_add_u32_e32 v0, v15, v0
	v_lshrrev_b32_e32 v1, s2, v0
	v_mul_lo_u32 v0, v1, s0
	s_waitcnt vmcnt(0)
	v_sub_u32_e32 v3, v15, v0
	v_mul_lo_u32 v0, v3, s6
	v_mul_lo_u32 v7, v3, s7
	s_cbranch_scc1 .LBB48_1143
; %bb.1142:
	s_load_dwordx4 s[0:3], s[34:35], 0x10
	s_load_dwordx2 s[6:7], s[34:35], 0xcc
	s_waitcnt lgkmcnt(0)
	v_mul_hi_u32 v3, s1, v1
	v_add_u32_e32 v3, v1, v3
	v_lshrrev_b32_e32 v3, s2, v3
	v_mul_lo_u32 v3, v3, s0
	v_sub_u32_e32 v3, v1, v3
	v_mad_u64_u32 v[0:1], s[0:1], v3, s6, v[0:1]
	v_mad_u64_u32 v[7:8], s[0:1], v3, s7, v[7:8]
.LBB48_1143:
	s_load_dwordx4 s[8:11], s[34:35], 0x148
	s_load_dword s16, s[4:5], 0x160
	s_waitcnt lgkmcnt(0)
	v_mov_b32_e32 v1, s11
	s_bfe_u32 s14, s16, 0x80010
	v_add_co_u32_e32 v12, vcc, s10, v13
	s_cmp_lt_i32 s14, 11
	v_addc_co_u32_e32 v13, vcc, 0, v1, vcc
	s_cbranch_scc1 .LBB48_1150
; %bb.1144:
	s_and_b32 s15, 0xffff, s14
	s_cmp_gt_i32 s15, 25
	s_mov_b64 s[4:5], 0
	s_cbranch_scc0 .LBB48_1152
; %bb.1145:
	s_cmp_gt_i32 s15, 28
	s_cbranch_scc0 .LBB48_1153
; %bb.1146:
	s_cmp_gt_i32 s15, 43
	;; [unrolled: 3-line block ×3, first 2 shown]
	s_cbranch_scc0 .LBB48_1155
; %bb.1148:
	s_cmp_eq_u32 s15, 46
	s_mov_b64 s[2:3], 0
	s_cbranch_scc0 .LBB48_1158
; %bb.1149:
	global_load_dword v1, v[12:13], off
	s_mov_b64 s[0:1], 0
	s_mov_b64 s[6:7], -1
	s_waitcnt vmcnt(0)
	v_lshlrev_b32_e32 v5, 16, v1
	s_branch .LBB48_1159
.LBB48_1150:
	s_mov_b64 s[6:7], 0
                                        ; implicit-def: $vgpr5
	s_mov_b64 s[2:3], s[28:29]
	s_cbranch_execnz .LBB48_1222
.LBB48_1151:
	s_andn2_b64 vcc, exec, s[6:7]
	s_cbranch_vccz .LBB48_1267
	s_branch .LBB48_2088
.LBB48_1152:
	s_mov_b64 s[6:7], 0
	s_mov_b64 s[0:1], 0
                                        ; implicit-def: $vgpr5
	s_cbranch_execnz .LBB48_1187
	s_branch .LBB48_1218
.LBB48_1153:
	s_mov_b64 s[2:3], -1
	s_mov_b64 s[6:7], 0
	s_mov_b64 s[0:1], 0
                                        ; implicit-def: $vgpr5
	s_branch .LBB48_1168
.LBB48_1154:
	s_mov_b64 s[6:7], 0
	s_mov_b64 s[0:1], 0
                                        ; implicit-def: $vgpr5
	s_cbranch_execnz .LBB48_1164
	s_branch .LBB48_1167
.LBB48_1155:
	s_mov_b64 s[2:3], -1
	s_mov_b64 s[6:7], 0
	s_mov_b64 s[0:1], 0
                                        ; implicit-def: $vgpr5
	s_branch .LBB48_1159
.LBB48_1156:
	s_andn2_saveexec_b64 s[14:15], s[14:15]
	s_cbranch_execz .LBB48_999
.LBB48_1157:
	s_mov_b32 s16, 0x46000000
	v_add_f32_e64 v0, |v5|, s16
	v_and_b32_e32 v0, 0xff, v0
	v_cmp_ne_u32_e32 vcc, 0, v0
	s_andn2_b64 s[12:13], s[12:13], exec
	s_and_b64 s[16:17], vcc, exec
	s_or_b64 s[12:13], s[12:13], s[16:17]
	s_or_b64 exec, exec, s[14:15]
	v_mov_b32_e32 v4, 0
	s_and_saveexec_b64 s[14:15], s[12:13]
	s_cbranch_execnz .LBB48_1000
	s_branch .LBB48_1001
.LBB48_1158:
	s_mov_b64 s[0:1], -1
                                        ; implicit-def: $vgpr5
	s_mov_b64 s[6:7], 0
.LBB48_1159:
	s_and_b64 vcc, exec, s[2:3]
	s_cbranch_vccz .LBB48_1162
; %bb.1160:
	s_cmp_eq_u32 s15, 44
	s_cbranch_scc0 .LBB48_1163
; %bb.1161:
	global_load_ubyte v1, v[12:13], off
	s_movk_i32 s2, 0xff
	s_waitcnt vmcnt(1)
	v_mov_b32_e32 v3, 0x7f800001
	v_mov_b32_e32 v5, 0x400000
	s_mov_b64 s[0:1], 0
	s_mov_b64 s[6:7], -1
	s_waitcnt vmcnt(0)
	v_lshlrev_b32_e32 v8, 23, v1
	v_cmp_ne_u32_e32 vcc, s2, v1
	v_cndmask_b32_e32 v3, v3, v8, vcc
	v_cmp_ne_u32_e32 vcc, 0, v1
	v_cndmask_b32_e32 v5, v5, v3, vcc
.LBB48_1162:
	s_branch .LBB48_1167
.LBB48_1163:
	s_mov_b64 s[0:1], -1
                                        ; implicit-def: $vgpr5
	s_branch .LBB48_1167
.LBB48_1164:
	s_cmp_eq_u32 s15, 29
	s_cbranch_scc0 .LBB48_1166
; %bb.1165:
	global_load_dwordx2 v[14:15], v[12:13], off
	s_mov_b64 s[0:1], 0
	s_mov_b64 s[6:7], -1
	s_mov_b64 s[2:3], 0
	s_waitcnt vmcnt(0)
	v_ffbh_u32_e32 v1, v15
	v_min_u32_e32 v1, 32, v1
	v_lshlrev_b64 v[14:15], v1, v[14:15]
	v_sub_u32_e32 v1, 32, v1
	v_min_u32_e32 v3, 1, v14
	v_or_b32_e32 v3, v15, v3
	v_cvt_f32_u32_e32 v3, v3
	v_ldexp_f32 v5, v3, v1
	s_branch .LBB48_1168
.LBB48_1166:
	s_mov_b64 s[0:1], -1
                                        ; implicit-def: $vgpr5
.LBB48_1167:
	s_mov_b64 s[2:3], 0
.LBB48_1168:
	s_and_b64 vcc, exec, s[2:3]
	s_cbranch_vccz .LBB48_1186
; %bb.1169:
	s_cmp_lt_i32 s15, 27
	s_cbranch_scc1 .LBB48_1172
; %bb.1170:
	s_cmp_gt_i32 s15, 27
	s_cbranch_scc0 .LBB48_1173
; %bb.1171:
	global_load_dword v1, v[12:13], off
	s_mov_b64 s[2:3], 0
	s_waitcnt vmcnt(0)
	v_cvt_f32_u32_e32 v5, v1
	s_branch .LBB48_1174
.LBB48_1172:
	s_mov_b64 s[2:3], -1
                                        ; implicit-def: $vgpr5
	s_branch .LBB48_1177
.LBB48_1173:
	s_mov_b64 s[2:3], -1
                                        ; implicit-def: $vgpr5
.LBB48_1174:
	s_andn2_b64 vcc, exec, s[2:3]
	s_cbranch_vccnz .LBB48_1176
; %bb.1175:
	global_load_ushort v1, v[12:13], off
	s_waitcnt vmcnt(0)
	v_cvt_f32_u32_e32 v5, v1
.LBB48_1176:
	s_mov_b64 s[2:3], 0
.LBB48_1177:
	s_andn2_b64 vcc, exec, s[2:3]
	s_cbranch_vccnz .LBB48_1185
; %bb.1178:
	global_load_ubyte v1, v[12:13], off
	s_movk_i32 s2, 0x7f
	s_waitcnt vmcnt(0)
	v_cmp_lt_i16_e32 vcc, s2, v1
	s_mov_b64 s[2:3], 0
	s_and_saveexec_b64 s[6:7], vcc
	s_xor_b64 s[6:7], exec, s[6:7]
	s_cbranch_execz .LBB48_1198
; %bb.1179:
	s_movk_i32 s2, 0x80
	v_cmp_eq_u16_e32 vcc, s2, v1
	s_mov_b64 s[2:3], -1
	s_and_saveexec_b64 s[12:13], vcc
; %bb.1180:
	s_xor_b64 s[2:3], exec, -1
; %bb.1181:
	s_or_b64 exec, exec, s[12:13]
	s_and_b64 s[2:3], s[2:3], exec
	s_or_saveexec_b64 s[6:7], s[6:7]
	v_mov_b32_e32 v5, 0x7f800001
	s_xor_b64 exec, exec, s[6:7]
	s_cbranch_execnz .LBB48_1199
.LBB48_1182:
	s_or_b64 exec, exec, s[6:7]
	s_and_saveexec_b64 s[6:7], s[2:3]
	s_cbranch_execz .LBB48_1184
.LBB48_1183:
	v_lshlrev_b32_e32 v3, 24, v1
	v_and_b32_e32 v1, 0xffff, v1
	v_and_b32_e32 v5, 7, v1
	v_ffbh_u32_e32 v10, v5
	v_min_u32_e32 v10, 32, v10
	v_subrev_u32_e32 v14, 28, v10
	v_bfe_u32 v8, v1, 3, 4
	v_lshlrev_b32_e32 v1, v14, v1
	v_sub_u32_e32 v10, 29, v10
	v_and_b32_e32 v1, 7, v1
	v_cmp_eq_u32_e32 vcc, 0, v8
	v_cndmask_b32_e32 v8, v8, v10, vcc
	v_cndmask_b32_e32 v1, v5, v1, vcc
	v_mov_b32_e32 v5, 0x3b800000
	v_lshlrev_b32_e32 v1, 20, v1
	v_and_b32_e32 v3, 0x80000000, v3
	v_lshl_add_u32 v5, v8, 23, v5
	v_or3_b32 v5, v3, v5, v1
.LBB48_1184:
	s_or_b64 exec, exec, s[6:7]
.LBB48_1185:
	s_mov_b64 s[6:7], -1
.LBB48_1186:
	s_branch .LBB48_1218
.LBB48_1187:
	s_cmp_gt_i32 s15, 22
	s_cbranch_scc0 .LBB48_1197
; %bb.1188:
	s_cmp_lt_i32 s15, 24
	s_cbranch_scc1 .LBB48_1200
; %bb.1189:
	s_cmp_gt_i32 s15, 24
	s_cbranch_scc0 .LBB48_1201
; %bb.1190:
	global_load_ubyte v1, v[12:13], off
	s_movk_i32 s2, 0x7f
	s_waitcnt vmcnt(0)
	v_cmp_lt_i16_e32 vcc, s2, v1
	s_mov_b64 s[2:3], 0
	s_and_saveexec_b64 s[4:5], vcc
	s_xor_b64 s[4:5], exec, s[4:5]
	s_cbranch_execz .LBB48_1212
; %bb.1191:
	s_movk_i32 s2, 0x80
	v_cmp_eq_u16_e32 vcc, s2, v1
	s_mov_b64 s[2:3], -1
	s_and_saveexec_b64 s[6:7], vcc
; %bb.1192:
	s_xor_b64 s[2:3], exec, -1
; %bb.1193:
	s_or_b64 exec, exec, s[6:7]
	s_and_b64 s[2:3], s[2:3], exec
	s_or_saveexec_b64 s[4:5], s[4:5]
	v_mov_b32_e32 v5, 0x7f800001
	s_xor_b64 exec, exec, s[4:5]
	s_cbranch_execnz .LBB48_1213
.LBB48_1194:
	s_or_b64 exec, exec, s[4:5]
	s_and_saveexec_b64 s[4:5], s[2:3]
	s_cbranch_execz .LBB48_1196
.LBB48_1195:
	v_lshlrev_b32_e32 v3, 24, v1
	v_and_b32_e32 v1, 0xffff, v1
	v_and_b32_e32 v5, 3, v1
	v_ffbh_u32_e32 v10, v5
	v_min_u32_e32 v10, 32, v10
	v_subrev_u32_e32 v14, 29, v10
	v_bfe_u32 v8, v1, 2, 5
	v_lshlrev_b32_e32 v1, v14, v1
	v_sub_u32_e32 v10, 30, v10
	v_and_b32_e32 v1, 3, v1
	v_cmp_eq_u32_e32 vcc, 0, v8
	v_cndmask_b32_e32 v8, v8, v10, vcc
	v_cndmask_b32_e32 v1, v5, v1, vcc
	v_mov_b32_e32 v5, 0x37800000
	v_lshlrev_b32_e32 v1, 21, v1
	v_and_b32_e32 v3, 0x80000000, v3
	v_lshl_add_u32 v5, v8, 23, v5
	v_or3_b32 v5, v3, v5, v1
.LBB48_1196:
	s_or_b64 exec, exec, s[4:5]
	s_mov_b64 s[2:3], 0
	s_branch .LBB48_1202
.LBB48_1197:
                                        ; implicit-def: $vgpr5
	s_mov_b64 s[4:5], 0
	s_branch .LBB48_1208
.LBB48_1198:
	s_or_saveexec_b64 s[6:7], s[6:7]
	v_mov_b32_e32 v5, 0x7f800001
	s_xor_b64 exec, exec, s[6:7]
	s_cbranch_execz .LBB48_1182
.LBB48_1199:
	v_cmp_ne_u16_e32 vcc, 0, v1
	s_andn2_b64 s[2:3], s[2:3], exec
	s_and_b64 s[12:13], vcc, exec
	v_mov_b32_e32 v5, 0
	s_or_b64 s[2:3], s[2:3], s[12:13]
	s_or_b64 exec, exec, s[6:7]
	s_and_saveexec_b64 s[6:7], s[2:3]
	s_cbranch_execnz .LBB48_1183
	s_branch .LBB48_1184
.LBB48_1200:
	s_mov_b64 s[2:3], -1
                                        ; implicit-def: $vgpr5
	s_branch .LBB48_1205
.LBB48_1201:
	s_mov_b64 s[2:3], -1
                                        ; implicit-def: $vgpr5
.LBB48_1202:
	s_and_b64 vcc, exec, s[2:3]
	s_cbranch_vccz .LBB48_1204
; %bb.1203:
	global_load_ubyte v1, v[12:13], off
	s_mov_b32 s2, 0x7f800000
	s_waitcnt vmcnt(0)
	v_lshlrev_b32_e32 v1, 24, v1
	v_and_b32_e32 v3, 0x7f000000, v1
	v_ffbh_u32_e32 v5, v3
	v_min_u32_e32 v5, 32, v5
	v_sub_u32_e64 v5, v5, 4 clamp
	v_lshlrev_b32_e32 v10, v5, v3
	v_lshlrev_b32_e32 v5, 23, v5
	v_lshrrev_b32_e32 v10, 4, v10
	v_add_u32_e32 v8, 0x1000000, v3
	v_sub_u32_e32 v5, v10, v5
	v_ashrrev_i32_e32 v8, 8, v8
	v_add_u32_e32 v5, 0x3c000000, v5
	v_and_or_b32 v5, v8, s2, v5
	v_cmp_ne_u32_e32 vcc, 0, v3
	v_cndmask_b32_e32 v3, 0, v5, vcc
	s_brev_b32 s2, 1
	v_and_or_b32 v5, v1, s2, v3
.LBB48_1204:
	s_mov_b64 s[2:3], 0
.LBB48_1205:
	s_andn2_b64 vcc, exec, s[2:3]
	s_cbranch_vccnz .LBB48_1207
; %bb.1206:
	global_load_ubyte v1, v[12:13], off
	s_movk_i32 s2, 0x7f00
	s_brev_b32 s3, 16
	s_waitcnt vmcnt(0)
	v_lshlrev_b16_e32 v3, 8, v1
	v_lshlrev_b32_e32 v1, 25, v1
	v_lshrrev_b32_e32 v5, 4, v1
	v_and_or_b32 v8, v3, s2, 0.5
	v_or_b32_e32 v5, 0x70000000, v5
	v_add_f32_e32 v8, -0.5, v8
	v_mul_f32_e32 v5, 0x7800000, v5
	v_cmp_gt_u32_e32 vcc, s3, v1
	v_bfe_i32 v3, v3, 0, 16
	v_cndmask_b32_e32 v1, v5, v8, vcc
	s_brev_b32 s2, 1
	v_and_or_b32 v5, v3, s2, v1
.LBB48_1207:
	s_mov_b64 s[6:7], -1
	s_mov_b64 s[4:5], 0
	s_cbranch_execnz .LBB48_1218
.LBB48_1208:
	s_cmp_gt_i32 s15, 14
	s_cbranch_scc0 .LBB48_1211
; %bb.1209:
	s_cmp_eq_u32 s15, 15
	s_cbranch_scc0 .LBB48_1214
; %bb.1210:
	global_load_ushort v1, v[12:13], off
	s_mov_b64 s[0:1], 0
	s_mov_b64 s[6:7], -1
	s_waitcnt vmcnt(0)
	v_lshlrev_b32_e32 v5, 16, v1
	s_branch .LBB48_1215
.LBB48_1211:
	s_mov_b64 s[2:3], -1
                                        ; implicit-def: $vgpr5
	s_branch .LBB48_1216
.LBB48_1212:
	s_or_saveexec_b64 s[4:5], s[4:5]
	v_mov_b32_e32 v5, 0x7f800001
	s_xor_b64 exec, exec, s[4:5]
	s_cbranch_execz .LBB48_1194
.LBB48_1213:
	v_cmp_ne_u16_e32 vcc, 0, v1
	s_andn2_b64 s[2:3], s[2:3], exec
	s_and_b64 s[6:7], vcc, exec
	v_mov_b32_e32 v5, 0
	s_or_b64 s[2:3], s[2:3], s[6:7]
	s_or_b64 exec, exec, s[4:5]
	s_and_saveexec_b64 s[4:5], s[2:3]
	s_cbranch_execnz .LBB48_1195
	s_branch .LBB48_1196
.LBB48_1214:
	s_mov_b64 s[0:1], -1
                                        ; implicit-def: $vgpr5
.LBB48_1215:
	s_mov_b64 s[2:3], 0
.LBB48_1216:
	s_and_b64 vcc, exec, s[2:3]
	s_cbranch_vccz .LBB48_1218
; %bb.1217:
	s_cmp_lg_u32 s15, 11
	s_mov_b64 s[4:5], -1
	s_cselect_b64 s[0:1], -1, 0
.LBB48_1218:
	s_and_b64 vcc, exec, s[0:1]
	s_mov_b64 s[2:3], s[28:29]
	s_cbranch_vccnz .LBB48_1279
; %bb.1219:
	s_andn2_b64 vcc, exec, s[4:5]
	s_cbranch_vccnz .LBB48_1221
.LBB48_1220:
	global_load_ubyte v1, v[12:13], off
	s_mov_b64 s[6:7], -1
	s_waitcnt vmcnt(0)
	v_cmp_ne_u16_e32 vcc, 0, v1
	v_cndmask_b32_e64 v5, 0, 1.0, vcc
.LBB48_1221:
	s_branch .LBB48_1151
.LBB48_1222:
	s_and_b32 s4, 0xffff, s14
	s_cmp_lt_i32 s4, 5
	s_cbranch_scc1 .LBB48_1227
; %bb.1223:
	s_cmp_lt_i32 s4, 8
	s_cbranch_scc1 .LBB48_1228
; %bb.1224:
	;; [unrolled: 3-line block ×3, first 2 shown]
	s_cmp_gt_i32 s4, 9
	s_cbranch_scc0 .LBB48_1230
; %bb.1226:
	global_load_dwordx2 v[14:15], v[12:13], off
	s_mov_b64 s[0:1], 0
	s_waitcnt vmcnt(0)
	v_cvt_f32_f64_e32 v5, v[14:15]
	s_branch .LBB48_1231
.LBB48_1227:
                                        ; implicit-def: $vgpr5
	s_branch .LBB48_1248
.LBB48_1228:
                                        ; implicit-def: $vgpr5
	s_branch .LBB48_1237
.LBB48_1229:
	s_mov_b64 s[0:1], -1
                                        ; implicit-def: $vgpr5
	s_branch .LBB48_1234
.LBB48_1230:
	s_mov_b64 s[0:1], -1
                                        ; implicit-def: $vgpr5
.LBB48_1231:
	s_andn2_b64 vcc, exec, s[0:1]
	s_cbranch_vccnz .LBB48_1233
; %bb.1232:
	global_load_dword v5, v[12:13], off
.LBB48_1233:
	s_mov_b64 s[0:1], 0
.LBB48_1234:
	s_andn2_b64 vcc, exec, s[0:1]
	s_cbranch_vccnz .LBB48_1236
; %bb.1235:
	global_load_dword v1, v[12:13], off
	s_waitcnt vmcnt(0)
	v_cvt_f32_f16_e32 v5, v1
.LBB48_1236:
	s_cbranch_execnz .LBB48_1247
.LBB48_1237:
	s_cmp_lt_i32 s4, 6
	s_cbranch_scc1 .LBB48_1240
; %bb.1238:
	s_cmp_gt_i32 s4, 6
	s_cbranch_scc0 .LBB48_1241
; %bb.1239:
	global_load_dwordx2 v[14:15], v[12:13], off
	s_mov_b64 s[0:1], 0
	s_waitcnt vmcnt(0)
	v_cvt_f32_f64_e32 v5, v[14:15]
	s_branch .LBB48_1242
.LBB48_1240:
	s_mov_b64 s[0:1], -1
                                        ; implicit-def: $vgpr5
	s_branch .LBB48_1245
.LBB48_1241:
	s_mov_b64 s[0:1], -1
                                        ; implicit-def: $vgpr5
.LBB48_1242:
	s_andn2_b64 vcc, exec, s[0:1]
	s_cbranch_vccnz .LBB48_1244
; %bb.1243:
	global_load_dword v5, v[12:13], off
.LBB48_1244:
	s_mov_b64 s[0:1], 0
.LBB48_1245:
	s_andn2_b64 vcc, exec, s[0:1]
	s_cbranch_vccnz .LBB48_1247
; %bb.1246:
	global_load_ushort v1, v[12:13], off
	s_waitcnt vmcnt(0)
	v_cvt_f32_f16_e32 v5, v1
.LBB48_1247:
	s_cbranch_execnz .LBB48_1266
.LBB48_1248:
	s_cmp_lt_i32 s4, 2
	s_cbranch_scc1 .LBB48_1252
; %bb.1249:
	s_cmp_lt_i32 s4, 3
	s_cbranch_scc1 .LBB48_1253
; %bb.1250:
	s_cmp_gt_i32 s4, 3
	s_cbranch_scc0 .LBB48_1254
; %bb.1251:
	global_load_dwordx2 v[14:15], v[12:13], off
	s_mov_b64 s[0:1], 0
	s_waitcnt vmcnt(0)
	v_xor_b32_e32 v3, v14, v15
	v_ffbh_i32_e32 v1, v15
	v_ashrrev_i32_e32 v3, 31, v3
	v_add_u32_e32 v1, -1, v1
	v_add_u32_e32 v3, 32, v3
	v_min_u32_e32 v1, v1, v3
	v_lshlrev_b64 v[14:15], v1, v[14:15]
	v_sub_u32_e32 v1, 32, v1
	v_min_u32_e32 v3, 1, v14
	v_or_b32_e32 v3, v15, v3
	v_cvt_f32_i32_e32 v3, v3
	v_ldexp_f32 v5, v3, v1
	s_branch .LBB48_1255
.LBB48_1252:
                                        ; implicit-def: $vgpr5
	s_branch .LBB48_1261
.LBB48_1253:
	s_mov_b64 s[0:1], -1
                                        ; implicit-def: $vgpr5
	s_branch .LBB48_1258
.LBB48_1254:
	s_mov_b64 s[0:1], -1
                                        ; implicit-def: $vgpr5
.LBB48_1255:
	s_andn2_b64 vcc, exec, s[0:1]
	s_cbranch_vccnz .LBB48_1257
; %bb.1256:
	global_load_dword v1, v[12:13], off
	s_waitcnt vmcnt(0)
	v_cvt_f32_i32_e32 v5, v1
.LBB48_1257:
	s_mov_b64 s[0:1], 0
.LBB48_1258:
	s_andn2_b64 vcc, exec, s[0:1]
	s_cbranch_vccnz .LBB48_1260
; %bb.1259:
	global_load_sshort v1, v[12:13], off
	s_waitcnt vmcnt(0)
	v_cvt_f32_i32_e32 v5, v1
.LBB48_1260:
	s_cbranch_execnz .LBB48_1266
.LBB48_1261:
	s_cmp_gt_i32 s4, 0
	s_cbranch_scc0 .LBB48_1263
; %bb.1262:
	global_load_sbyte v1, v[12:13], off
	s_mov_b64 s[0:1], 0
	s_waitcnt vmcnt(0)
	v_cvt_f32_i32_e32 v5, v1
	s_branch .LBB48_1264
.LBB48_1263:
	s_mov_b64 s[0:1], -1
                                        ; implicit-def: $vgpr5
.LBB48_1264:
	s_andn2_b64 vcc, exec, s[0:1]
	s_cbranch_vccnz .LBB48_1266
; %bb.1265:
	global_load_ubyte v1, v[12:13], off
	s_waitcnt vmcnt(0)
	v_cvt_f32_ubyte0_e32 v5, v1
.LBB48_1266:
.LBB48_1267:
	s_lshr_b32 s0, s16, 16
	v_mov_b32_e32 v1, s11
	s_and_b32 s17, s0, 0xff
	v_add_co_u32_e32 v10, vcc, s10, v11
	s_cmp_lt_i32 s17, 11
	v_addc_co_u32_e32 v11, vcc, 0, v1, vcc
	s_cbranch_scc1 .LBB48_1274
; %bb.1268:
	s_and_b32 s18, 0xffff, s17
	s_cmp_gt_i32 s18, 25
	s_mov_b64 s[4:5], 0
	s_cbranch_scc0 .LBB48_1276
; %bb.1269:
	s_cmp_gt_i32 s18, 28
	s_cbranch_scc0 .LBB48_1277
; %bb.1270:
	s_cmp_gt_i32 s18, 43
	;; [unrolled: 3-line block ×3, first 2 shown]
	s_cbranch_scc0 .LBB48_1280
; %bb.1272:
	s_cmp_eq_u32 s18, 46
	s_mov_b64 s[12:13], 0
	s_cbranch_scc0 .LBB48_1283
; %bb.1273:
	global_load_dword v1, v[10:11], off
	s_mov_b64 s[0:1], 0
	s_mov_b64 s[6:7], -1
	s_waitcnt vmcnt(0)
	v_lshlrev_b32_e32 v3, 16, v1
	s_branch .LBB48_1284
.LBB48_1274:
	s_mov_b64 s[6:7], 0
                                        ; implicit-def: $vgpr3
	s_cbranch_execnz .LBB48_1349
.LBB48_1275:
	s_andn2_b64 vcc, exec, s[6:7]
	s_cbranch_vccnz .LBB48_2088
	s_branch .LBB48_1396
.LBB48_1276:
	s_mov_b64 s[6:7], 0
	s_mov_b64 s[0:1], 0
                                        ; implicit-def: $vgpr3
	s_cbranch_execnz .LBB48_1313
	s_branch .LBB48_1345
.LBB48_1277:
	s_mov_b64 s[12:13], -1
	s_mov_b64 s[6:7], 0
	s_mov_b64 s[0:1], 0
                                        ; implicit-def: $vgpr3
	s_branch .LBB48_1294
.LBB48_1278:
	s_mov_b64 s[12:13], -1
	s_mov_b64 s[6:7], 0
	s_mov_b64 s[0:1], 0
                                        ; implicit-def: $vgpr3
	s_branch .LBB48_1289
.LBB48_1279:
	s_or_b64 s[2:3], s[28:29], exec
	s_trap 2
	s_cbranch_execz .LBB48_1220
	s_branch .LBB48_1221
.LBB48_1280:
	s_mov_b64 s[12:13], -1
	s_mov_b64 s[6:7], 0
	s_mov_b64 s[0:1], 0
                                        ; implicit-def: $vgpr3
	s_branch .LBB48_1284
.LBB48_1281:
	s_andn2_saveexec_b64 s[16:17], s[16:17]
	s_cbranch_execz .LBB48_1011
.LBB48_1282:
	s_mov_b32 s20, 0x42800000
	v_add_f32_e64 v0, |v5|, s20
	v_and_b32_e32 v0, 0xff, v0
	v_cmp_ne_u32_e32 vcc, 0, v0
	s_andn2_b64 s[14:15], s[14:15], exec
	s_and_b64 s[20:21], vcc, exec
	s_or_b64 s[14:15], s[14:15], s[20:21]
	s_or_b64 exec, exec, s[16:17]
	v_mov_b32_e32 v4, 0
	s_and_saveexec_b64 s[16:17], s[14:15]
	s_cbranch_execnz .LBB48_1012
	s_branch .LBB48_1013
.LBB48_1283:
	s_mov_b64 s[0:1], -1
                                        ; implicit-def: $vgpr3
	s_mov_b64 s[6:7], 0
.LBB48_1284:
	s_and_b64 vcc, exec, s[12:13]
	s_cbranch_vccz .LBB48_1288
; %bb.1285:
	s_cmp_eq_u32 s18, 44
	s_cbranch_scc0 .LBB48_1287
; %bb.1286:
	global_load_ubyte v1, v[10:11], off
	s_movk_i32 s6, 0xff
	s_waitcnt vmcnt(1)
	v_mov_b32_e32 v3, 0x7f800001
	v_mov_b32_e32 v8, 0x400000
	s_mov_b64 s[0:1], 0
	s_waitcnt vmcnt(0)
	v_lshlrev_b32_e32 v12, 23, v1
	v_cmp_ne_u32_e32 vcc, s6, v1
	v_cndmask_b32_e32 v3, v3, v12, vcc
	v_cmp_ne_u32_e32 vcc, 0, v1
	v_cndmask_b32_e32 v3, v8, v3, vcc
	s_mov_b64 s[6:7], -1
	s_branch .LBB48_1288
.LBB48_1287:
	s_mov_b64 s[0:1], -1
                                        ; implicit-def: $vgpr3
.LBB48_1288:
	s_mov_b64 s[12:13], 0
.LBB48_1289:
	s_and_b64 vcc, exec, s[12:13]
	s_cbranch_vccz .LBB48_1293
; %bb.1290:
	s_cmp_eq_u32 s18, 29
	s_cbranch_scc0 .LBB48_1292
; %bb.1291:
	global_load_dwordx2 v[12:13], v[10:11], off
	s_mov_b64 s[0:1], 0
	s_mov_b64 s[6:7], -1
	s_mov_b64 s[12:13], 0
	s_waitcnt vmcnt(0)
	v_ffbh_u32_e32 v1, v13
	v_min_u32_e32 v1, 32, v1
	v_lshlrev_b64 v[12:13], v1, v[12:13]
	v_sub_u32_e32 v1, 32, v1
	v_min_u32_e32 v3, 1, v12
	v_or_b32_e32 v3, v13, v3
	v_cvt_f32_u32_e32 v3, v3
	v_ldexp_f32 v3, v3, v1
	s_branch .LBB48_1294
.LBB48_1292:
	s_mov_b64 s[0:1], -1
                                        ; implicit-def: $vgpr3
.LBB48_1293:
	s_mov_b64 s[12:13], 0
.LBB48_1294:
	s_and_b64 vcc, exec, s[12:13]
	s_cbranch_vccz .LBB48_1312
; %bb.1295:
	s_cmp_lt_i32 s18, 27
	s_cbranch_scc1 .LBB48_1298
; %bb.1296:
	s_cmp_gt_i32 s18, 27
	s_cbranch_scc0 .LBB48_1299
; %bb.1297:
	global_load_dword v1, v[10:11], off
	s_mov_b64 s[6:7], 0
	s_waitcnt vmcnt(0)
	v_cvt_f32_u32_e32 v3, v1
	s_branch .LBB48_1300
.LBB48_1298:
	s_mov_b64 s[6:7], -1
                                        ; implicit-def: $vgpr3
	s_branch .LBB48_1303
.LBB48_1299:
	s_mov_b64 s[6:7], -1
                                        ; implicit-def: $vgpr3
.LBB48_1300:
	s_andn2_b64 vcc, exec, s[6:7]
	s_cbranch_vccnz .LBB48_1302
; %bb.1301:
	global_load_ushort v1, v[10:11], off
	s_waitcnt vmcnt(0)
	v_cvt_f32_u32_e32 v3, v1
.LBB48_1302:
	s_mov_b64 s[6:7], 0
.LBB48_1303:
	s_andn2_b64 vcc, exec, s[6:7]
	s_cbranch_vccnz .LBB48_1311
; %bb.1304:
	global_load_ubyte v1, v[10:11], off
	s_movk_i32 s6, 0x7f
	s_waitcnt vmcnt(0)
	v_cmp_lt_i16_e32 vcc, s6, v1
	s_mov_b64 s[6:7], 0
	s_and_saveexec_b64 s[12:13], vcc
	s_xor_b64 s[12:13], exec, s[12:13]
	s_cbranch_execz .LBB48_1324
; %bb.1305:
	s_movk_i32 s6, 0x80
	v_cmp_eq_u16_e32 vcc, s6, v1
	s_mov_b64 s[6:7], -1
	s_and_saveexec_b64 s[14:15], vcc
; %bb.1306:
	s_xor_b64 s[6:7], exec, -1
; %bb.1307:
	s_or_b64 exec, exec, s[14:15]
	s_and_b64 s[6:7], s[6:7], exec
	s_or_saveexec_b64 s[12:13], s[12:13]
	v_mov_b32_e32 v3, 0x7f800001
	s_xor_b64 exec, exec, s[12:13]
	s_cbranch_execnz .LBB48_1325
.LBB48_1308:
	s_or_b64 exec, exec, s[12:13]
	s_and_saveexec_b64 s[12:13], s[6:7]
	s_cbranch_execz .LBB48_1310
.LBB48_1309:
	v_lshlrev_b32_e32 v3, 24, v1
	v_and_b32_e32 v1, 0xffff, v1
	v_and_b32_e32 v8, 7, v1
	v_ffbh_u32_e32 v13, v8
	v_min_u32_e32 v13, 32, v13
	v_subrev_u32_e32 v14, 28, v13
	v_bfe_u32 v12, v1, 3, 4
	v_lshlrev_b32_e32 v1, v14, v1
	v_sub_u32_e32 v13, 29, v13
	v_and_b32_e32 v1, 7, v1
	v_cmp_eq_u32_e32 vcc, 0, v12
	v_cndmask_b32_e32 v12, v12, v13, vcc
	v_cndmask_b32_e32 v1, v8, v1, vcc
	v_mov_b32_e32 v8, 0x3b800000
	v_lshlrev_b32_e32 v1, 20, v1
	v_and_b32_e32 v3, 0x80000000, v3
	v_lshl_add_u32 v8, v12, 23, v8
	v_or3_b32 v3, v3, v8, v1
.LBB48_1310:
	s_or_b64 exec, exec, s[12:13]
.LBB48_1311:
	s_mov_b64 s[6:7], -1
.LBB48_1312:
	s_branch .LBB48_1345
.LBB48_1313:
	s_cmp_gt_i32 s18, 22
	s_cbranch_scc0 .LBB48_1323
; %bb.1314:
	s_cmp_lt_i32 s18, 24
	s_cbranch_scc1 .LBB48_1326
; %bb.1315:
	s_cmp_gt_i32 s18, 24
	s_cbranch_scc0 .LBB48_1327
; %bb.1316:
	global_load_ubyte v1, v[10:11], off
	s_movk_i32 s4, 0x7f
	s_waitcnt vmcnt(0)
	v_cmp_lt_i16_e32 vcc, s4, v1
	s_mov_b64 s[4:5], 0
	s_and_saveexec_b64 s[6:7], vcc
	s_xor_b64 s[6:7], exec, s[6:7]
	s_cbranch_execz .LBB48_1339
; %bb.1317:
	s_movk_i32 s4, 0x80
	v_cmp_eq_u16_e32 vcc, s4, v1
	s_mov_b64 s[4:5], -1
	s_and_saveexec_b64 s[12:13], vcc
; %bb.1318:
	s_xor_b64 s[4:5], exec, -1
; %bb.1319:
	s_or_b64 exec, exec, s[12:13]
	s_and_b64 s[4:5], s[4:5], exec
	s_or_saveexec_b64 s[6:7], s[6:7]
	v_mov_b32_e32 v3, 0x7f800001
	s_xor_b64 exec, exec, s[6:7]
	s_cbranch_execnz .LBB48_1340
.LBB48_1320:
	s_or_b64 exec, exec, s[6:7]
	s_and_saveexec_b64 s[6:7], s[4:5]
	s_cbranch_execz .LBB48_1322
.LBB48_1321:
	v_lshlrev_b32_e32 v3, 24, v1
	v_and_b32_e32 v1, 0xffff, v1
	v_and_b32_e32 v8, 3, v1
	v_ffbh_u32_e32 v13, v8
	v_min_u32_e32 v13, 32, v13
	v_subrev_u32_e32 v14, 29, v13
	v_bfe_u32 v12, v1, 2, 5
	v_lshlrev_b32_e32 v1, v14, v1
	v_sub_u32_e32 v13, 30, v13
	v_and_b32_e32 v1, 3, v1
	v_cmp_eq_u32_e32 vcc, 0, v12
	v_cndmask_b32_e32 v12, v12, v13, vcc
	v_cndmask_b32_e32 v1, v8, v1, vcc
	v_mov_b32_e32 v8, 0x37800000
	v_lshlrev_b32_e32 v1, 21, v1
	v_and_b32_e32 v3, 0x80000000, v3
	v_lshl_add_u32 v8, v12, 23, v8
	v_or3_b32 v3, v3, v8, v1
.LBB48_1322:
	s_or_b64 exec, exec, s[6:7]
	s_mov_b64 s[4:5], 0
	s_branch .LBB48_1328
.LBB48_1323:
	s_mov_b64 s[4:5], -1
                                        ; implicit-def: $vgpr3
	s_branch .LBB48_1334
.LBB48_1324:
	s_or_saveexec_b64 s[12:13], s[12:13]
	v_mov_b32_e32 v3, 0x7f800001
	s_xor_b64 exec, exec, s[12:13]
	s_cbranch_execz .LBB48_1308
.LBB48_1325:
	v_cmp_ne_u16_e32 vcc, 0, v1
	s_andn2_b64 s[6:7], s[6:7], exec
	s_and_b64 s[14:15], vcc, exec
	v_mov_b32_e32 v3, 0
	s_or_b64 s[6:7], s[6:7], s[14:15]
	s_or_b64 exec, exec, s[12:13]
	s_and_saveexec_b64 s[12:13], s[6:7]
	s_cbranch_execnz .LBB48_1309
	s_branch .LBB48_1310
.LBB48_1326:
	s_mov_b64 s[4:5], -1
                                        ; implicit-def: $vgpr3
	s_branch .LBB48_1331
.LBB48_1327:
	s_mov_b64 s[4:5], -1
                                        ; implicit-def: $vgpr3
.LBB48_1328:
	s_and_b64 vcc, exec, s[4:5]
	s_cbranch_vccz .LBB48_1330
; %bb.1329:
	global_load_ubyte v1, v[10:11], off
	s_mov_b32 s4, 0x7f800000
	s_waitcnt vmcnt(0)
	v_lshlrev_b32_e32 v1, 24, v1
	v_and_b32_e32 v3, 0x7f000000, v1
	v_ffbh_u32_e32 v8, v3
	v_min_u32_e32 v8, 32, v8
	v_sub_u32_e64 v8, v8, 4 clamp
	v_lshlrev_b32_e32 v13, v8, v3
	v_lshlrev_b32_e32 v8, 23, v8
	v_lshrrev_b32_e32 v13, 4, v13
	v_add_u32_e32 v12, 0x1000000, v3
	v_sub_u32_e32 v8, v13, v8
	v_ashrrev_i32_e32 v12, 8, v12
	v_add_u32_e32 v8, 0x3c000000, v8
	v_and_or_b32 v8, v12, s4, v8
	v_cmp_ne_u32_e32 vcc, 0, v3
	v_cndmask_b32_e32 v3, 0, v8, vcc
	s_brev_b32 s4, 1
	v_and_or_b32 v3, v1, s4, v3
.LBB48_1330:
	s_mov_b64 s[4:5], 0
.LBB48_1331:
	s_andn2_b64 vcc, exec, s[4:5]
	s_cbranch_vccnz .LBB48_1333
; %bb.1332:
	global_load_ubyte v1, v[10:11], off
	s_movk_i32 s4, 0x7f00
	s_brev_b32 s5, 16
	s_waitcnt vmcnt(0)
	v_lshlrev_b16_e32 v3, 8, v1
	v_lshlrev_b32_e32 v1, 25, v1
	v_lshrrev_b32_e32 v8, 4, v1
	v_and_or_b32 v12, v3, s4, 0.5
	v_or_b32_e32 v8, 0x70000000, v8
	v_add_f32_e32 v12, -0.5, v12
	v_mul_f32_e32 v8, 0x7800000, v8
	v_cmp_gt_u32_e32 vcc, s5, v1
	v_bfe_i32 v3, v3, 0, 16
	v_cndmask_b32_e32 v1, v8, v12, vcc
	s_brev_b32 s4, 1
	v_and_or_b32 v3, v3, s4, v1
.LBB48_1333:
	s_mov_b64 s[4:5], 0
	s_mov_b64 s[6:7], -1
.LBB48_1334:
	s_andn2_b64 vcc, exec, s[4:5]
	s_mov_b64 s[4:5], 0
	s_cbranch_vccnz .LBB48_1345
; %bb.1335:
	s_cmp_gt_i32 s18, 14
	s_cbranch_scc0 .LBB48_1338
; %bb.1336:
	s_cmp_eq_u32 s18, 15
	s_cbranch_scc0 .LBB48_1341
; %bb.1337:
	global_load_ushort v1, v[10:11], off
	s_mov_b64 s[0:1], 0
	s_mov_b64 s[6:7], -1
	s_waitcnt vmcnt(0)
	v_lshlrev_b32_e32 v3, 16, v1
	s_branch .LBB48_1342
.LBB48_1338:
	s_mov_b64 s[12:13], -1
                                        ; implicit-def: $vgpr3
	s_branch .LBB48_1343
.LBB48_1339:
	s_or_saveexec_b64 s[6:7], s[6:7]
	v_mov_b32_e32 v3, 0x7f800001
	s_xor_b64 exec, exec, s[6:7]
	s_cbranch_execz .LBB48_1320
.LBB48_1340:
	v_cmp_ne_u16_e32 vcc, 0, v1
	s_andn2_b64 s[4:5], s[4:5], exec
	s_and_b64 s[12:13], vcc, exec
	v_mov_b32_e32 v3, 0
	s_or_b64 s[4:5], s[4:5], s[12:13]
	s_or_b64 exec, exec, s[6:7]
	s_and_saveexec_b64 s[6:7], s[4:5]
	s_cbranch_execnz .LBB48_1321
	s_branch .LBB48_1322
.LBB48_1341:
	s_mov_b64 s[0:1], -1
                                        ; implicit-def: $vgpr3
.LBB48_1342:
	s_mov_b64 s[12:13], 0
.LBB48_1343:
	s_and_b64 vcc, exec, s[12:13]
	s_cbranch_vccz .LBB48_1345
; %bb.1344:
	s_cmp_lg_u32 s18, 11
	s_mov_b64 s[4:5], -1
	s_cselect_b64 s[0:1], -1, 0
.LBB48_1345:
	s_and_b64 vcc, exec, s[0:1]
	s_cbranch_vccnz .LBB48_1408
; %bb.1346:
	s_andn2_b64 vcc, exec, s[4:5]
	s_cbranch_vccnz .LBB48_1348
.LBB48_1347:
	global_load_ubyte v1, v[10:11], off
	s_mov_b64 s[6:7], -1
	s_waitcnt vmcnt(0)
	v_cmp_ne_u16_e32 vcc, 0, v1
	v_cndmask_b32_e64 v3, 0, 1.0, vcc
.LBB48_1348:
	s_branch .LBB48_1275
.LBB48_1349:
	s_and_b32 s4, 0xffff, s17
	s_cmp_lt_i32 s4, 5
	s_cbranch_scc1 .LBB48_1354
; %bb.1350:
	s_cmp_lt_i32 s4, 8
	s_cbranch_scc1 .LBB48_1355
; %bb.1351:
	;; [unrolled: 3-line block ×3, first 2 shown]
	s_cmp_gt_i32 s4, 9
	s_cbranch_scc0 .LBB48_1357
; %bb.1353:
	global_load_dwordx2 v[12:13], v[10:11], off
	s_mov_b64 s[0:1], 0
	s_waitcnt vmcnt(0)
	v_cvt_f32_f64_e32 v3, v[12:13]
	s_branch .LBB48_1358
.LBB48_1354:
                                        ; implicit-def: $vgpr3
	s_branch .LBB48_1376
.LBB48_1355:
	s_mov_b64 s[0:1], -1
                                        ; implicit-def: $vgpr3
	s_branch .LBB48_1364
.LBB48_1356:
	s_mov_b64 s[0:1], -1
                                        ; implicit-def: $vgpr3
	s_branch .LBB48_1361
.LBB48_1357:
	s_mov_b64 s[0:1], -1
                                        ; implicit-def: $vgpr3
.LBB48_1358:
	s_andn2_b64 vcc, exec, s[0:1]
	s_cbranch_vccnz .LBB48_1360
; %bb.1359:
	global_load_dword v3, v[10:11], off
.LBB48_1360:
	s_mov_b64 s[0:1], 0
.LBB48_1361:
	s_andn2_b64 vcc, exec, s[0:1]
	s_cbranch_vccnz .LBB48_1363
; %bb.1362:
	global_load_dword v1, v[10:11], off
	s_waitcnt vmcnt(0)
	v_cvt_f32_f16_e32 v3, v1
.LBB48_1363:
	s_mov_b64 s[0:1], 0
.LBB48_1364:
	s_andn2_b64 vcc, exec, s[0:1]
	s_cbranch_vccnz .LBB48_1375
; %bb.1365:
	s_cmp_lt_i32 s4, 6
	s_cbranch_scc1 .LBB48_1368
; %bb.1366:
	s_cmp_gt_i32 s4, 6
	s_cbranch_scc0 .LBB48_1369
; %bb.1367:
	global_load_dwordx2 v[12:13], v[10:11], off
	s_mov_b64 s[0:1], 0
	s_waitcnt vmcnt(0)
	v_cvt_f32_f64_e32 v3, v[12:13]
	s_branch .LBB48_1370
.LBB48_1368:
	s_mov_b64 s[0:1], -1
                                        ; implicit-def: $vgpr3
	s_branch .LBB48_1373
.LBB48_1369:
	s_mov_b64 s[0:1], -1
                                        ; implicit-def: $vgpr3
.LBB48_1370:
	s_andn2_b64 vcc, exec, s[0:1]
	s_cbranch_vccnz .LBB48_1372
; %bb.1371:
	global_load_dword v3, v[10:11], off
.LBB48_1372:
	s_mov_b64 s[0:1], 0
.LBB48_1373:
	s_andn2_b64 vcc, exec, s[0:1]
	s_cbranch_vccnz .LBB48_1375
; %bb.1374:
	global_load_ushort v1, v[10:11], off
	s_waitcnt vmcnt(0)
	v_cvt_f32_f16_e32 v3, v1
.LBB48_1375:
	s_cbranch_execnz .LBB48_1395
.LBB48_1376:
	s_cmp_lt_i32 s4, 2
	s_cbranch_scc1 .LBB48_1380
; %bb.1377:
	s_cmp_lt_i32 s4, 3
	s_cbranch_scc1 .LBB48_1381
; %bb.1378:
	s_cmp_gt_i32 s4, 3
	s_cbranch_scc0 .LBB48_1382
; %bb.1379:
	global_load_dwordx2 v[12:13], v[10:11], off
	s_mov_b64 s[0:1], 0
	s_waitcnt vmcnt(0)
	v_xor_b32_e32 v3, v12, v13
	v_ffbh_i32_e32 v1, v13
	v_ashrrev_i32_e32 v3, 31, v3
	v_add_u32_e32 v1, -1, v1
	v_add_u32_e32 v3, 32, v3
	v_min_u32_e32 v1, v1, v3
	v_lshlrev_b64 v[12:13], v1, v[12:13]
	v_sub_u32_e32 v1, 32, v1
	v_min_u32_e32 v3, 1, v12
	v_or_b32_e32 v3, v13, v3
	v_cvt_f32_i32_e32 v3, v3
	v_ldexp_f32 v3, v3, v1
	s_branch .LBB48_1383
.LBB48_1380:
	s_mov_b64 s[0:1], -1
                                        ; implicit-def: $vgpr3
	s_branch .LBB48_1389
.LBB48_1381:
	s_mov_b64 s[0:1], -1
                                        ; implicit-def: $vgpr3
	s_branch .LBB48_1386
.LBB48_1382:
	s_mov_b64 s[0:1], -1
                                        ; implicit-def: $vgpr3
.LBB48_1383:
	s_andn2_b64 vcc, exec, s[0:1]
	s_cbranch_vccnz .LBB48_1385
; %bb.1384:
	global_load_dword v1, v[10:11], off
	s_waitcnt vmcnt(0)
	v_cvt_f32_i32_e32 v3, v1
.LBB48_1385:
	s_mov_b64 s[0:1], 0
.LBB48_1386:
	s_andn2_b64 vcc, exec, s[0:1]
	s_cbranch_vccnz .LBB48_1388
; %bb.1387:
	global_load_sshort v1, v[10:11], off
	s_waitcnt vmcnt(0)
	v_cvt_f32_i32_e32 v3, v1
.LBB48_1388:
	s_mov_b64 s[0:1], 0
.LBB48_1389:
	s_andn2_b64 vcc, exec, s[0:1]
	s_cbranch_vccnz .LBB48_1395
; %bb.1390:
	s_cmp_gt_i32 s4, 0
	s_cbranch_scc0 .LBB48_1392
; %bb.1391:
	global_load_sbyte v1, v[10:11], off
	s_mov_b64 s[0:1], 0
	s_waitcnt vmcnt(0)
	v_cvt_f32_i32_e32 v3, v1
	s_branch .LBB48_1393
.LBB48_1392:
	s_mov_b64 s[0:1], -1
                                        ; implicit-def: $vgpr3
.LBB48_1393:
	s_andn2_b64 vcc, exec, s[0:1]
	s_cbranch_vccnz .LBB48_1395
; %bb.1394:
	global_load_ubyte v1, v[10:11], off
	s_waitcnt vmcnt(0)
	v_cvt_f32_ubyte0_e32 v3, v1
.LBB48_1395:
.LBB48_1396:
	v_mov_b32_e32 v1, s11
	v_add_co_u32_e32 v8, vcc, s10, v9
	s_cmp_lt_i32 s17, 11
	v_addc_co_u32_e32 v9, vcc, 0, v1, vcc
	s_cbranch_scc1 .LBB48_1403
; %bb.1397:
	s_and_b32 s18, 0xffff, s17
	s_cmp_gt_i32 s18, 25
	s_mov_b64 s[4:5], 0
	s_cbranch_scc0 .LBB48_1405
; %bb.1398:
	s_cmp_gt_i32 s18, 28
	s_cbranch_scc0 .LBB48_1406
; %bb.1399:
	s_cmp_gt_i32 s18, 43
	s_cbranch_scc0 .LBB48_1407
; %bb.1400:
	s_cmp_gt_i32 s18, 45
	s_cbranch_scc0 .LBB48_1409
; %bb.1401:
	s_cmp_eq_u32 s18, 46
	s_mov_b64 s[12:13], 0
	s_cbranch_scc0 .LBB48_1410
; %bb.1402:
	global_load_dword v1, v[8:9], off
	s_mov_b64 s[0:1], 0
	s_mov_b64 s[6:7], -1
	s_waitcnt vmcnt(0)
	v_lshlrev_b32_e32 v1, 16, v1
	s_branch .LBB48_1411
.LBB48_1403:
	s_mov_b64 s[6:7], 0
                                        ; implicit-def: $vgpr1
	s_cbranch_execnz .LBB48_1477
.LBB48_1404:
	s_andn2_b64 vcc, exec, s[6:7]
	s_cbranch_vccnz .LBB48_2088
	s_branch .LBB48_1525
.LBB48_1405:
	s_mov_b64 s[12:13], -1
	s_mov_b64 s[6:7], 0
	s_mov_b64 s[0:1], 0
                                        ; implicit-def: $vgpr1
	s_branch .LBB48_1440
.LBB48_1406:
	s_mov_b64 s[12:13], -1
	s_mov_b64 s[6:7], 0
	s_mov_b64 s[0:1], 0
                                        ; implicit-def: $vgpr1
	s_branch .LBB48_1421
.LBB48_1407:
	s_mov_b64 s[12:13], -1
	s_mov_b64 s[6:7], 0
	s_mov_b64 s[0:1], 0
                                        ; implicit-def: $vgpr1
	s_branch .LBB48_1416
.LBB48_1408:
	s_trap 2
	s_or_b64 s[2:3], s[2:3], exec
	s_cbranch_execz .LBB48_1347
	s_branch .LBB48_1348
.LBB48_1409:
	s_mov_b64 s[12:13], -1
	s_mov_b64 s[6:7], 0
	s_mov_b64 s[0:1], 0
                                        ; implicit-def: $vgpr1
	s_branch .LBB48_1411
.LBB48_1410:
	s_mov_b64 s[0:1], -1
                                        ; implicit-def: $vgpr1
	s_mov_b64 s[6:7], 0
.LBB48_1411:
	s_and_b64 vcc, exec, s[12:13]
	s_cbranch_vccz .LBB48_1415
; %bb.1412:
	s_cmp_eq_u32 s18, 44
	s_cbranch_scc0 .LBB48_1414
; %bb.1413:
	global_load_ubyte v1, v[8:9], off
	s_movk_i32 s6, 0xff
	v_mov_b32_e32 v10, 0x7f800001
	v_mov_b32_e32 v11, 0x400000
	s_mov_b64 s[0:1], 0
	s_waitcnt vmcnt(0)
	v_lshlrev_b32_e32 v12, 23, v1
	v_cmp_ne_u32_e32 vcc, s6, v1
	v_cndmask_b32_e32 v10, v10, v12, vcc
	v_cmp_ne_u32_e32 vcc, 0, v1
	v_cndmask_b32_e32 v1, v11, v10, vcc
	s_mov_b64 s[6:7], -1
	s_branch .LBB48_1415
.LBB48_1414:
	s_mov_b64 s[0:1], -1
                                        ; implicit-def: $vgpr1
.LBB48_1415:
	s_mov_b64 s[12:13], 0
.LBB48_1416:
	s_and_b64 vcc, exec, s[12:13]
	s_cbranch_vccz .LBB48_1420
; %bb.1417:
	s_cmp_eq_u32 s18, 29
	s_cbranch_scc0 .LBB48_1419
; %bb.1418:
	global_load_dwordx2 v[10:11], v[8:9], off
	s_mov_b64 s[0:1], 0
	s_mov_b64 s[6:7], -1
	s_mov_b64 s[12:13], 0
	s_waitcnt vmcnt(0)
	v_ffbh_u32_e32 v1, v11
	v_min_u32_e32 v1, 32, v1
	v_lshlrev_b64 v[10:11], v1, v[10:11]
	v_sub_u32_e32 v1, 32, v1
	v_min_u32_e32 v10, 1, v10
	v_or_b32_e32 v10, v11, v10
	v_cvt_f32_u32_e32 v10, v10
	v_ldexp_f32 v1, v10, v1
	s_branch .LBB48_1421
.LBB48_1419:
	s_mov_b64 s[0:1], -1
                                        ; implicit-def: $vgpr1
.LBB48_1420:
	s_mov_b64 s[12:13], 0
.LBB48_1421:
	s_and_b64 vcc, exec, s[12:13]
	s_cbranch_vccz .LBB48_1439
; %bb.1422:
	s_cmp_lt_i32 s18, 27
	s_cbranch_scc1 .LBB48_1425
; %bb.1423:
	s_cmp_gt_i32 s18, 27
	s_cbranch_scc0 .LBB48_1426
; %bb.1424:
	global_load_dword v1, v[8:9], off
	s_mov_b64 s[6:7], 0
	s_waitcnt vmcnt(0)
	v_cvt_f32_u32_e32 v1, v1
	s_branch .LBB48_1427
.LBB48_1425:
	s_mov_b64 s[6:7], -1
                                        ; implicit-def: $vgpr1
	s_branch .LBB48_1430
.LBB48_1426:
	s_mov_b64 s[6:7], -1
                                        ; implicit-def: $vgpr1
.LBB48_1427:
	s_andn2_b64 vcc, exec, s[6:7]
	s_cbranch_vccnz .LBB48_1429
; %bb.1428:
	global_load_ushort v1, v[8:9], off
	s_waitcnt vmcnt(0)
	v_cvt_f32_u32_e32 v1, v1
.LBB48_1429:
	s_mov_b64 s[6:7], 0
.LBB48_1430:
	s_andn2_b64 vcc, exec, s[6:7]
	s_cbranch_vccnz .LBB48_1438
; %bb.1431:
	global_load_ubyte v10, v[8:9], off
	s_movk_i32 s6, 0x7f
	s_waitcnt vmcnt(0)
	v_cmp_lt_i16_e32 vcc, s6, v10
	s_mov_b64 s[6:7], 0
	s_and_saveexec_b64 s[12:13], vcc
	s_xor_b64 s[12:13], exec, s[12:13]
	s_cbranch_execz .LBB48_1452
; %bb.1432:
	s_movk_i32 s6, 0x80
	v_cmp_eq_u16_e32 vcc, s6, v10
	s_mov_b64 s[6:7], -1
	s_and_saveexec_b64 s[14:15], vcc
; %bb.1433:
	s_xor_b64 s[6:7], exec, -1
; %bb.1434:
	s_or_b64 exec, exec, s[14:15]
	s_and_b64 s[6:7], s[6:7], exec
	s_or_saveexec_b64 s[12:13], s[12:13]
	v_mov_b32_e32 v1, 0x7f800001
	s_xor_b64 exec, exec, s[12:13]
	s_cbranch_execnz .LBB48_1453
.LBB48_1435:
	s_or_b64 exec, exec, s[12:13]
	s_and_saveexec_b64 s[12:13], s[6:7]
	s_cbranch_execz .LBB48_1437
.LBB48_1436:
	v_lshlrev_b32_e32 v1, 24, v10
	v_and_b32_e32 v10, 0xffff, v10
	v_and_b32_e32 v11, 7, v10
	v_ffbh_u32_e32 v13, v11
	v_min_u32_e32 v13, 32, v13
	v_subrev_u32_e32 v14, 28, v13
	v_bfe_u32 v12, v10, 3, 4
	v_lshlrev_b32_e32 v10, v14, v10
	v_sub_u32_e32 v13, 29, v13
	v_and_b32_e32 v10, 7, v10
	v_cmp_eq_u32_e32 vcc, 0, v12
	v_cndmask_b32_e32 v12, v12, v13, vcc
	v_cndmask_b32_e32 v10, v11, v10, vcc
	v_mov_b32_e32 v11, 0x3b800000
	v_lshlrev_b32_e32 v10, 20, v10
	v_and_b32_e32 v1, 0x80000000, v1
	v_lshl_add_u32 v11, v12, 23, v11
	v_or3_b32 v1, v1, v11, v10
.LBB48_1437:
	s_or_b64 exec, exec, s[12:13]
.LBB48_1438:
	s_mov_b64 s[6:7], -1
.LBB48_1439:
	s_mov_b64 s[12:13], 0
.LBB48_1440:
	s_and_b64 vcc, exec, s[12:13]
	s_cbranch_vccz .LBB48_1473
; %bb.1441:
	s_cmp_gt_i32 s18, 22
	s_cbranch_scc0 .LBB48_1451
; %bb.1442:
	s_cmp_lt_i32 s18, 24
	s_cbranch_scc1 .LBB48_1454
; %bb.1443:
	s_cmp_gt_i32 s18, 24
	s_cbranch_scc0 .LBB48_1455
; %bb.1444:
	global_load_ubyte v10, v[8:9], off
	s_movk_i32 s4, 0x7f
	s_waitcnt vmcnt(0)
	v_cmp_lt_i16_e32 vcc, s4, v10
	s_mov_b64 s[4:5], 0
	s_and_saveexec_b64 s[6:7], vcc
	s_xor_b64 s[6:7], exec, s[6:7]
	s_cbranch_execz .LBB48_1467
; %bb.1445:
	s_movk_i32 s4, 0x80
	v_cmp_eq_u16_e32 vcc, s4, v10
	s_mov_b64 s[4:5], -1
	s_and_saveexec_b64 s[12:13], vcc
; %bb.1446:
	s_xor_b64 s[4:5], exec, -1
; %bb.1447:
	s_or_b64 exec, exec, s[12:13]
	s_and_b64 s[4:5], s[4:5], exec
	s_or_saveexec_b64 s[6:7], s[6:7]
	v_mov_b32_e32 v1, 0x7f800001
	s_xor_b64 exec, exec, s[6:7]
	s_cbranch_execnz .LBB48_1468
.LBB48_1448:
	s_or_b64 exec, exec, s[6:7]
	s_and_saveexec_b64 s[6:7], s[4:5]
	s_cbranch_execz .LBB48_1450
.LBB48_1449:
	v_lshlrev_b32_e32 v1, 24, v10
	v_and_b32_e32 v10, 0xffff, v10
	v_and_b32_e32 v11, 3, v10
	v_ffbh_u32_e32 v13, v11
	v_min_u32_e32 v13, 32, v13
	v_subrev_u32_e32 v14, 29, v13
	v_bfe_u32 v12, v10, 2, 5
	v_lshlrev_b32_e32 v10, v14, v10
	v_sub_u32_e32 v13, 30, v13
	v_and_b32_e32 v10, 3, v10
	v_cmp_eq_u32_e32 vcc, 0, v12
	v_cndmask_b32_e32 v12, v12, v13, vcc
	v_cndmask_b32_e32 v10, v11, v10, vcc
	v_mov_b32_e32 v11, 0x37800000
	v_lshlrev_b32_e32 v10, 21, v10
	v_and_b32_e32 v1, 0x80000000, v1
	v_lshl_add_u32 v11, v12, 23, v11
	v_or3_b32 v1, v1, v11, v10
.LBB48_1450:
	s_or_b64 exec, exec, s[6:7]
	s_mov_b64 s[4:5], 0
	s_branch .LBB48_1456
.LBB48_1451:
	s_mov_b64 s[4:5], -1
                                        ; implicit-def: $vgpr1
	s_branch .LBB48_1462
.LBB48_1452:
	s_or_saveexec_b64 s[12:13], s[12:13]
	v_mov_b32_e32 v1, 0x7f800001
	s_xor_b64 exec, exec, s[12:13]
	s_cbranch_execz .LBB48_1435
.LBB48_1453:
	v_cmp_ne_u16_e32 vcc, 0, v10
	s_andn2_b64 s[6:7], s[6:7], exec
	s_and_b64 s[14:15], vcc, exec
	v_mov_b32_e32 v1, 0
	s_or_b64 s[6:7], s[6:7], s[14:15]
	s_or_b64 exec, exec, s[12:13]
	s_and_saveexec_b64 s[12:13], s[6:7]
	s_cbranch_execnz .LBB48_1436
	s_branch .LBB48_1437
.LBB48_1454:
	s_mov_b64 s[4:5], -1
                                        ; implicit-def: $vgpr1
	s_branch .LBB48_1459
.LBB48_1455:
	s_mov_b64 s[4:5], -1
                                        ; implicit-def: $vgpr1
.LBB48_1456:
	s_and_b64 vcc, exec, s[4:5]
	s_cbranch_vccz .LBB48_1458
; %bb.1457:
	global_load_ubyte v1, v[8:9], off
	s_mov_b32 s4, 0x7f800000
	s_waitcnt vmcnt(0)
	v_lshlrev_b32_e32 v1, 24, v1
	v_and_b32_e32 v10, 0x7f000000, v1
	v_ffbh_u32_e32 v11, v10
	v_min_u32_e32 v11, 32, v11
	v_sub_u32_e64 v11, v11, 4 clamp
	v_lshlrev_b32_e32 v13, v11, v10
	v_lshlrev_b32_e32 v11, 23, v11
	v_lshrrev_b32_e32 v13, 4, v13
	v_add_u32_e32 v12, 0x1000000, v10
	v_sub_u32_e32 v11, v13, v11
	v_ashrrev_i32_e32 v12, 8, v12
	v_add_u32_e32 v11, 0x3c000000, v11
	v_and_or_b32 v11, v12, s4, v11
	v_cmp_ne_u32_e32 vcc, 0, v10
	v_cndmask_b32_e32 v10, 0, v11, vcc
	s_brev_b32 s4, 1
	v_and_or_b32 v1, v1, s4, v10
.LBB48_1458:
	s_mov_b64 s[4:5], 0
.LBB48_1459:
	s_andn2_b64 vcc, exec, s[4:5]
	s_cbranch_vccnz .LBB48_1461
; %bb.1460:
	global_load_ubyte v1, v[8:9], off
	s_movk_i32 s4, 0x7f00
	s_brev_b32 s5, 16
	s_waitcnt vmcnt(0)
	v_lshlrev_b16_e32 v10, 8, v1
	v_lshlrev_b32_e32 v1, 25, v1
	v_lshrrev_b32_e32 v11, 4, v1
	v_and_or_b32 v12, v10, s4, 0.5
	v_or_b32_e32 v11, 0x70000000, v11
	v_add_f32_e32 v12, -0.5, v12
	v_mul_f32_e32 v11, 0x7800000, v11
	v_cmp_gt_u32_e32 vcc, s5, v1
	v_bfe_i32 v10, v10, 0, 16
	v_cndmask_b32_e32 v1, v11, v12, vcc
	s_brev_b32 s4, 1
	v_and_or_b32 v1, v10, s4, v1
.LBB48_1461:
	s_mov_b64 s[4:5], 0
	s_mov_b64 s[6:7], -1
.LBB48_1462:
	s_andn2_b64 vcc, exec, s[4:5]
	s_mov_b64 s[4:5], 0
	s_cbranch_vccnz .LBB48_1473
; %bb.1463:
	s_cmp_gt_i32 s18, 14
	s_cbranch_scc0 .LBB48_1466
; %bb.1464:
	s_cmp_eq_u32 s18, 15
	s_cbranch_scc0 .LBB48_1469
; %bb.1465:
	global_load_ushort v1, v[8:9], off
	s_mov_b64 s[0:1], 0
	s_mov_b64 s[6:7], -1
	s_waitcnt vmcnt(0)
	v_lshlrev_b32_e32 v1, 16, v1
	s_branch .LBB48_1470
.LBB48_1466:
	s_mov_b64 s[12:13], -1
                                        ; implicit-def: $vgpr1
	s_branch .LBB48_1471
.LBB48_1467:
	s_or_saveexec_b64 s[6:7], s[6:7]
	v_mov_b32_e32 v1, 0x7f800001
	s_xor_b64 exec, exec, s[6:7]
	s_cbranch_execz .LBB48_1448
.LBB48_1468:
	v_cmp_ne_u16_e32 vcc, 0, v10
	s_andn2_b64 s[4:5], s[4:5], exec
	s_and_b64 s[12:13], vcc, exec
	v_mov_b32_e32 v1, 0
	s_or_b64 s[4:5], s[4:5], s[12:13]
	s_or_b64 exec, exec, s[6:7]
	s_and_saveexec_b64 s[6:7], s[4:5]
	s_cbranch_execnz .LBB48_1449
	s_branch .LBB48_1450
.LBB48_1469:
	s_mov_b64 s[0:1], -1
                                        ; implicit-def: $vgpr1
.LBB48_1470:
	s_mov_b64 s[12:13], 0
.LBB48_1471:
	s_and_b64 vcc, exec, s[12:13]
	s_cbranch_vccz .LBB48_1473
; %bb.1472:
	s_cmp_lg_u32 s18, 11
	s_mov_b64 s[4:5], -1
	s_cselect_b64 s[0:1], -1, 0
.LBB48_1473:
	s_and_b64 vcc, exec, s[0:1]
	s_cbranch_vccnz .LBB48_1536
; %bb.1474:
	s_andn2_b64 vcc, exec, s[4:5]
	s_cbranch_vccnz .LBB48_1476
.LBB48_1475:
	global_load_ubyte v1, v[8:9], off
	s_mov_b64 s[6:7], -1
	s_waitcnt vmcnt(0)
	v_cmp_ne_u16_e32 vcc, 0, v1
	v_cndmask_b32_e64 v1, 0, 1.0, vcc
.LBB48_1476:
	s_branch .LBB48_1404
.LBB48_1477:
	s_and_b32 s4, 0xffff, s17
	s_cmp_lt_i32 s4, 5
	s_cbranch_scc1 .LBB48_1482
; %bb.1478:
	s_cmp_lt_i32 s4, 8
	s_cbranch_scc1 .LBB48_1483
; %bb.1479:
	;; [unrolled: 3-line block ×3, first 2 shown]
	s_cmp_gt_i32 s4, 9
	s_cbranch_scc0 .LBB48_1485
; %bb.1481:
	global_load_dwordx2 v[10:11], v[8:9], off
	s_mov_b64 s[0:1], 0
	s_waitcnt vmcnt(0)
	v_cvt_f32_f64_e32 v1, v[10:11]
	s_branch .LBB48_1486
.LBB48_1482:
	s_mov_b64 s[0:1], -1
                                        ; implicit-def: $vgpr1
	s_branch .LBB48_1504
.LBB48_1483:
	s_mov_b64 s[0:1], -1
                                        ; implicit-def: $vgpr1
	s_branch .LBB48_1492
.LBB48_1484:
	s_mov_b64 s[0:1], -1
                                        ; implicit-def: $vgpr1
	s_branch .LBB48_1489
.LBB48_1485:
	s_mov_b64 s[0:1], -1
                                        ; implicit-def: $vgpr1
.LBB48_1486:
	s_andn2_b64 vcc, exec, s[0:1]
	s_cbranch_vccnz .LBB48_1488
; %bb.1487:
	global_load_dword v1, v[8:9], off
.LBB48_1488:
	s_mov_b64 s[0:1], 0
.LBB48_1489:
	s_andn2_b64 vcc, exec, s[0:1]
	s_cbranch_vccnz .LBB48_1491
; %bb.1490:
	global_load_dword v1, v[8:9], off
	s_waitcnt vmcnt(0)
	v_cvt_f32_f16_e32 v1, v1
.LBB48_1491:
	s_mov_b64 s[0:1], 0
.LBB48_1492:
	s_andn2_b64 vcc, exec, s[0:1]
	s_cbranch_vccnz .LBB48_1503
; %bb.1493:
	s_cmp_lt_i32 s4, 6
	s_cbranch_scc1 .LBB48_1496
; %bb.1494:
	s_cmp_gt_i32 s4, 6
	s_cbranch_scc0 .LBB48_1497
; %bb.1495:
	global_load_dwordx2 v[10:11], v[8:9], off
	s_mov_b64 s[0:1], 0
	s_waitcnt vmcnt(0)
	v_cvt_f32_f64_e32 v1, v[10:11]
	s_branch .LBB48_1498
.LBB48_1496:
	s_mov_b64 s[0:1], -1
                                        ; implicit-def: $vgpr1
	s_branch .LBB48_1501
.LBB48_1497:
	s_mov_b64 s[0:1], -1
                                        ; implicit-def: $vgpr1
.LBB48_1498:
	s_andn2_b64 vcc, exec, s[0:1]
	s_cbranch_vccnz .LBB48_1500
; %bb.1499:
	global_load_dword v1, v[8:9], off
.LBB48_1500:
	s_mov_b64 s[0:1], 0
.LBB48_1501:
	s_andn2_b64 vcc, exec, s[0:1]
	s_cbranch_vccnz .LBB48_1503
; %bb.1502:
	global_load_ushort v1, v[8:9], off
	s_waitcnt vmcnt(0)
	v_cvt_f32_f16_e32 v1, v1
.LBB48_1503:
	s_mov_b64 s[0:1], 0
.LBB48_1504:
	s_andn2_b64 vcc, exec, s[0:1]
	s_cbranch_vccnz .LBB48_1524
; %bb.1505:
	s_cmp_lt_i32 s4, 2
	s_cbranch_scc1 .LBB48_1509
; %bb.1506:
	s_cmp_lt_i32 s4, 3
	s_cbranch_scc1 .LBB48_1510
; %bb.1507:
	s_cmp_gt_i32 s4, 3
	s_cbranch_scc0 .LBB48_1511
; %bb.1508:
	global_load_dwordx2 v[10:11], v[8:9], off
	s_mov_b64 s[0:1], 0
	s_waitcnt vmcnt(0)
	v_xor_b32_e32 v12, v10, v11
	v_ffbh_i32_e32 v1, v11
	v_ashrrev_i32_e32 v12, 31, v12
	v_add_u32_e32 v1, -1, v1
	v_add_u32_e32 v12, 32, v12
	v_min_u32_e32 v1, v1, v12
	v_lshlrev_b64 v[10:11], v1, v[10:11]
	v_sub_u32_e32 v1, 32, v1
	v_min_u32_e32 v10, 1, v10
	v_or_b32_e32 v10, v11, v10
	v_cvt_f32_i32_e32 v10, v10
	v_ldexp_f32 v1, v10, v1
	s_branch .LBB48_1512
.LBB48_1509:
	s_mov_b64 s[0:1], -1
                                        ; implicit-def: $vgpr1
	s_branch .LBB48_1518
.LBB48_1510:
	s_mov_b64 s[0:1], -1
                                        ; implicit-def: $vgpr1
	s_branch .LBB48_1515
.LBB48_1511:
	s_mov_b64 s[0:1], -1
                                        ; implicit-def: $vgpr1
.LBB48_1512:
	s_andn2_b64 vcc, exec, s[0:1]
	s_cbranch_vccnz .LBB48_1514
; %bb.1513:
	global_load_dword v1, v[8:9], off
	s_waitcnt vmcnt(0)
	v_cvt_f32_i32_e32 v1, v1
.LBB48_1514:
	s_mov_b64 s[0:1], 0
.LBB48_1515:
	s_andn2_b64 vcc, exec, s[0:1]
	s_cbranch_vccnz .LBB48_1517
; %bb.1516:
	global_load_sshort v1, v[8:9], off
	s_waitcnt vmcnt(0)
	v_cvt_f32_i32_e32 v1, v1
.LBB48_1517:
	s_mov_b64 s[0:1], 0
.LBB48_1518:
	s_andn2_b64 vcc, exec, s[0:1]
	s_cbranch_vccnz .LBB48_1524
; %bb.1519:
	s_cmp_gt_i32 s4, 0
	s_cbranch_scc0 .LBB48_1521
; %bb.1520:
	global_load_sbyte v1, v[8:9], off
	s_mov_b64 s[0:1], 0
	s_waitcnt vmcnt(0)
	v_cvt_f32_i32_e32 v1, v1
	s_branch .LBB48_1522
.LBB48_1521:
	s_mov_b64 s[0:1], -1
                                        ; implicit-def: $vgpr1
.LBB48_1522:
	s_andn2_b64 vcc, exec, s[0:1]
	s_cbranch_vccnz .LBB48_1524
; %bb.1523:
	global_load_ubyte v1, v[8:9], off
	s_waitcnt vmcnt(0)
	v_cvt_f32_ubyte0_e32 v1, v1
.LBB48_1524:
.LBB48_1525:
	v_mov_b32_e32 v8, s11
	v_add_co_u32_e32 v7, vcc, s10, v7
	s_cmp_lt_i32 s17, 11
	v_addc_co_u32_e32 v8, vcc, 0, v8, vcc
	s_cbranch_scc1 .LBB48_1532
; %bb.1526:
	s_and_b32 s14, 0xffff, s17
	s_cmp_gt_i32 s14, 25
	s_mov_b64 s[4:5], 0
	s_cbranch_scc0 .LBB48_1533
; %bb.1527:
	s_cmp_gt_i32 s14, 28
	s_cbranch_scc0 .LBB48_1534
; %bb.1528:
	s_cmp_gt_i32 s14, 43
	;; [unrolled: 3-line block ×3, first 2 shown]
	s_cbranch_scc0 .LBB48_1537
; %bb.1530:
	s_cmp_eq_u32 s14, 46
	s_mov_b64 s[10:11], 0
	s_cbranch_scc0 .LBB48_1538
; %bb.1531:
	global_load_dword v9, v[7:8], off
	s_mov_b64 s[0:1], 0
	s_mov_b64 s[6:7], -1
	s_waitcnt vmcnt(0)
	v_lshlrev_b32_e32 v9, 16, v9
	s_branch .LBB48_1539
.LBB48_1532:
	s_mov_b64 s[0:1], -1
	s_mov_b64 s[6:7], 0
                                        ; implicit-def: $vgpr9
	s_branch .LBB48_1605
.LBB48_1533:
	s_mov_b64 s[10:11], -1
	s_mov_b64 s[6:7], 0
	s_mov_b64 s[0:1], 0
                                        ; implicit-def: $vgpr9
	s_branch .LBB48_1568
.LBB48_1534:
	s_mov_b64 s[10:11], -1
	s_mov_b64 s[6:7], 0
	s_mov_b64 s[0:1], 0
                                        ; implicit-def: $vgpr9
	s_branch .LBB48_1549
.LBB48_1535:
	s_mov_b64 s[10:11], -1
	s_mov_b64 s[6:7], 0
	s_mov_b64 s[0:1], 0
                                        ; implicit-def: $vgpr9
	s_branch .LBB48_1544
.LBB48_1536:
	s_trap 2
	s_or_b64 s[2:3], s[2:3], exec
	s_cbranch_execz .LBB48_1475
	s_branch .LBB48_1476
.LBB48_1537:
	s_mov_b64 s[10:11], -1
	s_mov_b64 s[6:7], 0
	s_mov_b64 s[0:1], 0
                                        ; implicit-def: $vgpr9
	s_branch .LBB48_1539
.LBB48_1538:
	s_mov_b64 s[0:1], -1
                                        ; implicit-def: $vgpr9
	s_mov_b64 s[6:7], 0
.LBB48_1539:
	s_and_b64 vcc, exec, s[10:11]
	s_cbranch_vccz .LBB48_1543
; %bb.1540:
	s_cmp_eq_u32 s14, 44
	s_cbranch_scc0 .LBB48_1542
; %bb.1541:
	global_load_ubyte v9, v[7:8], off
	s_movk_i32 s6, 0xff
	v_mov_b32_e32 v10, 0x7f800001
	v_mov_b32_e32 v11, 0x400000
	s_mov_b64 s[0:1], 0
	s_waitcnt vmcnt(0)
	v_lshlrev_b32_e32 v12, 23, v9
	v_cmp_ne_u32_e32 vcc, s6, v9
	v_cndmask_b32_e32 v10, v10, v12, vcc
	v_cmp_ne_u32_e32 vcc, 0, v9
	v_cndmask_b32_e32 v9, v11, v10, vcc
	s_mov_b64 s[6:7], -1
	s_branch .LBB48_1543
.LBB48_1542:
	s_mov_b64 s[0:1], -1
                                        ; implicit-def: $vgpr9
.LBB48_1543:
	s_mov_b64 s[10:11], 0
.LBB48_1544:
	s_and_b64 vcc, exec, s[10:11]
	s_cbranch_vccz .LBB48_1548
; %bb.1545:
	s_cmp_eq_u32 s14, 29
	s_cbranch_scc0 .LBB48_1547
; %bb.1546:
	global_load_dwordx2 v[9:10], v[7:8], off
	s_mov_b64 s[0:1], 0
	s_mov_b64 s[6:7], -1
	s_mov_b64 s[10:11], 0
	s_waitcnt vmcnt(0)
	v_ffbh_u32_e32 v11, v10
	v_min_u32_e32 v11, 32, v11
	v_lshlrev_b64 v[9:10], v11, v[9:10]
	v_min_u32_e32 v9, 1, v9
	v_or_b32_e32 v9, v10, v9
	v_cvt_f32_u32_e32 v9, v9
	v_sub_u32_e32 v10, 32, v11
	v_ldexp_f32 v9, v9, v10
	s_branch .LBB48_1549
.LBB48_1547:
	s_mov_b64 s[0:1], -1
                                        ; implicit-def: $vgpr9
.LBB48_1548:
	s_mov_b64 s[10:11], 0
.LBB48_1549:
	s_and_b64 vcc, exec, s[10:11]
	s_cbranch_vccz .LBB48_1567
; %bb.1550:
	s_cmp_lt_i32 s14, 27
	s_cbranch_scc1 .LBB48_1553
; %bb.1551:
	s_cmp_gt_i32 s14, 27
	s_cbranch_scc0 .LBB48_1554
; %bb.1552:
	global_load_dword v9, v[7:8], off
	s_mov_b64 s[6:7], 0
	s_waitcnt vmcnt(0)
	v_cvt_f32_u32_e32 v9, v9
	s_branch .LBB48_1555
.LBB48_1553:
	s_mov_b64 s[6:7], -1
                                        ; implicit-def: $vgpr9
	s_branch .LBB48_1558
.LBB48_1554:
	s_mov_b64 s[6:7], -1
                                        ; implicit-def: $vgpr9
.LBB48_1555:
	s_andn2_b64 vcc, exec, s[6:7]
	s_cbranch_vccnz .LBB48_1557
; %bb.1556:
	global_load_ushort v9, v[7:8], off
	s_waitcnt vmcnt(0)
	v_cvt_f32_u32_e32 v9, v9
.LBB48_1557:
	s_mov_b64 s[6:7], 0
.LBB48_1558:
	s_andn2_b64 vcc, exec, s[6:7]
	s_cbranch_vccnz .LBB48_1566
; %bb.1559:
	global_load_ubyte v10, v[7:8], off
	s_movk_i32 s6, 0x7f
	s_waitcnt vmcnt(0)
	v_cmp_lt_i16_e32 vcc, s6, v10
	s_mov_b64 s[6:7], 0
	s_and_saveexec_b64 s[10:11], vcc
	s_xor_b64 s[10:11], exec, s[10:11]
	s_cbranch_execz .LBB48_1580
; %bb.1560:
	s_movk_i32 s6, 0x80
	v_cmp_eq_u16_e32 vcc, s6, v10
	s_mov_b64 s[6:7], -1
	s_and_saveexec_b64 s[12:13], vcc
; %bb.1561:
	s_xor_b64 s[6:7], exec, -1
; %bb.1562:
	s_or_b64 exec, exec, s[12:13]
	s_and_b64 s[6:7], s[6:7], exec
	s_or_saveexec_b64 s[10:11], s[10:11]
	v_mov_b32_e32 v9, 0x7f800001
	s_xor_b64 exec, exec, s[10:11]
	s_cbranch_execnz .LBB48_1581
.LBB48_1563:
	s_or_b64 exec, exec, s[10:11]
	s_and_saveexec_b64 s[10:11], s[6:7]
	s_cbranch_execz .LBB48_1565
.LBB48_1564:
	v_lshlrev_b32_e32 v9, 24, v10
	v_and_b32_e32 v10, 0xffff, v10
	v_and_b32_e32 v11, 7, v10
	v_ffbh_u32_e32 v13, v11
	v_min_u32_e32 v13, 32, v13
	v_subrev_u32_e32 v14, 28, v13
	v_bfe_u32 v12, v10, 3, 4
	v_lshlrev_b32_e32 v10, v14, v10
	v_sub_u32_e32 v13, 29, v13
	v_and_b32_e32 v10, 7, v10
	v_cmp_eq_u32_e32 vcc, 0, v12
	v_cndmask_b32_e32 v12, v12, v13, vcc
	v_cndmask_b32_e32 v10, v11, v10, vcc
	v_mov_b32_e32 v11, 0x3b800000
	v_lshlrev_b32_e32 v10, 20, v10
	v_and_b32_e32 v9, 0x80000000, v9
	v_lshl_add_u32 v11, v12, 23, v11
	v_or3_b32 v9, v9, v11, v10
.LBB48_1565:
	s_or_b64 exec, exec, s[10:11]
.LBB48_1566:
	s_mov_b64 s[6:7], -1
.LBB48_1567:
	s_mov_b64 s[10:11], 0
.LBB48_1568:
	s_and_b64 vcc, exec, s[10:11]
	s_cbranch_vccz .LBB48_1601
; %bb.1569:
	s_cmp_gt_i32 s14, 22
	s_cbranch_scc0 .LBB48_1579
; %bb.1570:
	s_cmp_lt_i32 s14, 24
	s_cbranch_scc1 .LBB48_1582
; %bb.1571:
	s_cmp_gt_i32 s14, 24
	s_cbranch_scc0 .LBB48_1583
; %bb.1572:
	global_load_ubyte v10, v[7:8], off
	s_movk_i32 s4, 0x7f
	s_waitcnt vmcnt(0)
	v_cmp_lt_i16_e32 vcc, s4, v10
	s_mov_b64 s[4:5], 0
	s_and_saveexec_b64 s[6:7], vcc
	s_xor_b64 s[6:7], exec, s[6:7]
	s_cbranch_execz .LBB48_1595
; %bb.1573:
	s_movk_i32 s4, 0x80
	v_cmp_eq_u16_e32 vcc, s4, v10
	s_mov_b64 s[4:5], -1
	s_and_saveexec_b64 s[10:11], vcc
; %bb.1574:
	s_xor_b64 s[4:5], exec, -1
; %bb.1575:
	s_or_b64 exec, exec, s[10:11]
	s_and_b64 s[4:5], s[4:5], exec
	s_or_saveexec_b64 s[6:7], s[6:7]
	v_mov_b32_e32 v9, 0x7f800001
	s_xor_b64 exec, exec, s[6:7]
	s_cbranch_execnz .LBB48_1596
.LBB48_1576:
	s_or_b64 exec, exec, s[6:7]
	s_and_saveexec_b64 s[6:7], s[4:5]
	s_cbranch_execz .LBB48_1578
.LBB48_1577:
	v_lshlrev_b32_e32 v9, 24, v10
	v_and_b32_e32 v10, 0xffff, v10
	v_and_b32_e32 v11, 3, v10
	v_ffbh_u32_e32 v13, v11
	v_min_u32_e32 v13, 32, v13
	v_subrev_u32_e32 v14, 29, v13
	v_bfe_u32 v12, v10, 2, 5
	v_lshlrev_b32_e32 v10, v14, v10
	v_sub_u32_e32 v13, 30, v13
	v_and_b32_e32 v10, 3, v10
	v_cmp_eq_u32_e32 vcc, 0, v12
	v_cndmask_b32_e32 v12, v12, v13, vcc
	v_cndmask_b32_e32 v10, v11, v10, vcc
	v_mov_b32_e32 v11, 0x37800000
	v_lshlrev_b32_e32 v10, 21, v10
	v_and_b32_e32 v9, 0x80000000, v9
	v_lshl_add_u32 v11, v12, 23, v11
	v_or3_b32 v9, v9, v11, v10
.LBB48_1578:
	s_or_b64 exec, exec, s[6:7]
	s_mov_b64 s[4:5], 0
	s_branch .LBB48_1584
.LBB48_1579:
	s_mov_b64 s[4:5], -1
                                        ; implicit-def: $vgpr9
	s_branch .LBB48_1590
.LBB48_1580:
	s_or_saveexec_b64 s[10:11], s[10:11]
	v_mov_b32_e32 v9, 0x7f800001
	s_xor_b64 exec, exec, s[10:11]
	s_cbranch_execz .LBB48_1563
.LBB48_1581:
	v_cmp_ne_u16_e32 vcc, 0, v10
	s_andn2_b64 s[6:7], s[6:7], exec
	s_and_b64 s[12:13], vcc, exec
	v_mov_b32_e32 v9, 0
	s_or_b64 s[6:7], s[6:7], s[12:13]
	s_or_b64 exec, exec, s[10:11]
	s_and_saveexec_b64 s[10:11], s[6:7]
	s_cbranch_execnz .LBB48_1564
	s_branch .LBB48_1565
.LBB48_1582:
	s_mov_b64 s[4:5], -1
                                        ; implicit-def: $vgpr9
	s_branch .LBB48_1587
.LBB48_1583:
	s_mov_b64 s[4:5], -1
                                        ; implicit-def: $vgpr9
.LBB48_1584:
	s_and_b64 vcc, exec, s[4:5]
	s_cbranch_vccz .LBB48_1586
; %bb.1585:
	global_load_ubyte v9, v[7:8], off
	s_mov_b32 s4, 0x7f800000
	s_waitcnt vmcnt(0)
	v_lshlrev_b32_e32 v9, 24, v9
	v_and_b32_e32 v10, 0x7f000000, v9
	v_ffbh_u32_e32 v11, v10
	v_min_u32_e32 v11, 32, v11
	v_sub_u32_e64 v11, v11, 4 clamp
	v_lshlrev_b32_e32 v13, v11, v10
	v_lshlrev_b32_e32 v11, 23, v11
	v_lshrrev_b32_e32 v13, 4, v13
	v_add_u32_e32 v12, 0x1000000, v10
	v_sub_u32_e32 v11, v13, v11
	v_ashrrev_i32_e32 v12, 8, v12
	v_add_u32_e32 v11, 0x3c000000, v11
	v_and_or_b32 v11, v12, s4, v11
	v_cmp_ne_u32_e32 vcc, 0, v10
	v_cndmask_b32_e32 v10, 0, v11, vcc
	s_brev_b32 s4, 1
	v_and_or_b32 v9, v9, s4, v10
.LBB48_1586:
	s_mov_b64 s[4:5], 0
.LBB48_1587:
	s_andn2_b64 vcc, exec, s[4:5]
	s_cbranch_vccnz .LBB48_1589
; %bb.1588:
	global_load_ubyte v9, v[7:8], off
	s_movk_i32 s4, 0x7f00
	s_brev_b32 s5, 16
	s_waitcnt vmcnt(0)
	v_lshlrev_b16_e32 v10, 8, v9
	v_lshlrev_b32_e32 v9, 25, v9
	v_lshrrev_b32_e32 v11, 4, v9
	v_and_or_b32 v12, v10, s4, 0.5
	v_or_b32_e32 v11, 0x70000000, v11
	v_add_f32_e32 v12, -0.5, v12
	v_mul_f32_e32 v11, 0x7800000, v11
	v_cmp_gt_u32_e32 vcc, s5, v9
	v_bfe_i32 v10, v10, 0, 16
	v_cndmask_b32_e32 v9, v11, v12, vcc
	s_brev_b32 s4, 1
	v_and_or_b32 v9, v10, s4, v9
.LBB48_1589:
	s_mov_b64 s[4:5], 0
	s_mov_b64 s[6:7], -1
.LBB48_1590:
	s_andn2_b64 vcc, exec, s[4:5]
	s_mov_b64 s[4:5], 0
	s_cbranch_vccnz .LBB48_1601
; %bb.1591:
	s_cmp_gt_i32 s14, 14
	s_cbranch_scc0 .LBB48_1594
; %bb.1592:
	s_cmp_eq_u32 s14, 15
	s_cbranch_scc0 .LBB48_1597
; %bb.1593:
	global_load_ushort v9, v[7:8], off
	s_mov_b64 s[0:1], 0
	s_mov_b64 s[6:7], -1
	s_waitcnt vmcnt(0)
	v_lshlrev_b32_e32 v9, 16, v9
	s_branch .LBB48_1598
.LBB48_1594:
	s_mov_b64 s[10:11], -1
                                        ; implicit-def: $vgpr9
	s_branch .LBB48_1599
.LBB48_1595:
	s_or_saveexec_b64 s[6:7], s[6:7]
	v_mov_b32_e32 v9, 0x7f800001
	s_xor_b64 exec, exec, s[6:7]
	s_cbranch_execz .LBB48_1576
.LBB48_1596:
	v_cmp_ne_u16_e32 vcc, 0, v10
	s_andn2_b64 s[4:5], s[4:5], exec
	s_and_b64 s[10:11], vcc, exec
	v_mov_b32_e32 v9, 0
	s_or_b64 s[4:5], s[4:5], s[10:11]
	s_or_b64 exec, exec, s[6:7]
	s_and_saveexec_b64 s[6:7], s[4:5]
	s_cbranch_execnz .LBB48_1577
	s_branch .LBB48_1578
.LBB48_1597:
	s_mov_b64 s[0:1], -1
                                        ; implicit-def: $vgpr9
.LBB48_1598:
	s_mov_b64 s[10:11], 0
.LBB48_1599:
	s_and_b64 vcc, exec, s[10:11]
	s_cbranch_vccz .LBB48_1601
; %bb.1600:
	s_cmp_lg_u32 s14, 11
	s_mov_b64 s[4:5], -1
	s_cselect_b64 s[0:1], -1, 0
.LBB48_1601:
	s_and_b64 vcc, exec, s[0:1]
	s_cbranch_vccnz .LBB48_2134
; %bb.1602:
	s_andn2_b64 vcc, exec, s[4:5]
	s_cbranch_vccnz .LBB48_1604
.LBB48_1603:
	global_load_ubyte v9, v[7:8], off
	s_mov_b64 s[6:7], -1
	s_waitcnt vmcnt(0)
	v_cmp_ne_u16_e32 vcc, 0, v9
	v_cndmask_b32_e64 v9, 0, 1.0, vcc
.LBB48_1604:
	s_mov_b64 s[0:1], 0
.LBB48_1605:
	s_and_b64 vcc, exec, s[0:1]
	s_cbranch_vccz .LBB48_1654
; %bb.1606:
	s_and_b32 s4, 0xffff, s17
	s_cmp_lt_i32 s4, 5
	s_cbranch_scc1 .LBB48_1611
; %bb.1607:
	s_cmp_lt_i32 s4, 8
	s_cbranch_scc1 .LBB48_1612
; %bb.1608:
	;; [unrolled: 3-line block ×3, first 2 shown]
	s_cmp_gt_i32 s4, 9
	s_cbranch_scc0 .LBB48_1614
; %bb.1610:
	global_load_dwordx2 v[9:10], v[7:8], off
	s_mov_b64 s[0:1], 0
	s_waitcnt vmcnt(0)
	v_cvt_f32_f64_e32 v9, v[9:10]
	s_branch .LBB48_1615
.LBB48_1611:
	s_mov_b64 s[0:1], -1
                                        ; implicit-def: $vgpr9
	s_branch .LBB48_1633
.LBB48_1612:
	s_mov_b64 s[0:1], -1
                                        ; implicit-def: $vgpr9
	s_branch .LBB48_1621
.LBB48_1613:
	s_mov_b64 s[0:1], -1
                                        ; implicit-def: $vgpr9
	s_branch .LBB48_1618
.LBB48_1614:
	s_mov_b64 s[0:1], -1
                                        ; implicit-def: $vgpr9
.LBB48_1615:
	s_andn2_b64 vcc, exec, s[0:1]
	s_cbranch_vccnz .LBB48_1617
; %bb.1616:
	global_load_dword v9, v[7:8], off
.LBB48_1617:
	s_mov_b64 s[0:1], 0
.LBB48_1618:
	s_andn2_b64 vcc, exec, s[0:1]
	s_cbranch_vccnz .LBB48_1620
; %bb.1619:
	global_load_dword v9, v[7:8], off
	s_waitcnt vmcnt(0)
	v_cvt_f32_f16_e32 v9, v9
.LBB48_1620:
	s_mov_b64 s[0:1], 0
.LBB48_1621:
	s_andn2_b64 vcc, exec, s[0:1]
	s_cbranch_vccnz .LBB48_1632
; %bb.1622:
	s_cmp_lt_i32 s4, 6
	s_cbranch_scc1 .LBB48_1625
; %bb.1623:
	s_cmp_gt_i32 s4, 6
	s_cbranch_scc0 .LBB48_1626
; %bb.1624:
	global_load_dwordx2 v[9:10], v[7:8], off
	s_mov_b64 s[0:1], 0
	s_waitcnt vmcnt(0)
	v_cvt_f32_f64_e32 v9, v[9:10]
	s_branch .LBB48_1627
.LBB48_1625:
	s_mov_b64 s[0:1], -1
                                        ; implicit-def: $vgpr9
	s_branch .LBB48_1630
.LBB48_1626:
	s_mov_b64 s[0:1], -1
                                        ; implicit-def: $vgpr9
.LBB48_1627:
	s_andn2_b64 vcc, exec, s[0:1]
	s_cbranch_vccnz .LBB48_1629
; %bb.1628:
	global_load_dword v9, v[7:8], off
.LBB48_1629:
	s_mov_b64 s[0:1], 0
.LBB48_1630:
	s_andn2_b64 vcc, exec, s[0:1]
	s_cbranch_vccnz .LBB48_1632
; %bb.1631:
	global_load_ushort v9, v[7:8], off
	s_waitcnt vmcnt(0)
	v_cvt_f32_f16_e32 v9, v9
.LBB48_1632:
	s_mov_b64 s[0:1], 0
.LBB48_1633:
	s_andn2_b64 vcc, exec, s[0:1]
	s_cbranch_vccnz .LBB48_1653
; %bb.1634:
	s_cmp_lt_i32 s4, 2
	s_cbranch_scc1 .LBB48_1638
; %bb.1635:
	s_cmp_lt_i32 s4, 3
	s_cbranch_scc1 .LBB48_1639
; %bb.1636:
	s_cmp_gt_i32 s4, 3
	s_cbranch_scc0 .LBB48_1640
; %bb.1637:
	global_load_dwordx2 v[9:10], v[7:8], off
	s_mov_b64 s[0:1], 0
	s_waitcnt vmcnt(0)
	v_xor_b32_e32 v12, v9, v10
	v_ffbh_i32_e32 v11, v10
	v_ashrrev_i32_e32 v12, 31, v12
	v_add_u32_e32 v11, -1, v11
	v_add_u32_e32 v12, 32, v12
	v_min_u32_e32 v11, v11, v12
	v_lshlrev_b64 v[9:10], v11, v[9:10]
	v_min_u32_e32 v9, 1, v9
	v_or_b32_e32 v9, v10, v9
	v_cvt_f32_i32_e32 v9, v9
	v_sub_u32_e32 v10, 32, v11
	v_ldexp_f32 v9, v9, v10
	s_branch .LBB48_1641
.LBB48_1638:
	s_mov_b64 s[0:1], -1
                                        ; implicit-def: $vgpr9
	s_branch .LBB48_1647
.LBB48_1639:
	s_mov_b64 s[0:1], -1
                                        ; implicit-def: $vgpr9
	s_branch .LBB48_1644
.LBB48_1640:
	s_mov_b64 s[0:1], -1
                                        ; implicit-def: $vgpr9
.LBB48_1641:
	s_andn2_b64 vcc, exec, s[0:1]
	s_cbranch_vccnz .LBB48_1643
; %bb.1642:
	global_load_dword v9, v[7:8], off
	s_waitcnt vmcnt(0)
	v_cvt_f32_i32_e32 v9, v9
.LBB48_1643:
	s_mov_b64 s[0:1], 0
.LBB48_1644:
	s_andn2_b64 vcc, exec, s[0:1]
	s_cbranch_vccnz .LBB48_1646
; %bb.1645:
	global_load_sshort v9, v[7:8], off
	s_waitcnt vmcnt(0)
	v_cvt_f32_i32_e32 v9, v9
.LBB48_1646:
	s_mov_b64 s[0:1], 0
.LBB48_1647:
	s_andn2_b64 vcc, exec, s[0:1]
	s_cbranch_vccnz .LBB48_1653
; %bb.1648:
	s_cmp_gt_i32 s4, 0
	s_cbranch_scc0 .LBB48_1650
; %bb.1649:
	global_load_sbyte v9, v[7:8], off
	s_mov_b64 s[0:1], 0
	s_waitcnt vmcnt(0)
	v_cvt_f32_i32_e32 v9, v9
	s_branch .LBB48_1651
.LBB48_1650:
	s_mov_b64 s[0:1], -1
                                        ; implicit-def: $vgpr9
.LBB48_1651:
	s_andn2_b64 vcc, exec, s[0:1]
	s_cbranch_vccnz .LBB48_1653
; %bb.1652:
	global_load_ubyte v7, v[7:8], off
	s_waitcnt vmcnt(0)
	v_cvt_f32_ubyte0_e32 v9, v7
.LBB48_1653:
	s_mov_b64 s[6:7], -1
.LBB48_1654:
	s_andn2_b64 vcc, exec, s[6:7]
	s_cbranch_vccnz .LBB48_2088
; %bb.1655:
	s_waitcnt vmcnt(0)
	v_fma_f32 v7, |v5|, -0.5, 0.5
	v_mul_f32_e32 v8, v5, v5
	v_cmp_ge_f32_e64 vcc, |v5|, 0.5
	v_cndmask_b32_e32 v7, v8, v7, vcc
	v_mov_b32_e32 v8, 0x3c5fc5da
	v_fmac_f32_e32 v8, 0x3d1c21a7, v7
	v_mov_b32_e32 v10, 0x3d034c3c
	v_fmac_f32_e32 v10, v7, v8
	;; [unrolled: 2-line block ×4, first 2 shown]
	v_sqrt_f32_e32 v8, v7
	v_mov_b32_e32 v11, 0x3e2aaaac
	v_fmac_f32_e32 v11, v7, v10
	v_mul_f32_e32 v7, v7, v11
	v_fmac_f32_e32 v8, v8, v7
	v_add_f32_e32 v8, v8, v8
	v_sub_f32_e32 v8, 0x3fc90fdb, v8
	v_fma_f32 v7, |v5|, v7, |v5|
	v_cmp_lt_f32_e64 vcc, |v5|, 0.5
	v_cndmask_b32_e32 v8, v8, v7, vcc
	s_brev_b32 s0, -2
	s_bfe_u32 s14, s16, 0x80008
	v_bfi_b32 v7, s0, v8, v5
	v_mov_b32_e32 v10, s9
	v_add_co_u32_e32 v5, vcc, s8, v6
	s_cmp_lt_i32 s14, 11
	v_addc_co_u32_e32 v6, vcc, 0, v10, vcc
	s_cbranch_scc1 .LBB48_1733
; %bb.1656:
	s_and_b32 s15, 0xffff, s14
	s_mov_b64 s[10:11], -1
	s_mov_b64 s[4:5], 0
	s_cmp_gt_i32 s15, 25
	s_mov_b64 s[6:7], 0
	s_mov_b64 s[0:1], 0
	s_cbranch_scc0 .LBB48_1689
; %bb.1657:
	s_cmp_gt_i32 s15, 28
	s_cbranch_scc0 .LBB48_1672
; %bb.1658:
	s_cmp_gt_i32 s15, 43
	;; [unrolled: 3-line block ×3, first 2 shown]
	s_cbranch_scc0 .LBB48_1662
; %bb.1660:
	s_mov_b64 s[0:1], -1
	s_mov_b64 s[10:11], 0
	s_cmp_eq_u32 s15, 46
	s_cbranch_scc0 .LBB48_1662
; %bb.1661:
	v_bfe_u32 v10, v7, 16, 1
	s_movk_i32 s0, 0x7fff
	v_add3_u32 v10, v7, v10, s0
	v_cmp_o_f32_e32 vcc, v7, v7
	v_mov_b32_e32 v11, 0x7fc0
	v_cndmask_b32_sdwa v10, v11, v10, vcc dst_sel:DWORD dst_unused:UNUSED_PAD src0_sel:DWORD src1_sel:WORD_1
	global_store_dword v[5:6], v10, off
	s_mov_b64 s[0:1], 0
	s_mov_b64 s[6:7], -1
.LBB48_1662:
	s_and_b64 vcc, exec, s[10:11]
	s_cbranch_vccz .LBB48_1667
; %bb.1663:
	s_cmp_eq_u32 s15, 44
	s_mov_b64 s[0:1], -1
	s_cbranch_scc0 .LBB48_1667
; %bb.1664:
	v_bfe_u32 v10, v7, 23, 8
	s_movk_i32 s0, 0xff
	v_cmp_ne_u32_e32 vcc, s0, v10
	v_mov_b32_e32 v11, 0xff
	s_and_saveexec_b64 s[6:7], vcc
; %bb.1665:
	s_mov_b32 s0, 0x3fffff
	v_and_b32_e32 v12, 0x400000, v7
	v_and_or_b32 v10, v7, s0, v10
	v_cmp_ne_u32_e32 vcc, 0, v12
	v_cmp_ne_u32_e64 s[0:1], 0, v10
	s_and_b64 s[0:1], vcc, s[0:1]
	v_lshrrev_b32_e32 v11, 23, v7
	v_cndmask_b32_e64 v10, 0, 1, s[0:1]
	v_add_u32_e32 v11, v11, v10
; %bb.1666:
	s_or_b64 exec, exec, s[6:7]
	s_mov_b64 s[0:1], 0
	s_mov_b64 s[6:7], -1
	global_store_byte v[5:6], v11, off
.LBB48_1667:
	s_mov_b64 s[10:11], 0
.LBB48_1668:
	s_and_b64 vcc, exec, s[10:11]
	s_cbranch_vccz .LBB48_1671
; %bb.1669:
	s_cmp_eq_u32 s15, 29
	s_mov_b64 s[0:1], -1
	s_cbranch_scc0 .LBB48_1671
; %bb.1670:
	v_trunc_f32_e32 v10, v7
	v_mul_f32_e32 v11, 0x2f800000, v10
	v_floor_f32_e32 v12, v11
	v_fmac_f32_e32 v10, 0xcf800000, v12
	v_cvt_u32_f32_e32 v11, v12
	v_cvt_u32_f32_e32 v10, v10
	s_mov_b64 s[0:1], 0
	s_mov_b64 s[6:7], -1
	global_store_dwordx2 v[5:6], v[10:11], off
.LBB48_1671:
	s_mov_b64 s[10:11], 0
.LBB48_1672:
	s_and_b64 vcc, exec, s[10:11]
	s_cbranch_vccz .LBB48_1688
; %bb.1673:
	s_cmp_lt_i32 s15, 27
	s_mov_b64 s[6:7], -1
	s_cbranch_scc1 .LBB48_1679
; %bb.1674:
	v_cvt_u32_f32_e32 v10, v7
	s_cmp_gt_i32 s15, 27
	s_cbranch_scc0 .LBB48_1676
; %bb.1675:
	s_mov_b64 s[6:7], 0
	global_store_dword v[5:6], v10, off
.LBB48_1676:
	s_andn2_b64 vcc, exec, s[6:7]
	s_cbranch_vccnz .LBB48_1678
; %bb.1677:
	global_store_short v[5:6], v10, off
.LBB48_1678:
	s_mov_b64 s[6:7], 0
.LBB48_1679:
	s_andn2_b64 vcc, exec, s[6:7]
	s_cbranch_vccnz .LBB48_1687
; %bb.1680:
	v_and_b32_e32 v10, 0x7fffffff, v8
	s_mov_b32 s6, 0x43800000
	v_cmp_gt_u32_e32 vcc, s6, v10
	v_mov_b32_e32 v11, 0x80
	s_and_saveexec_b64 s[6:7], vcc
	s_cbranch_execz .LBB48_1686
; %bb.1681:
	s_mov_b32 s10, 0x3bffffff
	v_cmp_lt_u32_e32 vcc, s10, v10
	s_mov_b64 s[10:11], 0
                                        ; implicit-def: $vgpr10
	s_and_saveexec_b64 s[12:13], vcc
	s_xor_b64 s[12:13], exec, s[12:13]
	s_cbranch_execz .LBB48_2135
; %bb.1682:
	v_bfe_u32 v10, v7, 20, 1
	s_mov_b32 s17, 0x487ffff
	v_add3_u32 v10, v7, v10, s17
	s_mov_b64 s[10:11], exec
	v_lshrrev_b32_e32 v10, 20, v10
	s_andn2_saveexec_b64 s[12:13], s[12:13]
	s_cbranch_execnz .LBB48_2136
.LBB48_1683:
	s_or_b64 exec, exec, s[12:13]
	v_mov_b32_e32 v11, 0
	s_and_saveexec_b64 s[12:13], s[10:11]
.LBB48_1684:
	v_lshrrev_b32_e32 v11, 24, v7
	s_movk_i32 s10, 0x80
	v_and_or_b32 v11, v11, s10, v10
.LBB48_1685:
	s_or_b64 exec, exec, s[12:13]
.LBB48_1686:
	s_or_b64 exec, exec, s[6:7]
	global_store_byte v[5:6], v11, off
.LBB48_1687:
	s_mov_b64 s[6:7], -1
.LBB48_1688:
	s_mov_b64 s[10:11], 0
.LBB48_1689:
	s_and_b64 vcc, exec, s[10:11]
	s_cbranch_vccz .LBB48_1729
; %bb.1690:
	s_cmp_gt_i32 s15, 22
	s_mov_b64 s[4:5], -1
	s_cbranch_scc0 .LBB48_1722
; %bb.1691:
	s_cmp_lt_i32 s15, 24
	s_cbranch_scc1 .LBB48_1711
; %bb.1692:
	s_cmp_gt_i32 s15, 24
	s_cbranch_scc0 .LBB48_1700
; %bb.1693:
	v_and_b32_e32 v10, 0x7fffffff, v8
	s_mov_b32 s4, 0x47800000
	v_cmp_gt_u32_e32 vcc, s4, v10
	v_mov_b32_e32 v11, 0x80
	s_and_saveexec_b64 s[4:5], vcc
	s_cbranch_execz .LBB48_1699
; %bb.1694:
	s_mov_b32 s6, 0x37ffffff
	v_cmp_lt_u32_e32 vcc, s6, v10
	s_mov_b64 s[6:7], 0
                                        ; implicit-def: $vgpr10
	s_and_saveexec_b64 s[10:11], vcc
	s_xor_b64 s[10:11], exec, s[10:11]
	s_cbranch_execz .LBB48_2138
; %bb.1695:
	v_bfe_u32 v10, v7, 21, 1
	s_mov_b32 s12, 0x88fffff
	v_add3_u32 v10, v7, v10, s12
	s_mov_b64 s[6:7], exec
	v_lshrrev_b32_e32 v10, 21, v10
	s_andn2_saveexec_b64 s[10:11], s[10:11]
	s_cbranch_execnz .LBB48_2139
.LBB48_1696:
	s_or_b64 exec, exec, s[10:11]
	v_mov_b32_e32 v11, 0
	s_and_saveexec_b64 s[10:11], s[6:7]
.LBB48_1697:
	v_lshrrev_b32_e32 v11, 24, v7
	s_movk_i32 s6, 0x80
	v_and_or_b32 v11, v11, s6, v10
.LBB48_1698:
	s_or_b64 exec, exec, s[10:11]
.LBB48_1699:
	s_or_b64 exec, exec, s[4:5]
	s_mov_b64 s[4:5], 0
	global_store_byte v[5:6], v11, off
.LBB48_1700:
	s_and_b64 vcc, exec, s[4:5]
	s_cbranch_vccz .LBB48_1710
; %bb.1701:
	v_and_b32_e32 v11, 0x7fffffff, v8
	s_mov_b32 s4, 0x43f00000
	v_cmp_gt_u32_e32 vcc, s4, v11
                                        ; implicit-def: $vgpr10
	s_and_saveexec_b64 s[4:5], vcc
	s_xor_b64 s[4:5], exec, s[4:5]
	s_cbranch_execz .LBB48_1707
; %bb.1702:
	s_mov_b32 s6, 0x3c7fffff
	v_cmp_lt_u32_e32 vcc, s6, v11
                                        ; implicit-def: $vgpr10
	s_and_saveexec_b64 s[6:7], vcc
	s_xor_b64 s[6:7], exec, s[6:7]
; %bb.1703:
	v_bfe_u32 v10, v7, 20, 1
	s_mov_b32 s10, 0x407ffff
	v_add3_u32 v10, v7, v10, s10
	v_lshrrev_b32_e32 v11, 20, v10
	v_and_b32_e32 v10, 0xff00000, v10
	s_mov_b32 s10, 0x7f00000
	v_mov_b32_e32 v12, 0x7e
	v_cmp_ne_u32_e32 vcc, s10, v10
	v_cndmask_b32_e32 v10, v12, v11, vcc
; %bb.1704:
	s_andn2_saveexec_b64 s[6:7], s[6:7]
; %bb.1705:
	s_mov_b32 s10, 0x46800000
	v_add_f32_e64 v10, |v8|, s10
; %bb.1706:
	s_or_b64 exec, exec, s[6:7]
                                        ; implicit-def: $vgpr11
.LBB48_1707:
	s_andn2_saveexec_b64 s[4:5], s[4:5]
; %bb.1708:
	s_mov_b32 s6, 0x7f800000
	v_mov_b32_e32 v10, 0x7e
	v_mov_b32_e32 v12, 0x7f
	v_cmp_lt_u32_e32 vcc, s6, v11
	v_cndmask_b32_e32 v10, v10, v12, vcc
; %bb.1709:
	s_or_b64 exec, exec, s[4:5]
	v_lshrrev_b32_e32 v11, 24, v7
	s_movk_i32 s4, 0x80
	v_and_or_b32 v10, v11, s4, v10
	global_store_byte v[5:6], v10, off
.LBB48_1710:
	s_mov_b64 s[4:5], 0
.LBB48_1711:
	s_andn2_b64 vcc, exec, s[4:5]
	s_cbranch_vccnz .LBB48_1721
; %bb.1712:
	v_and_b32_e32 v11, 0x7fffffff, v8
	s_mov_b32 s4, 0x47800000
	v_cmp_gt_u32_e32 vcc, s4, v11
                                        ; implicit-def: $vgpr10
	s_and_saveexec_b64 s[4:5], vcc
	s_xor_b64 s[4:5], exec, s[4:5]
	s_cbranch_execz .LBB48_1718
; %bb.1713:
	s_mov_b32 s6, 0x387fffff
	v_cmp_lt_u32_e32 vcc, s6, v11
                                        ; implicit-def: $vgpr10
	s_and_saveexec_b64 s[6:7], vcc
	s_xor_b64 s[6:7], exec, s[6:7]
; %bb.1714:
	v_bfe_u32 v8, v7, 21, 1
	s_mov_b32 s10, 0x80fffff
	v_add3_u32 v8, v7, v8, s10
	v_lshrrev_b32_e32 v10, 21, v8
                                        ; implicit-def: $vgpr8
; %bb.1715:
	s_andn2_saveexec_b64 s[6:7], s[6:7]
; %bb.1716:
	s_mov_b32 s10, 0x43000000
	v_add_f32_e64 v10, |v8|, s10
; %bb.1717:
	s_or_b64 exec, exec, s[6:7]
                                        ; implicit-def: $vgpr11
.LBB48_1718:
	s_andn2_saveexec_b64 s[4:5], s[4:5]
; %bb.1719:
	s_mov_b32 s6, 0x7f800000
	v_mov_b32_e32 v8, 0x7c
	v_mov_b32_e32 v10, 0x7f
	v_cmp_lt_u32_e32 vcc, s6, v11
	v_cndmask_b32_e32 v10, v8, v10, vcc
; %bb.1720:
	s_or_b64 exec, exec, s[4:5]
	v_lshrrev_b32_e32 v8, 24, v7
	s_movk_i32 s4, 0x80
	v_and_or_b32 v8, v8, s4, v10
	global_store_byte v[5:6], v8, off
.LBB48_1721:
	s_mov_b64 s[4:5], 0
	s_mov_b64 s[6:7], -1
.LBB48_1722:
	s_andn2_b64 vcc, exec, s[4:5]
	s_mov_b64 s[4:5], 0
	s_cbranch_vccnz .LBB48_1729
; %bb.1723:
	s_cmp_gt_i32 s15, 14
	s_mov_b64 s[10:11], -1
	s_cbranch_scc0 .LBB48_1727
; %bb.1724:
	s_cmp_eq_u32 s15, 15
	s_mov_b64 s[0:1], -1
	s_cbranch_scc0 .LBB48_1726
; %bb.1725:
	v_bfe_u32 v8, v7, 16, 1
	s_movk_i32 s0, 0x7fff
	v_add3_u32 v8, v7, v8, s0
	v_cmp_o_f32_e32 vcc, v7, v7
	v_mov_b32_e32 v10, 0x7fc0
	v_cndmask_b32_sdwa v8, v10, v8, vcc dst_sel:DWORD dst_unused:UNUSED_PAD src0_sel:DWORD src1_sel:WORD_1
	global_store_short v[5:6], v8, off
	s_mov_b64 s[0:1], 0
	s_mov_b64 s[6:7], -1
.LBB48_1726:
	s_mov_b64 s[10:11], 0
.LBB48_1727:
	s_and_b64 vcc, exec, s[10:11]
	s_cbranch_vccz .LBB48_1729
; %bb.1728:
	s_cmp_lg_u32 s15, 11
	s_mov_b64 s[4:5], -1
	s_cselect_b64 s[0:1], -1, 0
.LBB48_1729:
	s_and_b64 vcc, exec, s[0:1]
	s_cbranch_vccnz .LBB48_2137
; %bb.1730:
	s_andn2_b64 vcc, exec, s[4:5]
	s_cbranch_vccnz .LBB48_1732
.LBB48_1731:
	v_cmp_neq_f32_e32 vcc, 0, v7
	v_cndmask_b32_e64 v8, 0, 1, vcc
	s_mov_b64 s[6:7], -1
	global_store_byte v[5:6], v8, off
.LBB48_1732:
	s_mov_b64 s[0:1], 0
	s_branch .LBB48_1734
.LBB48_1733:
	s_mov_b64 s[0:1], -1
	s_mov_b64 s[6:7], 0
.LBB48_1734:
	s_and_b64 vcc, exec, s[0:1]
	s_cbranch_vccz .LBB48_1773
; %bb.1735:
	s_and_b32 s4, 0xffff, s14
	s_cmp_lt_i32 s4, 5
	s_mov_b64 s[0:1], -1
	s_cbranch_scc1 .LBB48_1756
; %bb.1736:
	s_cmp_lt_i32 s4, 8
	s_cbranch_scc1 .LBB48_1746
; %bb.1737:
	s_cmp_lt_i32 s4, 9
	s_cbranch_scc1 .LBB48_1743
; %bb.1738:
	s_cmp_gt_i32 s4, 9
	s_cbranch_scc0 .LBB48_1740
; %bb.1739:
	v_cvt_f64_f32_e32 v[10:11], v7
	v_mov_b32_e32 v12, 0
	v_mov_b32_e32 v13, v12
	s_mov_b64 s[0:1], 0
	global_store_dwordx4 v[5:6], v[10:13], off
.LBB48_1740:
	s_andn2_b64 vcc, exec, s[0:1]
	s_cbranch_vccnz .LBB48_1742
; %bb.1741:
	v_mov_b32_e32 v8, 0
	global_store_dwordx2 v[5:6], v[7:8], off
.LBB48_1742:
	s_mov_b64 s[0:1], 0
.LBB48_1743:
	s_andn2_b64 vcc, exec, s[0:1]
	s_cbranch_vccnz .LBB48_1745
; %bb.1744:
	v_cvt_f16_f32_e32 v8, v7
	global_store_dword v[5:6], v8, off
.LBB48_1745:
	s_mov_b64 s[0:1], 0
.LBB48_1746:
	s_andn2_b64 vcc, exec, s[0:1]
	s_cbranch_vccnz .LBB48_1755
; %bb.1747:
	s_cmp_lt_i32 s4, 6
	s_mov_b64 s[0:1], -1
	s_cbranch_scc1 .LBB48_1753
; %bb.1748:
	s_cmp_gt_i32 s4, 6
	s_cbranch_scc0 .LBB48_1750
; %bb.1749:
	v_cvt_f64_f32_e32 v[10:11], v7
	s_mov_b64 s[0:1], 0
	global_store_dwordx2 v[5:6], v[10:11], off
.LBB48_1750:
	s_andn2_b64 vcc, exec, s[0:1]
	s_cbranch_vccnz .LBB48_1752
; %bb.1751:
	global_store_dword v[5:6], v7, off
.LBB48_1752:
	s_mov_b64 s[0:1], 0
.LBB48_1753:
	s_andn2_b64 vcc, exec, s[0:1]
	s_cbranch_vccnz .LBB48_1755
; %bb.1754:
	v_cvt_f16_f32_e32 v8, v7
	global_store_short v[5:6], v8, off
.LBB48_1755:
	s_mov_b64 s[0:1], 0
.LBB48_1756:
	s_andn2_b64 vcc, exec, s[0:1]
	s_cbranch_vccnz .LBB48_1772
; %bb.1757:
	s_cmp_lt_i32 s4, 2
	s_mov_b64 s[0:1], -1
	s_cbranch_scc1 .LBB48_1767
; %bb.1758:
	s_cmp_lt_i32 s4, 3
	s_cbranch_scc1 .LBB48_1764
; %bb.1759:
	s_cmp_gt_i32 s4, 3
	s_cbranch_scc0 .LBB48_1761
; %bb.1760:
	v_trunc_f32_e32 v8, v7
	s_mov_b32 s0, 0x2f800000
	v_mul_f32_e64 v10, |v8|, s0
	v_floor_f32_e32 v10, v10
	s_mov_b32 s0, 0xcf800000
	v_cvt_u32_f32_e32 v11, v10
	v_fma_f32 v10, v10, s0, |v8|
	v_cvt_u32_f32_e32 v10, v10
	v_ashrrev_i32_e32 v8, 31, v8
	v_xor_b32_e32 v11, v11, v8
	s_mov_b64 s[0:1], 0
	v_xor_b32_e32 v10, v10, v8
	v_sub_co_u32_e32 v10, vcc, v10, v8
	v_subb_co_u32_e32 v11, vcc, v11, v8, vcc
	global_store_dwordx2 v[5:6], v[10:11], off
.LBB48_1761:
	s_andn2_b64 vcc, exec, s[0:1]
	s_cbranch_vccnz .LBB48_1763
; %bb.1762:
	v_cvt_i32_f32_e32 v8, v7
	global_store_dword v[5:6], v8, off
.LBB48_1763:
	s_mov_b64 s[0:1], 0
.LBB48_1764:
	s_andn2_b64 vcc, exec, s[0:1]
	s_cbranch_vccnz .LBB48_1766
; %bb.1765:
	v_cvt_i32_f32_e32 v8, v7
	global_store_short v[5:6], v8, off
.LBB48_1766:
	s_mov_b64 s[0:1], 0
.LBB48_1767:
	s_andn2_b64 vcc, exec, s[0:1]
	s_cbranch_vccnz .LBB48_1772
; %bb.1768:
	s_cmp_gt_i32 s4, 0
	s_mov_b64 s[0:1], -1
	s_cbranch_scc0 .LBB48_1770
; %bb.1769:
	v_cvt_i32_f32_e32 v8, v7
	s_mov_b64 s[0:1], 0
	global_store_byte v[5:6], v8, off
.LBB48_1770:
	s_andn2_b64 vcc, exec, s[0:1]
	s_cbranch_vccnz .LBB48_1772
; %bb.1771:
	v_trunc_f32_e32 v7, v7
	s_mov_b32 s0, 0x2f800000
	v_mul_f32_e64 v8, |v7|, s0
	v_floor_f32_e32 v8, v8
	s_mov_b32 s0, 0xcf800000
	v_fma_f32 v8, v8, s0, |v7|
	v_cvt_u32_f32_e32 v8, v8
	v_ashrrev_i32_e32 v7, 31, v7
	v_xor_b32_e32 v8, v8, v7
	v_sub_u32_e32 v7, v8, v7
	global_store_byte v[5:6], v7, off
.LBB48_1772:
	s_mov_b64 s[6:7], -1
.LBB48_1773:
	s_andn2_b64 vcc, exec, s[6:7]
	s_cbranch_vccnz .LBB48_2088
; %bb.1774:
	v_fma_f32 v5, |v3|, -0.5, 0.5
	v_mul_f32_e32 v6, v3, v3
	v_cmp_ge_f32_e64 vcc, |v3|, 0.5
	v_cndmask_b32_e32 v5, v6, v5, vcc
	v_mov_b32_e32 v6, 0x3c5fc5da
	v_fmac_f32_e32 v6, 0x3d1c21a7, v5
	v_mov_b32_e32 v7, 0x3d034c3c
	v_fmac_f32_e32 v7, v5, v6
	;; [unrolled: 2-line block ×4, first 2 shown]
	v_sqrt_f32_e32 v6, v5
	v_mov_b32_e32 v8, 0x3e2aaaac
	v_fmac_f32_e32 v8, v5, v7
	v_mul_f32_e32 v5, v5, v8
	v_fmac_f32_e32 v6, v6, v5
	v_add_f32_e32 v6, v6, v6
	s_lshr_b32 s0, s16, 8
	v_sub_f32_e32 v6, 0x3fc90fdb, v6
	v_fma_f32 v5, |v3|, v5, |v3|
	v_cmp_lt_f32_e64 vcc, |v3|, 0.5
	s_and_b32 s14, s0, 0xff
	v_cndmask_b32_e32 v6, v6, v5, vcc
	s_brev_b32 s0, -2
	v_bfi_b32 v5, s0, v6, v3
	v_mov_b32_e32 v7, s9
	v_add_co_u32_e32 v3, vcc, s8, v4
	s_cmp_lt_i32 s14, 11
	v_addc_co_u32_e32 v4, vcc, 0, v7, vcc
	s_cbranch_scc1 .LBB48_1852
; %bb.1775:
	s_and_b32 s15, 0xffff, s14
	s_mov_b64 s[10:11], -1
	s_mov_b64 s[4:5], 0
	s_cmp_gt_i32 s15, 25
	s_mov_b64 s[6:7], 0
	s_mov_b64 s[0:1], 0
	s_cbranch_scc0 .LBB48_1808
; %bb.1776:
	s_cmp_gt_i32 s15, 28
	s_cbranch_scc0 .LBB48_1791
; %bb.1777:
	s_cmp_gt_i32 s15, 43
	;; [unrolled: 3-line block ×3, first 2 shown]
	s_cbranch_scc0 .LBB48_1781
; %bb.1779:
	s_mov_b64 s[0:1], -1
	s_mov_b64 s[10:11], 0
	s_cmp_eq_u32 s15, 46
	s_cbranch_scc0 .LBB48_1781
; %bb.1780:
	v_bfe_u32 v7, v5, 16, 1
	s_movk_i32 s0, 0x7fff
	v_add3_u32 v7, v5, v7, s0
	v_cmp_o_f32_e32 vcc, v5, v5
	v_mov_b32_e32 v8, 0x7fc0
	v_cndmask_b32_sdwa v7, v8, v7, vcc dst_sel:DWORD dst_unused:UNUSED_PAD src0_sel:DWORD src1_sel:WORD_1
	global_store_dword v[3:4], v7, off
	s_mov_b64 s[0:1], 0
	s_mov_b64 s[6:7], -1
.LBB48_1781:
	s_and_b64 vcc, exec, s[10:11]
	s_cbranch_vccz .LBB48_1786
; %bb.1782:
	s_cmp_eq_u32 s15, 44
	s_mov_b64 s[0:1], -1
	s_cbranch_scc0 .LBB48_1786
; %bb.1783:
	v_bfe_u32 v7, v5, 23, 8
	s_movk_i32 s0, 0xff
	v_cmp_ne_u32_e32 vcc, s0, v7
	v_mov_b32_e32 v8, 0xff
	s_and_saveexec_b64 s[6:7], vcc
; %bb.1784:
	s_mov_b32 s0, 0x3fffff
	v_and_b32_e32 v10, 0x400000, v5
	v_and_or_b32 v7, v5, s0, v7
	v_cmp_ne_u32_e32 vcc, 0, v10
	v_cmp_ne_u32_e64 s[0:1], 0, v7
	s_and_b64 s[0:1], vcc, s[0:1]
	v_lshrrev_b32_e32 v8, 23, v5
	v_cndmask_b32_e64 v7, 0, 1, s[0:1]
	v_add_u32_e32 v8, v8, v7
; %bb.1785:
	s_or_b64 exec, exec, s[6:7]
	s_mov_b64 s[0:1], 0
	s_mov_b64 s[6:7], -1
	global_store_byte v[3:4], v8, off
.LBB48_1786:
	s_mov_b64 s[10:11], 0
.LBB48_1787:
	s_and_b64 vcc, exec, s[10:11]
	s_cbranch_vccz .LBB48_1790
; %bb.1788:
	s_cmp_eq_u32 s15, 29
	s_mov_b64 s[0:1], -1
	s_cbranch_scc0 .LBB48_1790
; %bb.1789:
	v_trunc_f32_e32 v7, v5
	v_mul_f32_e32 v8, 0x2f800000, v7
	v_floor_f32_e32 v10, v8
	v_fmac_f32_e32 v7, 0xcf800000, v10
	v_cvt_u32_f32_e32 v8, v10
	v_cvt_u32_f32_e32 v7, v7
	s_mov_b64 s[0:1], 0
	s_mov_b64 s[6:7], -1
	global_store_dwordx2 v[3:4], v[7:8], off
.LBB48_1790:
	s_mov_b64 s[10:11], 0
.LBB48_1791:
	s_and_b64 vcc, exec, s[10:11]
	s_cbranch_vccz .LBB48_1807
; %bb.1792:
	s_cmp_lt_i32 s15, 27
	s_mov_b64 s[6:7], -1
	s_cbranch_scc1 .LBB48_1798
; %bb.1793:
	s_cmp_gt_i32 s15, 27
	s_cbranch_scc0 .LBB48_1795
; %bb.1794:
	v_cvt_u32_f32_e32 v7, v5
	s_mov_b64 s[6:7], 0
	global_store_dword v[3:4], v7, off
.LBB48_1795:
	s_andn2_b64 vcc, exec, s[6:7]
	s_cbranch_vccnz .LBB48_1797
; %bb.1796:
	v_cvt_u32_f32_e32 v7, v5
	global_store_short v[3:4], v7, off
.LBB48_1797:
	s_mov_b64 s[6:7], 0
.LBB48_1798:
	s_andn2_b64 vcc, exec, s[6:7]
	s_cbranch_vccnz .LBB48_1806
; %bb.1799:
	v_and_b32_e32 v7, 0x7fffffff, v6
	s_mov_b32 s6, 0x43800000
	v_cmp_gt_u32_e32 vcc, s6, v7
	v_mov_b32_e32 v8, 0x80
	s_and_saveexec_b64 s[6:7], vcc
	s_cbranch_execz .LBB48_1805
; %bb.1800:
	s_mov_b32 s10, 0x3bffffff
	v_cmp_lt_u32_e32 vcc, s10, v7
	s_mov_b64 s[10:11], 0
                                        ; implicit-def: $vgpr7
	s_and_saveexec_b64 s[12:13], vcc
	s_xor_b64 s[12:13], exec, s[12:13]
	s_cbranch_execz .LBB48_2140
; %bb.1801:
	v_bfe_u32 v7, v5, 20, 1
	s_mov_b32 s16, 0x487ffff
	v_add3_u32 v7, v5, v7, s16
	s_mov_b64 s[10:11], exec
	v_lshrrev_b32_e32 v7, 20, v7
	s_andn2_saveexec_b64 s[12:13], s[12:13]
	s_cbranch_execnz .LBB48_2141
.LBB48_1802:
	s_or_b64 exec, exec, s[12:13]
	v_mov_b32_e32 v8, 0
	s_and_saveexec_b64 s[12:13], s[10:11]
.LBB48_1803:
	v_lshrrev_b32_e32 v8, 24, v5
	s_movk_i32 s10, 0x80
	v_and_or_b32 v8, v8, s10, v7
.LBB48_1804:
	s_or_b64 exec, exec, s[12:13]
.LBB48_1805:
	s_or_b64 exec, exec, s[6:7]
	global_store_byte v[3:4], v8, off
.LBB48_1806:
	s_mov_b64 s[6:7], -1
.LBB48_1807:
	s_mov_b64 s[10:11], 0
.LBB48_1808:
	s_and_b64 vcc, exec, s[10:11]
	s_cbranch_vccz .LBB48_1848
; %bb.1809:
	s_cmp_gt_i32 s15, 22
	s_mov_b64 s[4:5], -1
	s_cbranch_scc0 .LBB48_1841
; %bb.1810:
	s_cmp_lt_i32 s15, 24
	s_cbranch_scc1 .LBB48_1830
; %bb.1811:
	s_cmp_gt_i32 s15, 24
	s_cbranch_scc0 .LBB48_1819
; %bb.1812:
	v_and_b32_e32 v7, 0x7fffffff, v6
	s_mov_b32 s4, 0x47800000
	v_cmp_gt_u32_e32 vcc, s4, v7
	v_mov_b32_e32 v8, 0x80
	s_and_saveexec_b64 s[4:5], vcc
	s_cbranch_execz .LBB48_1818
; %bb.1813:
	s_mov_b32 s6, 0x37ffffff
	v_cmp_lt_u32_e32 vcc, s6, v7
	s_mov_b64 s[6:7], 0
                                        ; implicit-def: $vgpr7
	s_and_saveexec_b64 s[10:11], vcc
	s_xor_b64 s[10:11], exec, s[10:11]
	s_cbranch_execz .LBB48_2143
; %bb.1814:
	v_bfe_u32 v7, v5, 21, 1
	s_mov_b32 s12, 0x88fffff
	v_add3_u32 v7, v5, v7, s12
	s_mov_b64 s[6:7], exec
	v_lshrrev_b32_e32 v7, 21, v7
	s_andn2_saveexec_b64 s[10:11], s[10:11]
	s_cbranch_execnz .LBB48_2144
.LBB48_1815:
	s_or_b64 exec, exec, s[10:11]
	v_mov_b32_e32 v8, 0
	s_and_saveexec_b64 s[10:11], s[6:7]
.LBB48_1816:
	v_lshrrev_b32_e32 v8, 24, v5
	s_movk_i32 s6, 0x80
	v_and_or_b32 v8, v8, s6, v7
.LBB48_1817:
	s_or_b64 exec, exec, s[10:11]
.LBB48_1818:
	s_or_b64 exec, exec, s[4:5]
	s_mov_b64 s[4:5], 0
	global_store_byte v[3:4], v8, off
.LBB48_1819:
	s_and_b64 vcc, exec, s[4:5]
	s_cbranch_vccz .LBB48_1829
; %bb.1820:
	v_and_b32_e32 v8, 0x7fffffff, v6
	s_mov_b32 s4, 0x43f00000
	v_cmp_gt_u32_e32 vcc, s4, v8
                                        ; implicit-def: $vgpr7
	s_and_saveexec_b64 s[4:5], vcc
	s_xor_b64 s[4:5], exec, s[4:5]
	s_cbranch_execz .LBB48_1826
; %bb.1821:
	s_mov_b32 s6, 0x3c7fffff
	v_cmp_lt_u32_e32 vcc, s6, v8
                                        ; implicit-def: $vgpr7
	s_and_saveexec_b64 s[6:7], vcc
	s_xor_b64 s[6:7], exec, s[6:7]
; %bb.1822:
	v_bfe_u32 v7, v5, 20, 1
	s_mov_b32 s10, 0x407ffff
	v_add3_u32 v7, v5, v7, s10
	v_lshrrev_b32_e32 v8, 20, v7
	v_and_b32_e32 v7, 0xff00000, v7
	s_mov_b32 s10, 0x7f00000
	v_mov_b32_e32 v10, 0x7e
	v_cmp_ne_u32_e32 vcc, s10, v7
	v_cndmask_b32_e32 v7, v10, v8, vcc
; %bb.1823:
	s_andn2_saveexec_b64 s[6:7], s[6:7]
; %bb.1824:
	s_mov_b32 s10, 0x46800000
	v_add_f32_e64 v7, |v6|, s10
; %bb.1825:
	s_or_b64 exec, exec, s[6:7]
                                        ; implicit-def: $vgpr8
.LBB48_1826:
	s_andn2_saveexec_b64 s[4:5], s[4:5]
; %bb.1827:
	s_mov_b32 s6, 0x7f800000
	v_mov_b32_e32 v7, 0x7e
	v_mov_b32_e32 v10, 0x7f
	v_cmp_lt_u32_e32 vcc, s6, v8
	v_cndmask_b32_e32 v7, v7, v10, vcc
; %bb.1828:
	s_or_b64 exec, exec, s[4:5]
	v_lshrrev_b32_e32 v8, 24, v5
	s_movk_i32 s4, 0x80
	v_and_or_b32 v7, v8, s4, v7
	global_store_byte v[3:4], v7, off
.LBB48_1829:
	s_mov_b64 s[4:5], 0
.LBB48_1830:
	s_andn2_b64 vcc, exec, s[4:5]
	s_cbranch_vccnz .LBB48_1840
; %bb.1831:
	v_and_b32_e32 v8, 0x7fffffff, v6
	s_mov_b32 s4, 0x47800000
	v_cmp_gt_u32_e32 vcc, s4, v8
                                        ; implicit-def: $vgpr7
	s_and_saveexec_b64 s[4:5], vcc
	s_xor_b64 s[4:5], exec, s[4:5]
	s_cbranch_execz .LBB48_1837
; %bb.1832:
	s_mov_b32 s6, 0x387fffff
	v_cmp_lt_u32_e32 vcc, s6, v8
                                        ; implicit-def: $vgpr7
	s_and_saveexec_b64 s[6:7], vcc
	s_xor_b64 s[6:7], exec, s[6:7]
; %bb.1833:
	v_bfe_u32 v6, v5, 21, 1
	s_mov_b32 s10, 0x80fffff
	v_add3_u32 v6, v5, v6, s10
	v_lshrrev_b32_e32 v7, 21, v6
                                        ; implicit-def: $vgpr6
; %bb.1834:
	s_andn2_saveexec_b64 s[6:7], s[6:7]
; %bb.1835:
	s_mov_b32 s10, 0x43000000
	v_add_f32_e64 v7, |v6|, s10
; %bb.1836:
	s_or_b64 exec, exec, s[6:7]
                                        ; implicit-def: $vgpr8
.LBB48_1837:
	s_andn2_saveexec_b64 s[4:5], s[4:5]
; %bb.1838:
	s_mov_b32 s6, 0x7f800000
	v_mov_b32_e32 v6, 0x7c
	v_mov_b32_e32 v7, 0x7f
	v_cmp_lt_u32_e32 vcc, s6, v8
	v_cndmask_b32_e32 v7, v6, v7, vcc
; %bb.1839:
	s_or_b64 exec, exec, s[4:5]
	v_lshrrev_b32_e32 v6, 24, v5
	s_movk_i32 s4, 0x80
	v_and_or_b32 v6, v6, s4, v7
	global_store_byte v[3:4], v6, off
.LBB48_1840:
	s_mov_b64 s[4:5], 0
	s_mov_b64 s[6:7], -1
.LBB48_1841:
	s_andn2_b64 vcc, exec, s[4:5]
	s_mov_b64 s[4:5], 0
	s_cbranch_vccnz .LBB48_1848
; %bb.1842:
	s_cmp_gt_i32 s15, 14
	s_mov_b64 s[10:11], -1
	s_cbranch_scc0 .LBB48_1846
; %bb.1843:
	s_cmp_eq_u32 s15, 15
	s_mov_b64 s[0:1], -1
	s_cbranch_scc0 .LBB48_1845
; %bb.1844:
	v_bfe_u32 v6, v5, 16, 1
	s_movk_i32 s0, 0x7fff
	v_add3_u32 v6, v5, v6, s0
	v_cmp_o_f32_e32 vcc, v5, v5
	v_mov_b32_e32 v7, 0x7fc0
	v_cndmask_b32_sdwa v6, v7, v6, vcc dst_sel:DWORD dst_unused:UNUSED_PAD src0_sel:DWORD src1_sel:WORD_1
	global_store_short v[3:4], v6, off
	s_mov_b64 s[0:1], 0
	s_mov_b64 s[6:7], -1
.LBB48_1845:
	s_mov_b64 s[10:11], 0
.LBB48_1846:
	s_and_b64 vcc, exec, s[10:11]
	s_cbranch_vccz .LBB48_1848
; %bb.1847:
	s_cmp_lg_u32 s15, 11
	s_mov_b64 s[4:5], -1
	s_cselect_b64 s[0:1], -1, 0
.LBB48_1848:
	s_and_b64 vcc, exec, s[0:1]
	s_cbranch_vccnz .LBB48_2142
; %bb.1849:
	s_andn2_b64 vcc, exec, s[4:5]
	s_cbranch_vccnz .LBB48_1851
.LBB48_1850:
	v_cmp_neq_f32_e32 vcc, 0, v5
	v_cndmask_b32_e64 v6, 0, 1, vcc
	s_mov_b64 s[6:7], -1
	global_store_byte v[3:4], v6, off
.LBB48_1851:
	s_mov_b64 s[0:1], 0
	s_branch .LBB48_1853
.LBB48_1852:
	s_mov_b64 s[0:1], -1
	s_mov_b64 s[6:7], 0
.LBB48_1853:
	s_and_b64 vcc, exec, s[0:1]
	s_cbranch_vccz .LBB48_1892
; %bb.1854:
	s_and_b32 s4, 0xffff, s14
	s_cmp_lt_i32 s4, 5
	s_mov_b64 s[0:1], -1
	s_cbranch_scc1 .LBB48_1875
; %bb.1855:
	s_cmp_lt_i32 s4, 8
	s_cbranch_scc1 .LBB48_1865
; %bb.1856:
	s_cmp_lt_i32 s4, 9
	s_cbranch_scc1 .LBB48_1862
; %bb.1857:
	s_cmp_gt_i32 s4, 9
	s_cbranch_scc0 .LBB48_1859
; %bb.1858:
	v_cvt_f64_f32_e32 v[10:11], v5
	v_mov_b32_e32 v12, 0
	v_mov_b32_e32 v13, v12
	s_mov_b64 s[0:1], 0
	global_store_dwordx4 v[3:4], v[10:13], off
.LBB48_1859:
	s_andn2_b64 vcc, exec, s[0:1]
	s_cbranch_vccnz .LBB48_1861
; %bb.1860:
	v_mov_b32_e32 v6, 0
	global_store_dwordx2 v[3:4], v[5:6], off
.LBB48_1861:
	s_mov_b64 s[0:1], 0
.LBB48_1862:
	s_andn2_b64 vcc, exec, s[0:1]
	s_cbranch_vccnz .LBB48_1864
; %bb.1863:
	v_cvt_f16_f32_e32 v6, v5
	global_store_dword v[3:4], v6, off
.LBB48_1864:
	s_mov_b64 s[0:1], 0
.LBB48_1865:
	s_andn2_b64 vcc, exec, s[0:1]
	s_cbranch_vccnz .LBB48_1874
; %bb.1866:
	s_cmp_lt_i32 s4, 6
	s_mov_b64 s[0:1], -1
	s_cbranch_scc1 .LBB48_1872
; %bb.1867:
	s_cmp_gt_i32 s4, 6
	s_cbranch_scc0 .LBB48_1869
; %bb.1868:
	v_cvt_f64_f32_e32 v[6:7], v5
	s_mov_b64 s[0:1], 0
	global_store_dwordx2 v[3:4], v[6:7], off
.LBB48_1869:
	s_andn2_b64 vcc, exec, s[0:1]
	s_cbranch_vccnz .LBB48_1871
; %bb.1870:
	global_store_dword v[3:4], v5, off
.LBB48_1871:
	s_mov_b64 s[0:1], 0
.LBB48_1872:
	s_andn2_b64 vcc, exec, s[0:1]
	s_cbranch_vccnz .LBB48_1874
; %bb.1873:
	v_cvt_f16_f32_e32 v6, v5
	global_store_short v[3:4], v6, off
.LBB48_1874:
	s_mov_b64 s[0:1], 0
.LBB48_1875:
	s_andn2_b64 vcc, exec, s[0:1]
	s_cbranch_vccnz .LBB48_1891
; %bb.1876:
	s_cmp_lt_i32 s4, 2
	s_mov_b64 s[0:1], -1
	s_cbranch_scc1 .LBB48_1886
; %bb.1877:
	s_cmp_lt_i32 s4, 3
	s_cbranch_scc1 .LBB48_1883
; %bb.1878:
	s_cmp_gt_i32 s4, 3
	s_cbranch_scc0 .LBB48_1880
; %bb.1879:
	v_trunc_f32_e32 v6, v5
	s_mov_b32 s0, 0x2f800000
	v_mul_f32_e64 v7, |v6|, s0
	v_floor_f32_e32 v7, v7
	s_mov_b32 s0, 0xcf800000
	v_cvt_u32_f32_e32 v8, v7
	v_fma_f32 v7, v7, s0, |v6|
	v_cvt_u32_f32_e32 v7, v7
	v_ashrrev_i32_e32 v10, 31, v6
	v_xor_b32_e32 v8, v8, v10
	s_mov_b64 s[0:1], 0
	v_xor_b32_e32 v6, v7, v10
	v_sub_co_u32_e32 v6, vcc, v6, v10
	v_subb_co_u32_e32 v7, vcc, v8, v10, vcc
	global_store_dwordx2 v[3:4], v[6:7], off
.LBB48_1880:
	s_andn2_b64 vcc, exec, s[0:1]
	s_cbranch_vccnz .LBB48_1882
; %bb.1881:
	v_cvt_i32_f32_e32 v6, v5
	global_store_dword v[3:4], v6, off
.LBB48_1882:
	s_mov_b64 s[0:1], 0
.LBB48_1883:
	s_andn2_b64 vcc, exec, s[0:1]
	s_cbranch_vccnz .LBB48_1885
; %bb.1884:
	v_cvt_i32_f32_e32 v6, v5
	global_store_short v[3:4], v6, off
.LBB48_1885:
	s_mov_b64 s[0:1], 0
.LBB48_1886:
	s_andn2_b64 vcc, exec, s[0:1]
	s_cbranch_vccnz .LBB48_1891
; %bb.1887:
	s_cmp_gt_i32 s4, 0
	s_mov_b64 s[0:1], -1
	s_cbranch_scc0 .LBB48_1889
; %bb.1888:
	v_cvt_i32_f32_e32 v6, v5
	s_mov_b64 s[0:1], 0
	global_store_byte v[3:4], v6, off
.LBB48_1889:
	s_andn2_b64 vcc, exec, s[0:1]
	s_cbranch_vccnz .LBB48_1891
; %bb.1890:
	v_trunc_f32_e32 v5, v5
	s_mov_b32 s0, 0x2f800000
	v_mul_f32_e64 v6, |v5|, s0
	v_floor_f32_e32 v6, v6
	s_mov_b32 s0, 0xcf800000
	v_fma_f32 v6, v6, s0, |v5|
	v_cvt_u32_f32_e32 v6, v6
	v_ashrrev_i32_e32 v5, 31, v5
	v_xor_b32_e32 v6, v6, v5
	v_sub_u32_e32 v5, v6, v5
	global_store_byte v[3:4], v5, off
.LBB48_1891:
	s_mov_b64 s[6:7], -1
.LBB48_1892:
	s_andn2_b64 vcc, exec, s[6:7]
	s_cbranch_vccnz .LBB48_2088
; %bb.1893:
	v_fma_f32 v3, |v1|, -0.5, 0.5
	v_mul_f32_e32 v4, v1, v1
	v_cmp_ge_f32_e64 vcc, |v1|, 0.5
	v_cndmask_b32_e32 v3, v4, v3, vcc
	v_mov_b32_e32 v4, 0x3c5fc5da
	v_fmac_f32_e32 v4, 0x3d1c21a7, v3
	v_mov_b32_e32 v5, 0x3d034c3c
	v_fmac_f32_e32 v5, v3, v4
	;; [unrolled: 2-line block ×4, first 2 shown]
	v_sqrt_f32_e32 v4, v3
	v_mov_b32_e32 v6, 0x3e2aaaac
	v_fmac_f32_e32 v6, v3, v5
	v_mul_f32_e32 v3, v3, v6
	v_fmac_f32_e32 v4, v4, v3
	v_add_f32_e32 v4, v4, v4
	v_sub_f32_e32 v4, 0x3fc90fdb, v4
	v_fma_f32 v3, |v1|, v3, |v1|
	v_cmp_lt_f32_e64 vcc, |v1|, 0.5
	v_cndmask_b32_e32 v4, v4, v3, vcc
	s_brev_b32 s0, -2
	v_bfi_b32 v3, s0, v4, v1
	v_mov_b32_e32 v5, s9
	v_add_co_u32_e32 v1, vcc, s8, v2
	s_cmp_lt_i32 s14, 11
	v_addc_co_u32_e32 v2, vcc, 0, v5, vcc
	s_cbranch_scc1 .LBB48_1971
; %bb.1894:
	s_and_b32 s15, 0xffff, s14
	s_mov_b64 s[10:11], -1
	s_mov_b64 s[4:5], 0
	s_cmp_gt_i32 s15, 25
	s_mov_b64 s[6:7], 0
	s_mov_b64 s[0:1], 0
	s_cbranch_scc0 .LBB48_1927
; %bb.1895:
	s_cmp_gt_i32 s15, 28
	s_cbranch_scc0 .LBB48_1910
; %bb.1896:
	s_cmp_gt_i32 s15, 43
	;; [unrolled: 3-line block ×3, first 2 shown]
	s_cbranch_scc0 .LBB48_1900
; %bb.1898:
	s_mov_b64 s[0:1], -1
	s_mov_b64 s[10:11], 0
	s_cmp_eq_u32 s15, 46
	s_cbranch_scc0 .LBB48_1900
; %bb.1899:
	v_bfe_u32 v5, v3, 16, 1
	s_movk_i32 s0, 0x7fff
	v_add3_u32 v5, v3, v5, s0
	v_cmp_o_f32_e32 vcc, v3, v3
	v_mov_b32_e32 v6, 0x7fc0
	v_cndmask_b32_sdwa v5, v6, v5, vcc dst_sel:DWORD dst_unused:UNUSED_PAD src0_sel:DWORD src1_sel:WORD_1
	global_store_dword v[1:2], v5, off
	s_mov_b64 s[0:1], 0
	s_mov_b64 s[6:7], -1
.LBB48_1900:
	s_and_b64 vcc, exec, s[10:11]
	s_cbranch_vccz .LBB48_1905
; %bb.1901:
	s_cmp_eq_u32 s15, 44
	s_mov_b64 s[0:1], -1
	s_cbranch_scc0 .LBB48_1905
; %bb.1902:
	v_bfe_u32 v5, v3, 23, 8
	s_movk_i32 s0, 0xff
	v_cmp_ne_u32_e32 vcc, s0, v5
	v_mov_b32_e32 v6, 0xff
	s_and_saveexec_b64 s[6:7], vcc
; %bb.1903:
	s_mov_b32 s0, 0x3fffff
	v_and_b32_e32 v7, 0x400000, v3
	v_and_or_b32 v5, v3, s0, v5
	v_cmp_ne_u32_e32 vcc, 0, v7
	v_cmp_ne_u32_e64 s[0:1], 0, v5
	s_and_b64 s[0:1], vcc, s[0:1]
	v_lshrrev_b32_e32 v6, 23, v3
	v_cndmask_b32_e64 v5, 0, 1, s[0:1]
	v_add_u32_e32 v6, v6, v5
; %bb.1904:
	s_or_b64 exec, exec, s[6:7]
	s_mov_b64 s[0:1], 0
	s_mov_b64 s[6:7], -1
	global_store_byte v[1:2], v6, off
.LBB48_1905:
	s_mov_b64 s[10:11], 0
.LBB48_1906:
	s_and_b64 vcc, exec, s[10:11]
	s_cbranch_vccz .LBB48_1909
; %bb.1907:
	s_cmp_eq_u32 s15, 29
	s_mov_b64 s[0:1], -1
	s_cbranch_scc0 .LBB48_1909
; %bb.1908:
	v_trunc_f32_e32 v5, v3
	v_mul_f32_e32 v6, 0x2f800000, v5
	v_floor_f32_e32 v7, v6
	v_fmac_f32_e32 v5, 0xcf800000, v7
	v_cvt_u32_f32_e32 v6, v7
	v_cvt_u32_f32_e32 v5, v5
	s_mov_b64 s[0:1], 0
	s_mov_b64 s[6:7], -1
	global_store_dwordx2 v[1:2], v[5:6], off
.LBB48_1909:
	s_mov_b64 s[10:11], 0
.LBB48_1910:
	s_and_b64 vcc, exec, s[10:11]
	s_cbranch_vccz .LBB48_1926
; %bb.1911:
	s_cmp_lt_i32 s15, 27
	s_mov_b64 s[6:7], -1
	s_cbranch_scc1 .LBB48_1917
; %bb.1912:
	v_cvt_u32_f32_e32 v5, v3
	s_cmp_gt_i32 s15, 27
	s_cbranch_scc0 .LBB48_1914
; %bb.1913:
	s_mov_b64 s[6:7], 0
	global_store_dword v[1:2], v5, off
.LBB48_1914:
	s_andn2_b64 vcc, exec, s[6:7]
	s_cbranch_vccnz .LBB48_1916
; %bb.1915:
	global_store_short v[1:2], v5, off
.LBB48_1916:
	s_mov_b64 s[6:7], 0
.LBB48_1917:
	s_andn2_b64 vcc, exec, s[6:7]
	s_cbranch_vccnz .LBB48_1925
; %bb.1918:
	v_and_b32_e32 v5, 0x7fffffff, v4
	s_mov_b32 s6, 0x43800000
	v_cmp_gt_u32_e32 vcc, s6, v5
	v_mov_b32_e32 v6, 0x80
	s_and_saveexec_b64 s[6:7], vcc
	s_cbranch_execz .LBB48_1924
; %bb.1919:
	s_mov_b32 s10, 0x3bffffff
	v_cmp_lt_u32_e32 vcc, s10, v5
	s_mov_b64 s[10:11], 0
                                        ; implicit-def: $vgpr5
	s_and_saveexec_b64 s[12:13], vcc
	s_xor_b64 s[12:13], exec, s[12:13]
	s_cbranch_execz .LBB48_2145
; %bb.1920:
	v_bfe_u32 v5, v3, 20, 1
	s_mov_b32 s16, 0x487ffff
	v_add3_u32 v5, v3, v5, s16
	s_mov_b64 s[10:11], exec
	v_lshrrev_b32_e32 v5, 20, v5
	s_andn2_saveexec_b64 s[12:13], s[12:13]
	s_cbranch_execnz .LBB48_2146
.LBB48_1921:
	s_or_b64 exec, exec, s[12:13]
	v_mov_b32_e32 v6, 0
	s_and_saveexec_b64 s[12:13], s[10:11]
.LBB48_1922:
	v_lshrrev_b32_e32 v6, 24, v3
	s_movk_i32 s10, 0x80
	v_and_or_b32 v6, v6, s10, v5
.LBB48_1923:
	s_or_b64 exec, exec, s[12:13]
.LBB48_1924:
	s_or_b64 exec, exec, s[6:7]
	global_store_byte v[1:2], v6, off
.LBB48_1925:
	s_mov_b64 s[6:7], -1
.LBB48_1926:
	s_mov_b64 s[10:11], 0
.LBB48_1927:
	s_and_b64 vcc, exec, s[10:11]
	s_cbranch_vccz .LBB48_1967
; %bb.1928:
	s_cmp_gt_i32 s15, 22
	s_mov_b64 s[4:5], -1
	s_cbranch_scc0 .LBB48_1960
; %bb.1929:
	s_cmp_lt_i32 s15, 24
	s_cbranch_scc1 .LBB48_1949
; %bb.1930:
	s_cmp_gt_i32 s15, 24
	s_cbranch_scc0 .LBB48_1938
; %bb.1931:
	v_and_b32_e32 v5, 0x7fffffff, v4
	s_mov_b32 s4, 0x47800000
	v_cmp_gt_u32_e32 vcc, s4, v5
	v_mov_b32_e32 v6, 0x80
	s_and_saveexec_b64 s[4:5], vcc
	s_cbranch_execz .LBB48_1937
; %bb.1932:
	s_mov_b32 s6, 0x37ffffff
	v_cmp_lt_u32_e32 vcc, s6, v5
	s_mov_b64 s[6:7], 0
                                        ; implicit-def: $vgpr5
	s_and_saveexec_b64 s[10:11], vcc
	s_xor_b64 s[10:11], exec, s[10:11]
	s_cbranch_execz .LBB48_2148
; %bb.1933:
	v_bfe_u32 v5, v3, 21, 1
	s_mov_b32 s12, 0x88fffff
	v_add3_u32 v5, v3, v5, s12
	s_mov_b64 s[6:7], exec
	v_lshrrev_b32_e32 v5, 21, v5
	s_andn2_saveexec_b64 s[10:11], s[10:11]
	s_cbranch_execnz .LBB48_2149
.LBB48_1934:
	s_or_b64 exec, exec, s[10:11]
	v_mov_b32_e32 v6, 0
	s_and_saveexec_b64 s[10:11], s[6:7]
.LBB48_1935:
	v_lshrrev_b32_e32 v6, 24, v3
	s_movk_i32 s6, 0x80
	v_and_or_b32 v6, v6, s6, v5
.LBB48_1936:
	s_or_b64 exec, exec, s[10:11]
.LBB48_1937:
	s_or_b64 exec, exec, s[4:5]
	s_mov_b64 s[4:5], 0
	global_store_byte v[1:2], v6, off
.LBB48_1938:
	s_and_b64 vcc, exec, s[4:5]
	s_cbranch_vccz .LBB48_1948
; %bb.1939:
	v_and_b32_e32 v6, 0x7fffffff, v4
	s_mov_b32 s4, 0x43f00000
	v_cmp_gt_u32_e32 vcc, s4, v6
                                        ; implicit-def: $vgpr5
	s_and_saveexec_b64 s[4:5], vcc
	s_xor_b64 s[4:5], exec, s[4:5]
	s_cbranch_execz .LBB48_1945
; %bb.1940:
	s_mov_b32 s6, 0x3c7fffff
	v_cmp_lt_u32_e32 vcc, s6, v6
                                        ; implicit-def: $vgpr5
	s_and_saveexec_b64 s[6:7], vcc
	s_xor_b64 s[6:7], exec, s[6:7]
; %bb.1941:
	v_bfe_u32 v5, v3, 20, 1
	s_mov_b32 s10, 0x407ffff
	v_add3_u32 v5, v3, v5, s10
	v_lshrrev_b32_e32 v6, 20, v5
	v_and_b32_e32 v5, 0xff00000, v5
	s_mov_b32 s10, 0x7f00000
	v_mov_b32_e32 v7, 0x7e
	v_cmp_ne_u32_e32 vcc, s10, v5
	v_cndmask_b32_e32 v5, v7, v6, vcc
; %bb.1942:
	s_andn2_saveexec_b64 s[6:7], s[6:7]
; %bb.1943:
	s_mov_b32 s10, 0x46800000
	v_add_f32_e64 v5, |v4|, s10
; %bb.1944:
	s_or_b64 exec, exec, s[6:7]
                                        ; implicit-def: $vgpr6
.LBB48_1945:
	s_andn2_saveexec_b64 s[4:5], s[4:5]
; %bb.1946:
	s_mov_b32 s6, 0x7f800000
	v_mov_b32_e32 v5, 0x7e
	v_mov_b32_e32 v7, 0x7f
	v_cmp_lt_u32_e32 vcc, s6, v6
	v_cndmask_b32_e32 v5, v5, v7, vcc
; %bb.1947:
	s_or_b64 exec, exec, s[4:5]
	v_lshrrev_b32_e32 v6, 24, v3
	s_movk_i32 s4, 0x80
	v_and_or_b32 v5, v6, s4, v5
	global_store_byte v[1:2], v5, off
.LBB48_1948:
	s_mov_b64 s[4:5], 0
.LBB48_1949:
	s_andn2_b64 vcc, exec, s[4:5]
	s_cbranch_vccnz .LBB48_1959
; %bb.1950:
	v_and_b32_e32 v6, 0x7fffffff, v4
	s_mov_b32 s4, 0x47800000
	v_cmp_gt_u32_e32 vcc, s4, v6
                                        ; implicit-def: $vgpr5
	s_and_saveexec_b64 s[4:5], vcc
	s_xor_b64 s[4:5], exec, s[4:5]
	s_cbranch_execz .LBB48_1956
; %bb.1951:
	s_mov_b32 s6, 0x387fffff
	v_cmp_lt_u32_e32 vcc, s6, v6
                                        ; implicit-def: $vgpr5
	s_and_saveexec_b64 s[6:7], vcc
	s_xor_b64 s[6:7], exec, s[6:7]
; %bb.1952:
	v_bfe_u32 v4, v3, 21, 1
	s_mov_b32 s10, 0x80fffff
	v_add3_u32 v4, v3, v4, s10
	v_lshrrev_b32_e32 v5, 21, v4
                                        ; implicit-def: $vgpr4
; %bb.1953:
	s_andn2_saveexec_b64 s[6:7], s[6:7]
; %bb.1954:
	s_mov_b32 s10, 0x43000000
	v_add_f32_e64 v5, |v4|, s10
; %bb.1955:
	s_or_b64 exec, exec, s[6:7]
                                        ; implicit-def: $vgpr6
.LBB48_1956:
	s_andn2_saveexec_b64 s[4:5], s[4:5]
; %bb.1957:
	s_mov_b32 s6, 0x7f800000
	v_mov_b32_e32 v4, 0x7c
	v_mov_b32_e32 v5, 0x7f
	v_cmp_lt_u32_e32 vcc, s6, v6
	v_cndmask_b32_e32 v5, v4, v5, vcc
; %bb.1958:
	s_or_b64 exec, exec, s[4:5]
	v_lshrrev_b32_e32 v4, 24, v3
	s_movk_i32 s4, 0x80
	v_and_or_b32 v4, v4, s4, v5
	global_store_byte v[1:2], v4, off
.LBB48_1959:
	s_mov_b64 s[4:5], 0
	s_mov_b64 s[6:7], -1
.LBB48_1960:
	s_andn2_b64 vcc, exec, s[4:5]
	s_mov_b64 s[4:5], 0
	s_cbranch_vccnz .LBB48_1967
; %bb.1961:
	s_cmp_gt_i32 s15, 14
	s_mov_b64 s[10:11], -1
	s_cbranch_scc0 .LBB48_1965
; %bb.1962:
	s_cmp_eq_u32 s15, 15
	s_mov_b64 s[0:1], -1
	s_cbranch_scc0 .LBB48_1964
; %bb.1963:
	v_bfe_u32 v4, v3, 16, 1
	s_movk_i32 s0, 0x7fff
	v_add3_u32 v4, v3, v4, s0
	v_cmp_o_f32_e32 vcc, v3, v3
	v_mov_b32_e32 v5, 0x7fc0
	v_cndmask_b32_sdwa v4, v5, v4, vcc dst_sel:DWORD dst_unused:UNUSED_PAD src0_sel:DWORD src1_sel:WORD_1
	global_store_short v[1:2], v4, off
	s_mov_b64 s[0:1], 0
	s_mov_b64 s[6:7], -1
.LBB48_1964:
	s_mov_b64 s[10:11], 0
.LBB48_1965:
	s_and_b64 vcc, exec, s[10:11]
	s_cbranch_vccz .LBB48_1967
; %bb.1966:
	s_cmp_lg_u32 s15, 11
	s_mov_b64 s[4:5], -1
	s_cselect_b64 s[0:1], -1, 0
.LBB48_1967:
	s_and_b64 vcc, exec, s[0:1]
	s_cbranch_vccnz .LBB48_2147
; %bb.1968:
	s_andn2_b64 vcc, exec, s[4:5]
	s_cbranch_vccnz .LBB48_1970
.LBB48_1969:
	v_cmp_neq_f32_e32 vcc, 0, v3
	v_cndmask_b32_e64 v4, 0, 1, vcc
	s_mov_b64 s[6:7], -1
	global_store_byte v[1:2], v4, off
.LBB48_1970:
	s_mov_b64 s[0:1], 0
	s_branch .LBB48_1972
.LBB48_1971:
	s_mov_b64 s[0:1], -1
	s_mov_b64 s[6:7], 0
.LBB48_1972:
	s_and_b64 vcc, exec, s[0:1]
	s_cbranch_vccz .LBB48_2011
; %bb.1973:
	s_and_b32 s4, 0xffff, s14
	s_cmp_lt_i32 s4, 5
	s_mov_b64 s[0:1], -1
	s_cbranch_scc1 .LBB48_1994
; %bb.1974:
	s_cmp_lt_i32 s4, 8
	s_cbranch_scc1 .LBB48_1984
; %bb.1975:
	s_cmp_lt_i32 s4, 9
	s_cbranch_scc1 .LBB48_1981
; %bb.1976:
	s_cmp_gt_i32 s4, 9
	s_cbranch_scc0 .LBB48_1978
; %bb.1977:
	v_cvt_f64_f32_e32 v[4:5], v3
	v_mov_b32_e32 v6, 0
	v_mov_b32_e32 v7, v6
	s_mov_b64 s[0:1], 0
	global_store_dwordx4 v[1:2], v[4:7], off
.LBB48_1978:
	s_andn2_b64 vcc, exec, s[0:1]
	s_cbranch_vccnz .LBB48_1980
; %bb.1979:
	v_mov_b32_e32 v4, 0
	global_store_dwordx2 v[1:2], v[3:4], off
.LBB48_1980:
	s_mov_b64 s[0:1], 0
.LBB48_1981:
	s_andn2_b64 vcc, exec, s[0:1]
	s_cbranch_vccnz .LBB48_1983
; %bb.1982:
	v_cvt_f16_f32_e32 v4, v3
	global_store_dword v[1:2], v4, off
.LBB48_1983:
	s_mov_b64 s[0:1], 0
.LBB48_1984:
	s_andn2_b64 vcc, exec, s[0:1]
	s_cbranch_vccnz .LBB48_1993
; %bb.1985:
	s_cmp_lt_i32 s4, 6
	s_mov_b64 s[0:1], -1
	s_cbranch_scc1 .LBB48_1991
; %bb.1986:
	s_cmp_gt_i32 s4, 6
	s_cbranch_scc0 .LBB48_1988
; %bb.1987:
	v_cvt_f64_f32_e32 v[4:5], v3
	s_mov_b64 s[0:1], 0
	global_store_dwordx2 v[1:2], v[4:5], off
.LBB48_1988:
	s_andn2_b64 vcc, exec, s[0:1]
	s_cbranch_vccnz .LBB48_1990
; %bb.1989:
	global_store_dword v[1:2], v3, off
.LBB48_1990:
	s_mov_b64 s[0:1], 0
.LBB48_1991:
	s_andn2_b64 vcc, exec, s[0:1]
	s_cbranch_vccnz .LBB48_1993
; %bb.1992:
	v_cvt_f16_f32_e32 v4, v3
	global_store_short v[1:2], v4, off
.LBB48_1993:
	s_mov_b64 s[0:1], 0
.LBB48_1994:
	s_andn2_b64 vcc, exec, s[0:1]
	s_cbranch_vccnz .LBB48_2010
; %bb.1995:
	s_cmp_lt_i32 s4, 2
	s_mov_b64 s[0:1], -1
	s_cbranch_scc1 .LBB48_2005
; %bb.1996:
	s_cmp_lt_i32 s4, 3
	s_cbranch_scc1 .LBB48_2002
; %bb.1997:
	s_cmp_gt_i32 s4, 3
	s_cbranch_scc0 .LBB48_1999
; %bb.1998:
	v_trunc_f32_e32 v4, v3
	s_mov_b32 s0, 0x2f800000
	v_mul_f32_e64 v5, |v4|, s0
	v_floor_f32_e32 v5, v5
	s_mov_b32 s0, 0xcf800000
	v_cvt_u32_f32_e32 v6, v5
	v_fma_f32 v5, v5, s0, |v4|
	v_cvt_u32_f32_e32 v5, v5
	v_ashrrev_i32_e32 v7, 31, v4
	v_xor_b32_e32 v6, v6, v7
	s_mov_b64 s[0:1], 0
	v_xor_b32_e32 v4, v5, v7
	v_sub_co_u32_e32 v4, vcc, v4, v7
	v_subb_co_u32_e32 v5, vcc, v6, v7, vcc
	global_store_dwordx2 v[1:2], v[4:5], off
.LBB48_1999:
	s_andn2_b64 vcc, exec, s[0:1]
	s_cbranch_vccnz .LBB48_2001
; %bb.2000:
	v_cvt_i32_f32_e32 v4, v3
	global_store_dword v[1:2], v4, off
.LBB48_2001:
	s_mov_b64 s[0:1], 0
.LBB48_2002:
	s_andn2_b64 vcc, exec, s[0:1]
	s_cbranch_vccnz .LBB48_2004
; %bb.2003:
	v_cvt_i32_f32_e32 v4, v3
	global_store_short v[1:2], v4, off
.LBB48_2004:
	s_mov_b64 s[0:1], 0
.LBB48_2005:
	s_andn2_b64 vcc, exec, s[0:1]
	s_cbranch_vccnz .LBB48_2010
; %bb.2006:
	s_cmp_gt_i32 s4, 0
	s_mov_b64 s[0:1], -1
	s_cbranch_scc0 .LBB48_2008
; %bb.2007:
	v_cvt_i32_f32_e32 v4, v3
	s_mov_b64 s[0:1], 0
	global_store_byte v[1:2], v4, off
.LBB48_2008:
	s_andn2_b64 vcc, exec, s[0:1]
	s_cbranch_vccnz .LBB48_2010
; %bb.2009:
	v_trunc_f32_e32 v3, v3
	s_mov_b32 s0, 0x2f800000
	v_mul_f32_e64 v4, |v3|, s0
	v_floor_f32_e32 v4, v4
	s_mov_b32 s0, 0xcf800000
	v_fma_f32 v4, v4, s0, |v3|
	v_cvt_u32_f32_e32 v4, v4
	v_ashrrev_i32_e32 v3, 31, v3
	v_xor_b32_e32 v4, v4, v3
	v_sub_u32_e32 v3, v4, v3
	global_store_byte v[1:2], v3, off
.LBB48_2010:
	s_mov_b64 s[6:7], -1
.LBB48_2011:
	s_andn2_b64 vcc, exec, s[6:7]
	s_cbranch_vccnz .LBB48_2088
; %bb.2012:
	v_fma_f32 v1, |v9|, -0.5, 0.5
	v_mul_f32_e32 v2, v9, v9
	v_cmp_ge_f32_e64 vcc, |v9|, 0.5
	v_cndmask_b32_e32 v1, v2, v1, vcc
	v_mov_b32_e32 v2, 0x3c5fc5da
	v_fmac_f32_e32 v2, 0x3d1c21a7, v1
	v_mov_b32_e32 v3, 0x3d034c3c
	v_fmac_f32_e32 v3, v1, v2
	;; [unrolled: 2-line block ×4, first 2 shown]
	v_sqrt_f32_e32 v2, v1
	v_mov_b32_e32 v4, 0x3e2aaaac
	v_fmac_f32_e32 v4, v1, v3
	v_mul_f32_e32 v1, v1, v4
	v_fmac_f32_e32 v2, v2, v1
	v_add_f32_e32 v2, v2, v2
	v_sub_f32_e32 v2, 0x3fc90fdb, v2
	v_fma_f32 v1, |v9|, v1, |v9|
	v_cmp_lt_f32_e64 vcc, |v9|, 0.5
	v_cndmask_b32_e32 v3, v2, v1, vcc
	s_brev_b32 s0, -2
	v_mov_b32_e32 v1, s9
	v_add_co_u32_e32 v0, vcc, s8, v0
	v_bfi_b32 v2, s0, v3, v9
	s_cmp_lt_i32 s14, 11
	v_addc_co_u32_e32 v1, vcc, 0, v1, vcc
	s_cbranch_scc1 .LBB48_2133
; %bb.2013:
	s_and_b32 s12, 0xffff, s14
	s_mov_b64 s[6:7], -1
	s_mov_b64 s[4:5], 0
	s_cmp_gt_i32 s12, 25
	s_mov_b64 s[0:1], 0
	s_cbranch_scc0 .LBB48_2046
; %bb.2014:
	s_cmp_gt_i32 s12, 28
	s_cbranch_scc0 .LBB48_2030
; %bb.2015:
	s_cmp_gt_i32 s12, 43
	;; [unrolled: 3-line block ×3, first 2 shown]
	s_cbranch_scc0 .LBB48_2020
; %bb.2017:
	s_cmp_eq_u32 s12, 46
	s_mov_b64 s[0:1], -1
	s_cbranch_scc0 .LBB48_2019
; %bb.2018:
	v_bfe_u32 v4, v2, 16, 1
	s_movk_i32 s0, 0x7fff
	v_add3_u32 v4, v2, v4, s0
	v_cmp_o_f32_e32 vcc, v2, v2
	v_mov_b32_e32 v5, 0x7fc0
	v_cndmask_b32_sdwa v4, v5, v4, vcc dst_sel:DWORD dst_unused:UNUSED_PAD src0_sel:DWORD src1_sel:WORD_1
	global_store_dword v[0:1], v4, off
	s_mov_b64 s[0:1], 0
.LBB48_2019:
	s_mov_b64 s[6:7], 0
.LBB48_2020:
	s_and_b64 vcc, exec, s[6:7]
	s_cbranch_vccz .LBB48_2025
; %bb.2021:
	s_cmp_eq_u32 s12, 44
	s_mov_b64 s[0:1], -1
	s_cbranch_scc0 .LBB48_2025
; %bb.2022:
	v_bfe_u32 v4, v2, 23, 8
	s_movk_i32 s0, 0xff
	v_cmp_ne_u32_e32 vcc, s0, v4
	v_mov_b32_e32 v5, 0xff
	s_and_saveexec_b64 s[6:7], vcc
; %bb.2023:
	s_mov_b32 s0, 0x3fffff
	v_and_b32_e32 v6, 0x400000, v2
	v_and_or_b32 v4, v2, s0, v4
	v_cmp_ne_u32_e32 vcc, 0, v6
	v_cmp_ne_u32_e64 s[0:1], 0, v4
	s_and_b64 s[0:1], vcc, s[0:1]
	v_lshrrev_b32_e32 v5, 23, v2
	v_cndmask_b32_e64 v4, 0, 1, s[0:1]
	v_add_u32_e32 v5, v5, v4
; %bb.2024:
	s_or_b64 exec, exec, s[6:7]
	s_mov_b64 s[0:1], 0
	global_store_byte v[0:1], v5, off
.LBB48_2025:
	s_mov_b64 s[6:7], 0
.LBB48_2026:
	s_and_b64 vcc, exec, s[6:7]
	s_cbranch_vccz .LBB48_2029
; %bb.2027:
	s_cmp_eq_u32 s12, 29
	s_mov_b64 s[0:1], -1
	s_cbranch_scc0 .LBB48_2029
; %bb.2028:
	v_trunc_f32_e32 v4, v2
	v_mul_f32_e32 v5, 0x2f800000, v4
	v_floor_f32_e32 v6, v5
	v_fmac_f32_e32 v4, 0xcf800000, v6
	v_cvt_u32_f32_e32 v5, v6
	v_cvt_u32_f32_e32 v4, v4
	s_mov_b64 s[0:1], 0
	global_store_dwordx2 v[0:1], v[4:5], off
.LBB48_2029:
	s_mov_b64 s[6:7], 0
.LBB48_2030:
	s_and_b64 vcc, exec, s[6:7]
	s_cbranch_vccz .LBB48_2045
; %bb.2031:
	s_cmp_lt_i32 s12, 27
	s_mov_b64 s[6:7], -1
	s_cbranch_scc1 .LBB48_2037
; %bb.2032:
	s_cmp_gt_i32 s12, 27
	s_cbranch_scc0 .LBB48_2034
; %bb.2033:
	v_cvt_u32_f32_e32 v4, v2
	s_mov_b64 s[6:7], 0
	global_store_dword v[0:1], v4, off
.LBB48_2034:
	s_andn2_b64 vcc, exec, s[6:7]
	s_cbranch_vccnz .LBB48_2036
; %bb.2035:
	v_cvt_u32_f32_e32 v4, v2
	global_store_short v[0:1], v4, off
.LBB48_2036:
	s_mov_b64 s[6:7], 0
.LBB48_2037:
	s_andn2_b64 vcc, exec, s[6:7]
	s_cbranch_vccnz .LBB48_2045
; %bb.2038:
	v_and_b32_e32 v4, 0x7fffffff, v3
	s_mov_b32 s6, 0x43800000
	v_cmp_gt_u32_e32 vcc, s6, v4
	v_mov_b32_e32 v5, 0x80
	s_and_saveexec_b64 s[6:7], vcc
	s_cbranch_execz .LBB48_2044
; %bb.2039:
	s_mov_b32 s8, 0x3bffffff
	v_cmp_lt_u32_e32 vcc, s8, v4
	s_mov_b64 s[8:9], 0
                                        ; implicit-def: $vgpr4
	s_and_saveexec_b64 s[10:11], vcc
	s_xor_b64 s[10:11], exec, s[10:11]
	s_cbranch_execz .LBB48_2150
; %bb.2040:
	v_bfe_u32 v4, v2, 20, 1
	s_mov_b32 s13, 0x487ffff
	v_add3_u32 v4, v2, v4, s13
	s_mov_b64 s[8:9], exec
	v_lshrrev_b32_e32 v4, 20, v4
	s_andn2_saveexec_b64 s[10:11], s[10:11]
	s_cbranch_execnz .LBB48_2151
.LBB48_2041:
	s_or_b64 exec, exec, s[10:11]
	v_mov_b32_e32 v5, 0
	s_and_saveexec_b64 s[10:11], s[8:9]
.LBB48_2042:
	v_lshrrev_b32_e32 v5, 24, v2
	s_movk_i32 s8, 0x80
	v_and_or_b32 v5, v5, s8, v4
.LBB48_2043:
	s_or_b64 exec, exec, s[10:11]
.LBB48_2044:
	s_or_b64 exec, exec, s[6:7]
	global_store_byte v[0:1], v5, off
.LBB48_2045:
	s_mov_b64 s[6:7], 0
.LBB48_2046:
	s_and_b64 vcc, exec, s[6:7]
	s_cbranch_vccz .LBB48_2086
; %bb.2047:
	s_cmp_gt_i32 s12, 22
	s_mov_b64 s[4:5], -1
	s_cbranch_scc0 .LBB48_2079
; %bb.2048:
	s_cmp_lt_i32 s12, 24
	s_cbranch_scc1 .LBB48_2068
; %bb.2049:
	s_cmp_gt_i32 s12, 24
	s_cbranch_scc0 .LBB48_2057
; %bb.2050:
	v_and_b32_e32 v4, 0x7fffffff, v3
	s_mov_b32 s4, 0x47800000
	v_cmp_gt_u32_e32 vcc, s4, v4
	v_mov_b32_e32 v5, 0x80
	s_and_saveexec_b64 s[4:5], vcc
	s_cbranch_execz .LBB48_2056
; %bb.2051:
	s_mov_b32 s6, 0x37ffffff
	v_cmp_lt_u32_e32 vcc, s6, v4
	s_mov_b64 s[6:7], 0
                                        ; implicit-def: $vgpr4
	s_and_saveexec_b64 s[8:9], vcc
	s_xor_b64 s[8:9], exec, s[8:9]
	s_cbranch_execz .LBB48_2153
; %bb.2052:
	v_bfe_u32 v4, v2, 21, 1
	s_mov_b32 s10, 0x88fffff
	v_add3_u32 v4, v2, v4, s10
	s_mov_b64 s[6:7], exec
	v_lshrrev_b32_e32 v4, 21, v4
	s_andn2_saveexec_b64 s[8:9], s[8:9]
	s_cbranch_execnz .LBB48_2154
.LBB48_2053:
	s_or_b64 exec, exec, s[8:9]
	v_mov_b32_e32 v5, 0
	s_and_saveexec_b64 s[8:9], s[6:7]
.LBB48_2054:
	v_lshrrev_b32_e32 v5, 24, v2
	s_movk_i32 s6, 0x80
	v_and_or_b32 v5, v5, s6, v4
.LBB48_2055:
	s_or_b64 exec, exec, s[8:9]
.LBB48_2056:
	s_or_b64 exec, exec, s[4:5]
	s_mov_b64 s[4:5], 0
	global_store_byte v[0:1], v5, off
.LBB48_2057:
	s_and_b64 vcc, exec, s[4:5]
	s_cbranch_vccz .LBB48_2067
; %bb.2058:
	v_and_b32_e32 v5, 0x7fffffff, v3
	s_mov_b32 s4, 0x43f00000
	v_cmp_gt_u32_e32 vcc, s4, v5
                                        ; implicit-def: $vgpr4
	s_and_saveexec_b64 s[4:5], vcc
	s_xor_b64 s[4:5], exec, s[4:5]
	s_cbranch_execz .LBB48_2064
; %bb.2059:
	s_mov_b32 s6, 0x3c7fffff
	v_cmp_lt_u32_e32 vcc, s6, v5
                                        ; implicit-def: $vgpr4
	s_and_saveexec_b64 s[6:7], vcc
	s_xor_b64 s[6:7], exec, s[6:7]
; %bb.2060:
	v_bfe_u32 v4, v2, 20, 1
	s_mov_b32 s8, 0x407ffff
	v_add3_u32 v4, v2, v4, s8
	v_lshrrev_b32_e32 v5, 20, v4
	v_and_b32_e32 v4, 0xff00000, v4
	s_mov_b32 s8, 0x7f00000
	v_mov_b32_e32 v6, 0x7e
	v_cmp_ne_u32_e32 vcc, s8, v4
	v_cndmask_b32_e32 v4, v6, v5, vcc
; %bb.2061:
	s_andn2_saveexec_b64 s[6:7], s[6:7]
; %bb.2062:
	s_mov_b32 s8, 0x46800000
	v_add_f32_e64 v4, |v3|, s8
; %bb.2063:
	s_or_b64 exec, exec, s[6:7]
                                        ; implicit-def: $vgpr5
.LBB48_2064:
	s_andn2_saveexec_b64 s[4:5], s[4:5]
; %bb.2065:
	s_mov_b32 s6, 0x7f800000
	v_mov_b32_e32 v4, 0x7e
	v_mov_b32_e32 v6, 0x7f
	v_cmp_lt_u32_e32 vcc, s6, v5
	v_cndmask_b32_e32 v4, v4, v6, vcc
; %bb.2066:
	s_or_b64 exec, exec, s[4:5]
	v_lshrrev_b32_e32 v5, 24, v2
	s_movk_i32 s4, 0x80
	v_and_or_b32 v4, v5, s4, v4
	global_store_byte v[0:1], v4, off
.LBB48_2067:
	s_mov_b64 s[4:5], 0
.LBB48_2068:
	s_andn2_b64 vcc, exec, s[4:5]
	s_cbranch_vccnz .LBB48_2078
; %bb.2069:
	v_and_b32_e32 v5, 0x7fffffff, v3
	s_mov_b32 s4, 0x47800000
	v_cmp_gt_u32_e32 vcc, s4, v5
                                        ; implicit-def: $vgpr4
	s_and_saveexec_b64 s[4:5], vcc
	s_xor_b64 s[4:5], exec, s[4:5]
	s_cbranch_execz .LBB48_2075
; %bb.2070:
	s_mov_b32 s6, 0x387fffff
	v_cmp_lt_u32_e32 vcc, s6, v5
                                        ; implicit-def: $vgpr4
	s_and_saveexec_b64 s[6:7], vcc
	s_xor_b64 s[6:7], exec, s[6:7]
; %bb.2071:
	v_bfe_u32 v3, v2, 21, 1
	s_mov_b32 s8, 0x80fffff
	v_add3_u32 v3, v2, v3, s8
	v_lshrrev_b32_e32 v4, 21, v3
                                        ; implicit-def: $vgpr3
; %bb.2072:
	s_andn2_saveexec_b64 s[6:7], s[6:7]
; %bb.2073:
	s_mov_b32 s8, 0x43000000
	v_add_f32_e64 v4, |v3|, s8
; %bb.2074:
	s_or_b64 exec, exec, s[6:7]
                                        ; implicit-def: $vgpr5
.LBB48_2075:
	s_andn2_saveexec_b64 s[4:5], s[4:5]
; %bb.2076:
	s_mov_b32 s6, 0x7f800000
	v_mov_b32_e32 v3, 0x7c
	v_mov_b32_e32 v4, 0x7f
	v_cmp_lt_u32_e32 vcc, s6, v5
	v_cndmask_b32_e32 v4, v3, v4, vcc
; %bb.2077:
	s_or_b64 exec, exec, s[4:5]
	v_lshrrev_b32_e32 v3, 24, v2
	s_movk_i32 s4, 0x80
	v_and_or_b32 v3, v3, s4, v4
	global_store_byte v[0:1], v3, off
.LBB48_2078:
	s_mov_b64 s[4:5], 0
.LBB48_2079:
	s_andn2_b64 vcc, exec, s[4:5]
	s_mov_b64 s[4:5], 0
	s_cbranch_vccnz .LBB48_2086
; %bb.2080:
	s_cmp_gt_i32 s12, 14
	s_mov_b64 s[6:7], -1
	s_cbranch_scc0 .LBB48_2084
; %bb.2081:
	s_cmp_eq_u32 s12, 15
	s_mov_b64 s[0:1], -1
	s_cbranch_scc0 .LBB48_2083
; %bb.2082:
	v_bfe_u32 v3, v2, 16, 1
	s_movk_i32 s0, 0x7fff
	v_add3_u32 v3, v2, v3, s0
	v_cmp_o_f32_e32 vcc, v2, v2
	v_mov_b32_e32 v4, 0x7fc0
	v_cndmask_b32_sdwa v3, v4, v3, vcc dst_sel:DWORD dst_unused:UNUSED_PAD src0_sel:DWORD src1_sel:WORD_1
	global_store_short v[0:1], v3, off
	s_mov_b64 s[0:1], 0
.LBB48_2083:
	s_mov_b64 s[6:7], 0
.LBB48_2084:
	s_and_b64 vcc, exec, s[6:7]
	s_cbranch_vccz .LBB48_2086
; %bb.2085:
	s_cmp_lg_u32 s12, 11
	s_mov_b64 s[4:5], -1
	s_cselect_b64 s[0:1], -1, 0
.LBB48_2086:
	s_and_b64 vcc, exec, s[0:1]
	s_cbranch_vccnz .LBB48_2152
.LBB48_2087:
	s_mov_b64 s[0:1], 0
	s_branch .LBB48_2089
.LBB48_2088:
	s_mov_b64 s[0:1], 0
	s_mov_b64 s[4:5], 0
                                        ; implicit-def: $vgpr0_vgpr1
                                        ; implicit-def: $sgpr14
                                        ; implicit-def: $vgpr2
.LBB48_2089:
	s_and_b64 s[6:7], s[4:5], exec
	s_andn2_b64 s[4:5], s[28:29], exec
	s_and_b64 s[2:3], s[2:3], exec
	s_and_b64 s[0:1], s[0:1], exec
	s_or_b64 s[28:29], s[4:5], s[2:3]
.LBB48_2090:
	s_or_b64 exec, exec, s[30:31]
	s_and_saveexec_b64 s[2:3], s[28:29]
	s_cbranch_execz .LBB48_2093
; %bb.2091:
	; divergent unreachable
	s_or_b64 exec, exec, s[2:3]
	s_and_saveexec_b64 s[2:3], s[6:7]
	s_xor_b64 s[2:3], exec, s[2:3]
	s_cbranch_execnz .LBB48_2094
.LBB48_2092:
	s_or_b64 exec, exec, s[2:3]
	s_and_saveexec_b64 s[2:3], s[0:1]
	s_cbranch_execnz .LBB48_2095
	s_branch .LBB48_2132
.LBB48_2093:
	s_or_b64 exec, exec, s[2:3]
	s_and_saveexec_b64 s[2:3], s[6:7]
	s_xor_b64 s[2:3], exec, s[2:3]
	s_cbranch_execz .LBB48_2092
.LBB48_2094:
	v_cmp_neq_f32_e32 vcc, 0, v2
	s_waitcnt vmcnt(0)
	v_cndmask_b32_e64 v3, 0, 1, vcc
	global_store_byte v[0:1], v3, off
	s_or_b64 exec, exec, s[2:3]
	s_and_saveexec_b64 s[2:3], s[0:1]
	s_cbranch_execz .LBB48_2132
.LBB48_2095:
	s_sext_i32_i16 s2, s14
	s_cmp_lt_i32 s2, 5
	s_mov_b64 s[0:1], -1
	s_cbranch_scc1 .LBB48_2116
; %bb.2096:
	s_cmp_lt_i32 s2, 8
	s_cbranch_scc1 .LBB48_2106
; %bb.2097:
	s_cmp_lt_i32 s2, 9
	s_cbranch_scc1 .LBB48_2103
; %bb.2098:
	s_cmp_gt_i32 s2, 9
	s_cbranch_scc0 .LBB48_2100
; %bb.2099:
	s_waitcnt vmcnt(0)
	v_cvt_f64_f32_e32 v[3:4], v2
	v_mov_b32_e32 v5, 0
	v_mov_b32_e32 v6, v5
	s_mov_b64 s[0:1], 0
	global_store_dwordx4 v[0:1], v[3:6], off
.LBB48_2100:
	s_andn2_b64 vcc, exec, s[0:1]
	s_cbranch_vccnz .LBB48_2102
; %bb.2101:
	s_waitcnt vmcnt(0)
	v_mov_b32_e32 v3, 0
	global_store_dwordx2 v[0:1], v[2:3], off
.LBB48_2102:
	s_mov_b64 s[0:1], 0
.LBB48_2103:
	s_andn2_b64 vcc, exec, s[0:1]
	s_cbranch_vccnz .LBB48_2105
; %bb.2104:
	s_waitcnt vmcnt(0)
	v_cvt_f16_f32_e32 v3, v2
	global_store_dword v[0:1], v3, off
.LBB48_2105:
	s_mov_b64 s[0:1], 0
.LBB48_2106:
	s_andn2_b64 vcc, exec, s[0:1]
	s_cbranch_vccnz .LBB48_2115
; %bb.2107:
	s_sext_i32_i16 s2, s14
	s_cmp_lt_i32 s2, 6
	s_mov_b64 s[0:1], -1
	s_cbranch_scc1 .LBB48_2113
; %bb.2108:
	s_cmp_gt_i32 s2, 6
	s_cbranch_scc0 .LBB48_2110
; %bb.2109:
	s_waitcnt vmcnt(0)
	v_cvt_f64_f32_e32 v[3:4], v2
	s_mov_b64 s[0:1], 0
	global_store_dwordx2 v[0:1], v[3:4], off
.LBB48_2110:
	s_andn2_b64 vcc, exec, s[0:1]
	s_cbranch_vccnz .LBB48_2112
; %bb.2111:
	s_waitcnt vmcnt(0)
	global_store_dword v[0:1], v2, off
.LBB48_2112:
	s_mov_b64 s[0:1], 0
.LBB48_2113:
	s_andn2_b64 vcc, exec, s[0:1]
	s_cbranch_vccnz .LBB48_2115
; %bb.2114:
	s_waitcnt vmcnt(0)
	v_cvt_f16_f32_e32 v3, v2
	global_store_short v[0:1], v3, off
.LBB48_2115:
	s_mov_b64 s[0:1], 0
.LBB48_2116:
	s_andn2_b64 vcc, exec, s[0:1]
	s_cbranch_vccnz .LBB48_2132
; %bb.2117:
	s_sext_i32_i16 s2, s14
	s_cmp_lt_i32 s2, 2
	s_mov_b64 s[0:1], -1
	s_cbranch_scc1 .LBB48_2127
; %bb.2118:
	s_cmp_lt_i32 s2, 3
	s_cbranch_scc1 .LBB48_2124
; %bb.2119:
	s_cmp_gt_i32 s2, 3
	s_cbranch_scc0 .LBB48_2121
; %bb.2120:
	s_waitcnt vmcnt(0)
	v_trunc_f32_e32 v3, v2
	s_mov_b32 s0, 0x2f800000
	v_mul_f32_e64 v4, |v3|, s0
	v_floor_f32_e32 v4, v4
	s_mov_b32 s0, 0xcf800000
	v_cvt_u32_f32_e32 v5, v4
	v_fma_f32 v4, v4, s0, |v3|
	v_cvt_u32_f32_e32 v4, v4
	v_ashrrev_i32_e32 v6, 31, v3
	v_xor_b32_e32 v5, v5, v6
	s_mov_b64 s[0:1], 0
	v_xor_b32_e32 v3, v4, v6
	v_sub_co_u32_e32 v3, vcc, v3, v6
	v_subb_co_u32_e32 v4, vcc, v5, v6, vcc
	global_store_dwordx2 v[0:1], v[3:4], off
.LBB48_2121:
	s_andn2_b64 vcc, exec, s[0:1]
	s_cbranch_vccnz .LBB48_2123
; %bb.2122:
	s_waitcnt vmcnt(0)
	v_cvt_i32_f32_e32 v3, v2
	global_store_dword v[0:1], v3, off
.LBB48_2123:
	s_mov_b64 s[0:1], 0
.LBB48_2124:
	s_andn2_b64 vcc, exec, s[0:1]
	s_cbranch_vccnz .LBB48_2126
; %bb.2125:
	s_waitcnt vmcnt(0)
	v_cvt_i32_f32_e32 v3, v2
	global_store_short v[0:1], v3, off
.LBB48_2126:
	s_mov_b64 s[0:1], 0
.LBB48_2127:
	s_andn2_b64 vcc, exec, s[0:1]
	s_cbranch_vccnz .LBB48_2132
; %bb.2128:
	s_sext_i32_i16 s0, s14
	s_cmp_gt_i32 s0, 0
	s_mov_b64 s[0:1], -1
	s_cbranch_scc0 .LBB48_2130
; %bb.2129:
	s_waitcnt vmcnt(0)
	v_cvt_i32_f32_e32 v3, v2
	s_mov_b64 s[0:1], 0
	global_store_byte v[0:1], v3, off
.LBB48_2130:
	s_andn2_b64 vcc, exec, s[0:1]
	s_cbranch_vccnz .LBB48_2132
; %bb.2131:
	v_trunc_f32_e32 v2, v2
	s_mov_b32 s0, 0x2f800000
	s_waitcnt vmcnt(0)
	v_mul_f32_e64 v3, |v2|, s0
	v_floor_f32_e32 v3, v3
	s_mov_b32 s0, 0xcf800000
	v_fma_f32 v3, v3, s0, |v2|
	v_cvt_u32_f32_e32 v3, v3
	v_ashrrev_i32_e32 v2, 31, v2
	v_xor_b32_e32 v3, v3, v2
	v_sub_u32_e32 v2, v3, v2
	global_store_byte v[0:1], v2, off
	s_endpgm
.LBB48_2132:
	s_endpgm
.LBB48_2133:
	s_mov_b64 s[4:5], 0
	s_mov_b64 s[0:1], -1
	s_branch .LBB48_2089
.LBB48_2134:
	s_trap 2
	s_or_b64 s[2:3], s[2:3], exec
	s_cbranch_execz .LBB48_1603
	s_branch .LBB48_1604
.LBB48_2135:
	s_andn2_saveexec_b64 s[12:13], s[12:13]
	s_cbranch_execz .LBB48_1683
.LBB48_2136:
	s_mov_b32 s17, 0x46000000
	v_add_f32_e64 v10, |v8|, s17
	v_and_b32_e32 v10, 0xff, v10
	v_cmp_ne_u32_e32 vcc, 0, v10
	s_andn2_b64 s[10:11], s[10:11], exec
	s_and_b64 s[18:19], vcc, exec
	s_or_b64 s[10:11], s[10:11], s[18:19]
	s_or_b64 exec, exec, s[12:13]
	v_mov_b32_e32 v11, 0
	s_and_saveexec_b64 s[12:13], s[10:11]
	s_cbranch_execnz .LBB48_1684
	s_branch .LBB48_1685
.LBB48_2137:
	s_trap 2
	s_or_b64 s[2:3], s[2:3], exec
	s_cbranch_execz .LBB48_1731
	s_branch .LBB48_1732
.LBB48_2138:
	s_andn2_saveexec_b64 s[10:11], s[10:11]
	s_cbranch_execz .LBB48_1696
.LBB48_2139:
	s_mov_b32 s12, 0x42800000
	v_add_f32_e64 v10, |v8|, s12
	v_and_b32_e32 v10, 0xff, v10
	v_cmp_ne_u32_e32 vcc, 0, v10
	s_andn2_b64 s[6:7], s[6:7], exec
	s_and_b64 s[12:13], vcc, exec
	s_or_b64 s[6:7], s[6:7], s[12:13]
	s_or_b64 exec, exec, s[10:11]
	v_mov_b32_e32 v11, 0
	s_and_saveexec_b64 s[10:11], s[6:7]
	s_cbranch_execnz .LBB48_1697
	s_branch .LBB48_1698
.LBB48_2140:
	s_andn2_saveexec_b64 s[12:13], s[12:13]
	s_cbranch_execz .LBB48_1802
.LBB48_2141:
	s_mov_b32 s16, 0x46000000
	v_add_f32_e64 v7, |v6|, s16
	v_and_b32_e32 v7, 0xff, v7
	v_cmp_ne_u32_e32 vcc, 0, v7
	s_andn2_b64 s[10:11], s[10:11], exec
	s_and_b64 s[16:17], vcc, exec
	s_or_b64 s[10:11], s[10:11], s[16:17]
	s_or_b64 exec, exec, s[12:13]
	v_mov_b32_e32 v8, 0
	s_and_saveexec_b64 s[12:13], s[10:11]
	s_cbranch_execnz .LBB48_1803
	s_branch .LBB48_1804
.LBB48_2142:
	s_trap 2
	s_or_b64 s[2:3], s[2:3], exec
	s_cbranch_execz .LBB48_1850
	s_branch .LBB48_1851
.LBB48_2143:
	s_andn2_saveexec_b64 s[10:11], s[10:11]
	s_cbranch_execz .LBB48_1815
.LBB48_2144:
	s_mov_b32 s12, 0x42800000
	v_add_f32_e64 v7, |v6|, s12
	v_and_b32_e32 v7, 0xff, v7
	v_cmp_ne_u32_e32 vcc, 0, v7
	s_andn2_b64 s[6:7], s[6:7], exec
	s_and_b64 s[12:13], vcc, exec
	s_or_b64 s[6:7], s[6:7], s[12:13]
	s_or_b64 exec, exec, s[10:11]
	v_mov_b32_e32 v8, 0
	s_and_saveexec_b64 s[10:11], s[6:7]
	s_cbranch_execnz .LBB48_1816
	s_branch .LBB48_1817
.LBB48_2145:
	s_andn2_saveexec_b64 s[12:13], s[12:13]
	s_cbranch_execz .LBB48_1921
.LBB48_2146:
	s_mov_b32 s16, 0x46000000
	v_add_f32_e64 v5, |v4|, s16
	v_and_b32_e32 v5, 0xff, v5
	v_cmp_ne_u32_e32 vcc, 0, v5
	s_andn2_b64 s[10:11], s[10:11], exec
	s_and_b64 s[16:17], vcc, exec
	s_or_b64 s[10:11], s[10:11], s[16:17]
	s_or_b64 exec, exec, s[12:13]
	v_mov_b32_e32 v6, 0
	s_and_saveexec_b64 s[12:13], s[10:11]
	s_cbranch_execnz .LBB48_1922
	s_branch .LBB48_1923
.LBB48_2147:
	s_trap 2
	s_or_b64 s[2:3], s[2:3], exec
	s_cbranch_execz .LBB48_1969
	s_branch .LBB48_1970
.LBB48_2148:
	s_andn2_saveexec_b64 s[10:11], s[10:11]
	s_cbranch_execz .LBB48_1934
.LBB48_2149:
	s_mov_b32 s12, 0x42800000
	v_add_f32_e64 v5, |v4|, s12
	v_and_b32_e32 v5, 0xff, v5
	v_cmp_ne_u32_e32 vcc, 0, v5
	s_andn2_b64 s[6:7], s[6:7], exec
	s_and_b64 s[12:13], vcc, exec
	s_or_b64 s[6:7], s[6:7], s[12:13]
	s_or_b64 exec, exec, s[10:11]
	v_mov_b32_e32 v6, 0
	s_and_saveexec_b64 s[10:11], s[6:7]
	s_cbranch_execnz .LBB48_1935
	s_branch .LBB48_1936
.LBB48_2150:
	s_andn2_saveexec_b64 s[10:11], s[10:11]
	s_cbranch_execz .LBB48_2041
.LBB48_2151:
	s_mov_b32 s13, 0x46000000
	v_add_f32_e64 v4, |v3|, s13
	v_and_b32_e32 v4, 0xff, v4
	v_cmp_ne_u32_e32 vcc, 0, v4
	s_andn2_b64 s[8:9], s[8:9], exec
	s_and_b64 s[16:17], vcc, exec
	s_or_b64 s[8:9], s[8:9], s[16:17]
	s_or_b64 exec, exec, s[10:11]
	v_mov_b32_e32 v5, 0
	s_and_saveexec_b64 s[10:11], s[8:9]
	s_cbranch_execnz .LBB48_2042
	s_branch .LBB48_2043
.LBB48_2152:
	s_mov_b64 s[4:5], 0
	s_or_b64 s[2:3], s[2:3], exec
	s_trap 2
	s_branch .LBB48_2087
.LBB48_2153:
	s_andn2_saveexec_b64 s[8:9], s[8:9]
	s_cbranch_execz .LBB48_2053
.LBB48_2154:
	s_mov_b32 s10, 0x42800000
	v_add_f32_e64 v4, |v3|, s10
	v_and_b32_e32 v4, 0xff, v4
	v_cmp_ne_u32_e32 vcc, 0, v4
	s_andn2_b64 s[6:7], s[6:7], exec
	s_and_b64 s[10:11], vcc, exec
	s_or_b64 s[6:7], s[6:7], s[10:11]
	s_or_b64 exec, exec, s[8:9]
	v_mov_b32_e32 v5, 0
	s_and_saveexec_b64 s[8:9], s[6:7]
	s_cbranch_execnz .LBB48_2054
	s_branch .LBB48_2055
	.section	.rodata,"a",@progbits
	.p2align	6, 0x0
	.amdhsa_kernel _ZN2at6native32elementwise_kernel_manual_unrollILi128ELi4EZNS0_15gpu_kernel_implIZZZNS0_16asin_kernel_cudaERNS_18TensorIteratorBaseEENKUlvE0_clEvENKUlvE0_clEvEUlfE_EEvS4_RKT_EUlibE0_EEviT1_
		.amdhsa_group_segment_fixed_size 0
		.amdhsa_private_segment_fixed_size 0
		.amdhsa_kernarg_size 360
		.amdhsa_user_sgpr_count 6
		.amdhsa_user_sgpr_private_segment_buffer 1
		.amdhsa_user_sgpr_dispatch_ptr 0
		.amdhsa_user_sgpr_queue_ptr 0
		.amdhsa_user_sgpr_kernarg_segment_ptr 1
		.amdhsa_user_sgpr_dispatch_id 0
		.amdhsa_user_sgpr_flat_scratch_init 0
		.amdhsa_user_sgpr_private_segment_size 0
		.amdhsa_uses_dynamic_stack 0
		.amdhsa_system_sgpr_private_segment_wavefront_offset 0
		.amdhsa_system_sgpr_workgroup_id_x 1
		.amdhsa_system_sgpr_workgroup_id_y 0
		.amdhsa_system_sgpr_workgroup_id_z 0
		.amdhsa_system_sgpr_workgroup_info 0
		.amdhsa_system_vgpr_workitem_id 0
		.amdhsa_next_free_vgpr 18
		.amdhsa_next_free_sgpr 78
		.amdhsa_reserve_vcc 1
		.amdhsa_reserve_flat_scratch 0
		.amdhsa_float_round_mode_32 0
		.amdhsa_float_round_mode_16_64 0
		.amdhsa_float_denorm_mode_32 3
		.amdhsa_float_denorm_mode_16_64 3
		.amdhsa_dx10_clamp 1
		.amdhsa_ieee_mode 1
		.amdhsa_fp16_overflow 0
		.amdhsa_exception_fp_ieee_invalid_op 0
		.amdhsa_exception_fp_denorm_src 0
		.amdhsa_exception_fp_ieee_div_zero 0
		.amdhsa_exception_fp_ieee_overflow 0
		.amdhsa_exception_fp_ieee_underflow 0
		.amdhsa_exception_fp_ieee_inexact 0
		.amdhsa_exception_int_div_zero 0
	.end_amdhsa_kernel
	.section	.text._ZN2at6native32elementwise_kernel_manual_unrollILi128ELi4EZNS0_15gpu_kernel_implIZZZNS0_16asin_kernel_cudaERNS_18TensorIteratorBaseEENKUlvE0_clEvENKUlvE0_clEvEUlfE_EEvS4_RKT_EUlibE0_EEviT1_,"axG",@progbits,_ZN2at6native32elementwise_kernel_manual_unrollILi128ELi4EZNS0_15gpu_kernel_implIZZZNS0_16asin_kernel_cudaERNS_18TensorIteratorBaseEENKUlvE0_clEvENKUlvE0_clEvEUlfE_EEvS4_RKT_EUlibE0_EEviT1_,comdat
.Lfunc_end48:
	.size	_ZN2at6native32elementwise_kernel_manual_unrollILi128ELi4EZNS0_15gpu_kernel_implIZZZNS0_16asin_kernel_cudaERNS_18TensorIteratorBaseEENKUlvE0_clEvENKUlvE0_clEvEUlfE_EEvS4_RKT_EUlibE0_EEviT1_, .Lfunc_end48-_ZN2at6native32elementwise_kernel_manual_unrollILi128ELi4EZNS0_15gpu_kernel_implIZZZNS0_16asin_kernel_cudaERNS_18TensorIteratorBaseEENKUlvE0_clEvENKUlvE0_clEvEUlfE_EEvS4_RKT_EUlibE0_EEviT1_
                                        ; -- End function
	.set _ZN2at6native32elementwise_kernel_manual_unrollILi128ELi4EZNS0_15gpu_kernel_implIZZZNS0_16asin_kernel_cudaERNS_18TensorIteratorBaseEENKUlvE0_clEvENKUlvE0_clEvEUlfE_EEvS4_RKT_EUlibE0_EEviT1_.num_vgpr, 18
	.set _ZN2at6native32elementwise_kernel_manual_unrollILi128ELi4EZNS0_15gpu_kernel_implIZZZNS0_16asin_kernel_cudaERNS_18TensorIteratorBaseEENKUlvE0_clEvENKUlvE0_clEvEUlfE_EEvS4_RKT_EUlibE0_EEviT1_.num_agpr, 0
	.set _ZN2at6native32elementwise_kernel_manual_unrollILi128ELi4EZNS0_15gpu_kernel_implIZZZNS0_16asin_kernel_cudaERNS_18TensorIteratorBaseEENKUlvE0_clEvENKUlvE0_clEvEUlfE_EEvS4_RKT_EUlibE0_EEviT1_.numbered_sgpr, 78
	.set _ZN2at6native32elementwise_kernel_manual_unrollILi128ELi4EZNS0_15gpu_kernel_implIZZZNS0_16asin_kernel_cudaERNS_18TensorIteratorBaseEENKUlvE0_clEvENKUlvE0_clEvEUlfE_EEvS4_RKT_EUlibE0_EEviT1_.num_named_barrier, 0
	.set _ZN2at6native32elementwise_kernel_manual_unrollILi128ELi4EZNS0_15gpu_kernel_implIZZZNS0_16asin_kernel_cudaERNS_18TensorIteratorBaseEENKUlvE0_clEvENKUlvE0_clEvEUlfE_EEvS4_RKT_EUlibE0_EEviT1_.private_seg_size, 0
	.set _ZN2at6native32elementwise_kernel_manual_unrollILi128ELi4EZNS0_15gpu_kernel_implIZZZNS0_16asin_kernel_cudaERNS_18TensorIteratorBaseEENKUlvE0_clEvENKUlvE0_clEvEUlfE_EEvS4_RKT_EUlibE0_EEviT1_.uses_vcc, 1
	.set _ZN2at6native32elementwise_kernel_manual_unrollILi128ELi4EZNS0_15gpu_kernel_implIZZZNS0_16asin_kernel_cudaERNS_18TensorIteratorBaseEENKUlvE0_clEvENKUlvE0_clEvEUlfE_EEvS4_RKT_EUlibE0_EEviT1_.uses_flat_scratch, 0
	.set _ZN2at6native32elementwise_kernel_manual_unrollILi128ELi4EZNS0_15gpu_kernel_implIZZZNS0_16asin_kernel_cudaERNS_18TensorIteratorBaseEENKUlvE0_clEvENKUlvE0_clEvEUlfE_EEvS4_RKT_EUlibE0_EEviT1_.has_dyn_sized_stack, 0
	.set _ZN2at6native32elementwise_kernel_manual_unrollILi128ELi4EZNS0_15gpu_kernel_implIZZZNS0_16asin_kernel_cudaERNS_18TensorIteratorBaseEENKUlvE0_clEvENKUlvE0_clEvEUlfE_EEvS4_RKT_EUlibE0_EEviT1_.has_recursion, 0
	.set _ZN2at6native32elementwise_kernel_manual_unrollILi128ELi4EZNS0_15gpu_kernel_implIZZZNS0_16asin_kernel_cudaERNS_18TensorIteratorBaseEENKUlvE0_clEvENKUlvE0_clEvEUlfE_EEvS4_RKT_EUlibE0_EEviT1_.has_indirect_call, 0
	.section	.AMDGPU.csdata,"",@progbits
; Kernel info:
; codeLenInByte = 38700
; TotalNumSgprs: 82
; NumVgprs: 18
; ScratchSize: 0
; MemoryBound: 1
; FloatMode: 240
; IeeeMode: 1
; LDSByteSize: 0 bytes/workgroup (compile time only)
; SGPRBlocks: 10
; VGPRBlocks: 4
; NumSGPRsForWavesPerEU: 82
; NumVGPRsForWavesPerEU: 18
; Occupancy: 9
; WaveLimiterHint : 1
; COMPUTE_PGM_RSRC2:SCRATCH_EN: 0
; COMPUTE_PGM_RSRC2:USER_SGPR: 6
; COMPUTE_PGM_RSRC2:TRAP_HANDLER: 0
; COMPUTE_PGM_RSRC2:TGID_X_EN: 1
; COMPUTE_PGM_RSRC2:TGID_Y_EN: 0
; COMPUTE_PGM_RSRC2:TGID_Z_EN: 0
; COMPUTE_PGM_RSRC2:TIDIG_COMP_CNT: 0
	.section	.text._ZN2at6native29vectorized_elementwise_kernelILi16EZZZNS0_16asin_kernel_cudaERNS_18TensorIteratorBaseEENKUlvE0_clEvENKUlvE1_clEvEUlN3c104HalfEE_St5arrayIPcLm2EEEEviT0_T1_,"axG",@progbits,_ZN2at6native29vectorized_elementwise_kernelILi16EZZZNS0_16asin_kernel_cudaERNS_18TensorIteratorBaseEENKUlvE0_clEvENKUlvE1_clEvEUlN3c104HalfEE_St5arrayIPcLm2EEEEviT0_T1_,comdat
	.globl	_ZN2at6native29vectorized_elementwise_kernelILi16EZZZNS0_16asin_kernel_cudaERNS_18TensorIteratorBaseEENKUlvE0_clEvENKUlvE1_clEvEUlN3c104HalfEE_St5arrayIPcLm2EEEEviT0_T1_ ; -- Begin function _ZN2at6native29vectorized_elementwise_kernelILi16EZZZNS0_16asin_kernel_cudaERNS_18TensorIteratorBaseEENKUlvE0_clEvENKUlvE1_clEvEUlN3c104HalfEE_St5arrayIPcLm2EEEEviT0_T1_
	.p2align	8
	.type	_ZN2at6native29vectorized_elementwise_kernelILi16EZZZNS0_16asin_kernel_cudaERNS_18TensorIteratorBaseEENKUlvE0_clEvENKUlvE1_clEvEUlN3c104HalfEE_St5arrayIPcLm2EEEEviT0_T1_,@function
_ZN2at6native29vectorized_elementwise_kernelILi16EZZZNS0_16asin_kernel_cudaERNS_18TensorIteratorBaseEENKUlvE0_clEvENKUlvE1_clEvEUlN3c104HalfEE_St5arrayIPcLm2EEEEviT0_T1_: ; @_ZN2at6native29vectorized_elementwise_kernelILi16EZZZNS0_16asin_kernel_cudaERNS_18TensorIteratorBaseEENKUlvE0_clEvENKUlvE1_clEvEUlN3c104HalfEE_St5arrayIPcLm2EEEEviT0_T1_
; %bb.0:
	s_load_dword s0, s[4:5], 0x0
	s_load_dwordx4 s[8:11], s[4:5], 0x8
	s_lshl_b32 s2, s6, 11
	s_waitcnt lgkmcnt(0)
	s_sub_i32 s6, s0, s2
	s_cmpk_gt_i32 s6, 0x7ff
	s_mov_b64 s[0:1], -1
	s_cbranch_scc0 .LBB49_2
; %bb.1:
	s_ashr_i32 s3, s2, 31
	s_lshl_b64 s[0:1], s[2:3], 1
	s_add_u32 s4, s10, s0
	s_addc_u32 s5, s11, s1
	v_lshlrev_b32_e32 v5, 4, v0
	global_load_dwordx4 v[1:4], v5, s[4:5]
	s_mov_b32 s4, -0.5
	v_mov_b32_e32 v11, 0.5
	v_mov_b32_e32 v14, 0x3c5fc5da
	v_mov_b32_e32 v15, 0x3d034c3c
	;; [unrolled: 1-line block ×5, first 2 shown]
	s_movk_i32 s3, 0x7fff
	s_add_u32 s0, s8, s0
	s_addc_u32 s1, s9, s1
	s_waitcnt vmcnt(0)
	v_cvt_f32_f16_e32 v10, v1
	v_fma_mix_f32 v12, |v1|, s4, v11 op_sel_hi:[1,0,0]
	v_lshrrev_b32_e32 v6, 16, v1
	v_lshrrev_b32_e32 v7, 16, v2
	v_mul_f32_e32 v13, v10, v10
	v_cmp_ge_f32_e64 vcc, |v10|, 0.5
	v_cndmask_b32_e32 v12, v13, v12, vcc
	v_fmac_f32_e32 v14, 0x3d1c21a7, v12
	v_fma_f32 v14, v12, v14, v15
	v_fma_f32 v14, v12, v14, v16
	v_fma_f32 v14, v12, v14, v17
	v_fma_f32 v14, v12, v14, v18
	v_mul_f32_e32 v14, v12, v14
	v_sqrt_f32_e32 v12, v12
	v_cmp_lt_f32_e64 vcc, |v10|, 0.5
	v_lshrrev_b32_e32 v8, 16, v3
	v_lshrrev_b32_e32 v9, 16, v4
	v_fmac_f32_e32 v12, v12, v14
	v_add_f32_e32 v12, v12, v12
	v_sub_f32_e32 v12, 0x3fc90fdb, v12
	v_fma_mix_f32 v14, |v1|, v14, |v1| op_sel_hi:[1,0,1]
	v_cndmask_b32_e32 v10, v12, v14, vcc
	v_cvt_f32_f16_e32 v12, v6
	v_fma_mix_f32 v14, |v1|, s4, v11 op_sel:[1,0,0] op_sel_hi:[1,0,0]
	v_cvt_f16_f32_e32 v10, v10
	v_mov_b32_e32 v13, 0x3c5fc5da
	v_mul_f32_e32 v19, v12, v12
	v_cmp_ge_f32_e64 vcc, |v12|, 0.5
	v_cndmask_b32_e32 v14, v19, v14, vcc
	v_mov_b32_e32 v19, 0x3c5fc5da
	v_fmac_f32_e32 v19, 0x3d1c21a7, v14
	v_fma_f32 v19, v14, v19, v15
	v_fma_f32 v19, v14, v19, v16
	;; [unrolled: 1-line block ×4, first 2 shown]
	v_mul_f32_e32 v19, v14, v19
	v_sqrt_f32_e32 v14, v14
	v_bfi_b32 v10, s3, v10, v1
	v_fma_mix_f32 v1, |v1|, v19, |v1| op_sel:[1,0,1] op_sel_hi:[1,0,1]
	v_cmp_lt_f32_e64 vcc, |v12|, 0.5
	v_fmac_f32_e32 v14, v14, v19
	v_add_f32_e32 v14, v14, v14
	v_sub_f32_e32 v14, 0x3fc90fdb, v14
	v_cndmask_b32_e32 v1, v14, v1, vcc
	v_cvt_f16_f32_e32 v1, v1
	v_fma_mix_f32 v12, |v2|, s4, v11 op_sel_hi:[1,0,0]
	v_bfi_b32 v1, s3, v1, v6
	v_cvt_f32_f16_e32 v6, v2
	v_pack_b32_f16 v1, v10, v1
	v_mul_f32_e32 v14, v6, v6
	v_cmp_ge_f32_e64 vcc, |v6|, 0.5
	v_cndmask_b32_e32 v12, v14, v12, vcc
	v_mov_b32_e32 v14, 0x3c5fc5da
	v_fmac_f32_e32 v14, 0x3d1c21a7, v12
	v_fma_f32 v14, v12, v14, v15
	v_fma_f32 v14, v12, v14, v16
	;; [unrolled: 1-line block ×4, first 2 shown]
	v_mul_f32_e32 v14, v12, v14
	v_sqrt_f32_e32 v12, v12
	v_cmp_lt_f32_e64 vcc, |v6|, 0.5
	v_fmac_f32_e32 v12, v12, v14
	v_add_f32_e32 v12, v12, v12
	v_sub_f32_e32 v12, 0x3fc90fdb, v12
	v_fma_mix_f32 v14, |v2|, v14, |v2| op_sel_hi:[1,0,1]
	v_cndmask_b32_e32 v6, v12, v14, vcc
	v_cvt_f32_f16_e32 v12, v7
	v_fma_mix_f32 v14, |v2|, s4, v11 op_sel:[1,0,0] op_sel_hi:[1,0,0]
	v_cvt_f16_f32_e32 v6, v6
	v_mul_f32_e32 v19, v12, v12
	v_cmp_ge_f32_e64 vcc, |v12|, 0.5
	v_cndmask_b32_e32 v14, v19, v14, vcc
	v_mov_b32_e32 v19, 0x3c5fc5da
	v_fmac_f32_e32 v19, 0x3d1c21a7, v14
	v_fma_f32 v19, v14, v19, v15
	v_fma_f32 v19, v14, v19, v16
	;; [unrolled: 1-line block ×4, first 2 shown]
	v_mul_f32_e32 v19, v14, v19
	v_sqrt_f32_e32 v14, v14
	v_bfi_b32 v6, s3, v6, v2
	v_fma_mix_f32 v2, |v2|, v19, |v2| op_sel:[1,0,1] op_sel_hi:[1,0,1]
	v_cmp_lt_f32_e64 vcc, |v12|, 0.5
	v_fmac_f32_e32 v14, v14, v19
	v_add_f32_e32 v14, v14, v14
	v_sub_f32_e32 v14, 0x3fc90fdb, v14
	v_cndmask_b32_e32 v2, v14, v2, vcc
	v_cvt_f16_f32_e32 v2, v2
	v_fma_mix_f32 v12, |v3|, s4, v11 op_sel_hi:[1,0,0]
	v_bfi_b32 v2, s3, v2, v7
	v_cvt_f32_f16_e32 v7, v3
	v_pack_b32_f16 v2, v6, v2
	v_mul_f32_e32 v14, v7, v7
	v_cmp_ge_f32_e64 vcc, |v7|, 0.5
	v_cndmask_b32_e32 v12, v14, v12, vcc
	v_mov_b32_e32 v14, 0x3c5fc5da
	v_fmac_f32_e32 v14, 0x3d1c21a7, v12
	v_fma_f32 v14, v12, v14, v15
	v_fma_f32 v14, v12, v14, v16
	;; [unrolled: 1-line block ×4, first 2 shown]
	v_mul_f32_e32 v14, v12, v14
	v_sqrt_f32_e32 v12, v12
	v_cmp_lt_f32_e64 vcc, |v7|, 0.5
	v_fmac_f32_e32 v12, v12, v14
	v_add_f32_e32 v12, v12, v12
	v_sub_f32_e32 v12, 0x3fc90fdb, v12
	v_fma_mix_f32 v14, |v3|, v14, |v3| op_sel_hi:[1,0,1]
	v_cndmask_b32_e32 v7, v12, v14, vcc
	v_cvt_f32_f16_e32 v12, v8
	v_fma_mix_f32 v14, |v3|, s4, v11 op_sel:[1,0,0] op_sel_hi:[1,0,0]
	v_cvt_f16_f32_e32 v7, v7
	v_mul_f32_e32 v19, v12, v12
	v_cmp_ge_f32_e64 vcc, |v12|, 0.5
	v_cndmask_b32_e32 v14, v19, v14, vcc
	v_mov_b32_e32 v19, 0x3c5fc5da
	v_fmac_f32_e32 v19, 0x3d1c21a7, v14
	v_fma_f32 v19, v14, v19, v15
	v_fma_f32 v19, v14, v19, v16
	;; [unrolled: 1-line block ×4, first 2 shown]
	v_mul_f32_e32 v19, v14, v19
	v_sqrt_f32_e32 v14, v14
	v_bfi_b32 v7, s3, v7, v3
	v_fma_mix_f32 v3, |v3|, v19, |v3| op_sel:[1,0,1] op_sel_hi:[1,0,1]
	v_cmp_lt_f32_e64 vcc, |v12|, 0.5
	v_fmac_f32_e32 v14, v14, v19
	v_add_f32_e32 v14, v14, v14
	v_sub_f32_e32 v14, 0x3fc90fdb, v14
	v_cndmask_b32_e32 v3, v14, v3, vcc
	v_cvt_f16_f32_e32 v3, v3
	v_fma_mix_f32 v12, |v4|, s4, v11 op_sel_hi:[1,0,0]
	v_fma_mix_f32 v11, |v4|, s4, v11 op_sel:[1,0,0] op_sel_hi:[1,0,0]
	v_bfi_b32 v3, s3, v3, v8
	v_cvt_f32_f16_e32 v8, v4
	v_pack_b32_f16 v3, v7, v3
	v_mul_f32_e32 v14, v8, v8
	v_cmp_ge_f32_e64 vcc, |v8|, 0.5
	v_cndmask_b32_e32 v12, v14, v12, vcc
	v_mov_b32_e32 v14, 0x3c5fc5da
	v_fmac_f32_e32 v14, 0x3d1c21a7, v12
	v_fma_f32 v14, v12, v14, v15
	v_fma_f32 v14, v12, v14, v16
	;; [unrolled: 1-line block ×4, first 2 shown]
	v_mul_f32_e32 v14, v12, v14
	v_sqrt_f32_e32 v12, v12
	v_cmp_lt_f32_e64 vcc, |v8|, 0.5
	v_fmac_f32_e32 v12, v12, v14
	v_add_f32_e32 v12, v12, v12
	v_sub_f32_e32 v12, 0x3fc90fdb, v12
	v_fma_mix_f32 v14, |v4|, v14, |v4| op_sel_hi:[1,0,1]
	v_cndmask_b32_e32 v8, v12, v14, vcc
	v_cvt_f32_f16_e32 v12, v9
	v_cvt_f16_f32_e32 v8, v8
	v_mul_f32_e32 v14, v12, v12
	v_cmp_ge_f32_e64 vcc, |v12|, 0.5
	v_cndmask_b32_e32 v11, v14, v11, vcc
	v_fmac_f32_e32 v13, 0x3d1c21a7, v11
	v_fmac_f32_e32 v15, v11, v13
	;; [unrolled: 1-line block ×5, first 2 shown]
	v_mul_f32_e32 v13, v11, v18
	v_sqrt_f32_e32 v11, v11
	v_bfi_b32 v8, s3, v8, v4
	v_fma_mix_f32 v4, |v4|, v13, |v4| op_sel:[1,0,1] op_sel_hi:[1,0,1]
	v_cmp_lt_f32_e64 vcc, |v12|, 0.5
	v_fmac_f32_e32 v11, v11, v13
	v_add_f32_e32 v11, v11, v11
	v_sub_f32_e32 v11, 0x3fc90fdb, v11
	v_cndmask_b32_e32 v4, v11, v4, vcc
	v_cvt_f16_f32_e32 v4, v4
	v_bfi_b32 v4, s3, v4, v9
	v_pack_b32_f16 v4, v8, v4
	global_store_dwordx4 v5, v[1:4], s[0:1]
	s_mov_b64 s[0:1], 0
.LBB49_2:
	s_andn2_b64 vcc, exec, s[0:1]
	s_cbranch_vccnz .LBB49_41
; %bb.3:
	v_cmp_gt_i32_e32 vcc, s6, v0
	v_mov_b32_e32 v10, 0
	v_or_b32_e32 v1, s2, v0
	v_mov_b32_e32 v6, 0
	v_mov_b32_e32 v5, v0
	s_and_saveexec_b64 s[4:5], vcc
	s_cbranch_execz .LBB49_5
; %bb.4:
	v_mov_b32_e32 v2, 0
	v_lshlrev_b64 v[2:3], 1, v[1:2]
	v_mov_b32_e32 v4, s11
	v_add_co_u32_e64 v2, s[0:1], s10, v2
	v_addc_co_u32_e64 v3, s[0:1], v4, v3, s[0:1]
	global_load_ushort v2, v[2:3], off
	v_or_b32_e32 v5, 0x100, v0
	s_waitcnt vmcnt(0)
	v_cvt_f32_f16_e32 v6, v2
.LBB49_5:
	s_or_b64 exec, exec, s[4:5]
	v_cmp_gt_i32_e64 s[0:1], s6, v5
	s_and_saveexec_b64 s[4:5], s[0:1]
	s_cbranch_execz .LBB49_7
; %bb.6:
	v_add_u32_e32 v2, s2, v5
	v_mov_b32_e32 v3, 0
	v_lshlrev_b64 v[2:3], 1, v[2:3]
	v_mov_b32_e32 v4, s11
	v_add_co_u32_e64 v2, s[0:1], s10, v2
	v_addc_co_u32_e64 v3, s[0:1], v4, v3, s[0:1]
	global_load_ushort v2, v[2:3], off
	v_add_u32_e32 v5, 0x100, v5
	s_waitcnt vmcnt(0)
	v_cvt_f32_f16_e32 v10, v2
.LBB49_7:
	s_or_b64 exec, exec, s[4:5]
	v_cmp_gt_i32_e64 s[0:1], s6, v5
	v_mov_b32_e32 v7, 0
	v_mov_b32_e32 v11, 0
	s_and_saveexec_b64 s[4:5], s[0:1]
	s_cbranch_execz .LBB49_9
; %bb.8:
	v_add_u32_e32 v2, s2, v5
	v_mov_b32_e32 v3, 0
	v_lshlrev_b64 v[2:3], 1, v[2:3]
	v_mov_b32_e32 v4, s11
	v_add_co_u32_e64 v2, s[0:1], s10, v2
	v_addc_co_u32_e64 v3, s[0:1], v4, v3, s[0:1]
	global_load_ushort v2, v[2:3], off
	v_add_u32_e32 v5, 0x100, v5
	s_waitcnt vmcnt(0)
	v_cvt_f32_f16_e32 v11, v2
.LBB49_9:
	s_or_b64 exec, exec, s[4:5]
	v_cmp_gt_i32_e64 s[0:1], s6, v5
	s_and_saveexec_b64 s[4:5], s[0:1]
	s_cbranch_execz .LBB49_11
; %bb.10:
	v_add_u32_e32 v2, s2, v5
	v_mov_b32_e32 v3, 0
	v_lshlrev_b64 v[2:3], 1, v[2:3]
	v_mov_b32_e32 v4, s11
	v_add_co_u32_e64 v2, s[0:1], s10, v2
	v_addc_co_u32_e64 v3, s[0:1], v4, v3, s[0:1]
	global_load_ushort v2, v[2:3], off
	v_add_u32_e32 v5, 0x100, v5
	s_waitcnt vmcnt(0)
	v_cvt_f32_f16_e32 v7, v2
.LBB49_11:
	s_or_b64 exec, exec, s[4:5]
	v_cmp_gt_i32_e64 s[0:1], s6, v5
	v_mov_b32_e32 v3, 0
	v_mov_b32_e32 v9, 0
	s_and_saveexec_b64 s[4:5], s[0:1]
	s_cbranch_execz .LBB49_13
; %bb.12:
	v_add_u32_e32 v8, s2, v5
	v_mov_b32_e32 v9, 0
	v_lshlrev_b64 v[8:9], 1, v[8:9]
	v_mov_b32_e32 v2, s11
	v_add_co_u32_e64 v8, s[0:1], s10, v8
	v_addc_co_u32_e64 v9, s[0:1], v2, v9, s[0:1]
	global_load_ushort v2, v[8:9], off
	v_add_u32_e32 v5, 0x100, v5
	s_waitcnt vmcnt(0)
	v_cvt_f32_f16_e32 v9, v2
.LBB49_13:
	s_or_b64 exec, exec, s[4:5]
	v_cmp_gt_i32_e64 s[0:1], s6, v5
	s_and_saveexec_b64 s[4:5], s[0:1]
	s_cbranch_execz .LBB49_15
; %bb.14:
	v_add_u32_e32 v2, s2, v5
	v_mov_b32_e32 v3, 0
	v_lshlrev_b64 v[2:3], 1, v[2:3]
	v_mov_b32_e32 v4, s11
	v_add_co_u32_e64 v2, s[0:1], s10, v2
	v_addc_co_u32_e64 v3, s[0:1], v4, v3, s[0:1]
	global_load_ushort v2, v[2:3], off
	v_add_u32_e32 v5, 0x100, v5
	s_waitcnt vmcnt(0)
	v_cvt_f32_f16_e32 v3, v2
.LBB49_15:
	s_or_b64 exec, exec, s[4:5]
	v_cmp_gt_i32_e64 s[0:1], s6, v5
	v_mov_b32_e32 v2, 0
	v_mov_b32_e32 v4, 0
	s_and_saveexec_b64 s[4:5], s[0:1]
	s_cbranch_execnz .LBB49_42
; %bb.16:
	s_or_b64 exec, exec, s[4:5]
	v_cmp_gt_i32_e64 s[0:1], s6, v5
	s_and_saveexec_b64 s[4:5], s[0:1]
	s_cbranch_execnz .LBB49_43
.LBB49_17:
	s_or_b64 exec, exec, s[4:5]
                                        ; implicit-def: $vgpr5
	s_and_saveexec_b64 s[4:5], vcc
	s_cbranch_execz .LBB49_19
.LBB49_18:
	v_fma_f32 v5, |v6|, -0.5, 0.5
	v_mul_f32_e32 v8, v6, v6
	v_cmp_ge_f32_e64 s[0:1], |v6|, 0.5
	v_cndmask_b32_e64 v5, v8, v5, s[0:1]
	v_mov_b32_e32 v8, 0x3c5fc5da
	v_fmac_f32_e32 v8, 0x3d1c21a7, v5
	v_mov_b32_e32 v12, 0x3d034c3c
	v_fmac_f32_e32 v12, v5, v8
	v_mov_b32_e32 v8, 0x3d3641b1
	v_fmac_f32_e32 v8, v5, v12
	v_mov_b32_e32 v12, 0x3d999bc8
	v_fmac_f32_e32 v12, v5, v8
	v_sqrt_f32_e32 v8, v5
	v_mov_b32_e32 v13, 0x3e2aaaac
	v_fmac_f32_e32 v13, v5, v12
	v_mul_f32_e32 v5, v5, v13
	v_fmac_f32_e32 v8, v8, v5
	v_add_f32_e32 v8, v8, v8
	v_sub_f32_e32 v8, 0x3fc90fdb, v8
	v_fma_f32 v5, |v6|, v5, |v6|
	v_cmp_lt_f32_e64 s[0:1], |v6|, 0.5
	v_cndmask_b32_e64 v5, v8, v5, s[0:1]
	v_cvt_f16_f32_e32 v5, v5
	v_lshrrev_b32_e32 v6, 16, v6
	s_movk_i32 s0, 0x7fff
	v_bfi_b32 v5, s0, v5, v6
.LBB49_19:
	s_or_b64 exec, exec, s[4:5]
	v_or_b32_e32 v6, 0x100, v0
	v_cmp_gt_i32_e64 s[0:1], s6, v6
                                        ; implicit-def: $vgpr8
	s_and_saveexec_b64 s[4:5], s[0:1]
	s_cbranch_execz .LBB49_21
; %bb.20:
	v_fma_f32 v8, |v10|, -0.5, 0.5
	v_mul_f32_e32 v12, v10, v10
	v_cmp_ge_f32_e64 s[0:1], |v10|, 0.5
	v_cndmask_b32_e64 v8, v12, v8, s[0:1]
	v_mov_b32_e32 v12, 0x3c5fc5da
	v_fmac_f32_e32 v12, 0x3d1c21a7, v8
	v_mov_b32_e32 v13, 0x3d034c3c
	v_fmac_f32_e32 v13, v8, v12
	;; [unrolled: 2-line block ×4, first 2 shown]
	v_sqrt_f32_e32 v12, v8
	v_mov_b32_e32 v14, 0x3e2aaaac
	v_fmac_f32_e32 v14, v8, v13
	v_mul_f32_e32 v8, v8, v14
	v_fmac_f32_e32 v12, v12, v8
	v_add_f32_e32 v12, v12, v12
	v_sub_f32_e32 v12, 0x3fc90fdb, v12
	v_fma_f32 v8, |v10|, v8, |v10|
	v_cmp_lt_f32_e64 s[0:1], |v10|, 0.5
	v_cndmask_b32_e64 v8, v12, v8, s[0:1]
	v_cvt_f16_f32_e32 v8, v8
	v_lshrrev_b32_e32 v10, 16, v10
	s_movk_i32 s0, 0x7fff
	v_bfi_b32 v8, s0, v8, v10
.LBB49_21:
	s_or_b64 exec, exec, s[4:5]
	v_or_b32_e32 v10, 0x200, v0
	v_cmp_gt_i32_e64 s[0:1], s6, v10
                                        ; implicit-def: $vgpr10
	s_and_saveexec_b64 s[4:5], s[0:1]
	s_cbranch_execz .LBB49_23
; %bb.22:
	v_fma_f32 v10, |v11|, -0.5, 0.5
	v_mul_f32_e32 v12, v11, v11
	v_cmp_ge_f32_e64 s[0:1], |v11|, 0.5
	v_cndmask_b32_e64 v10, v12, v10, s[0:1]
	v_mov_b32_e32 v12, 0x3c5fc5da
	v_fmac_f32_e32 v12, 0x3d1c21a7, v10
	v_mov_b32_e32 v13, 0x3d034c3c
	v_fmac_f32_e32 v13, v10, v12
	;; [unrolled: 2-line block ×4, first 2 shown]
	v_sqrt_f32_e32 v12, v10
	v_mov_b32_e32 v14, 0x3e2aaaac
	v_fmac_f32_e32 v14, v10, v13
	v_mul_f32_e32 v10, v10, v14
	v_fmac_f32_e32 v12, v12, v10
	v_add_f32_e32 v12, v12, v12
	v_sub_f32_e32 v12, 0x3fc90fdb, v12
	v_fma_f32 v10, |v11|, v10, |v11|
	v_cmp_lt_f32_e64 s[0:1], |v11|, 0.5
	v_cndmask_b32_e64 v10, v12, v10, s[0:1]
	v_cvt_f16_f32_e32 v10, v10
	v_lshrrev_b32_e32 v11, 16, v11
	s_movk_i32 s0, 0x7fff
	v_bfi_b32 v10, s0, v10, v11
.LBB49_23:
	s_or_b64 exec, exec, s[4:5]
	v_or_b32_e32 v11, 0x300, v0
	v_cmp_gt_i32_e64 s[0:1], s6, v11
                                        ; implicit-def: $vgpr11
	s_and_saveexec_b64 s[4:5], s[0:1]
	s_cbranch_execz .LBB49_25
; %bb.24:
	v_fma_f32 v11, |v7|, -0.5, 0.5
	v_mul_f32_e32 v12, v7, v7
	v_cmp_ge_f32_e64 s[0:1], |v7|, 0.5
	v_cndmask_b32_e64 v11, v12, v11, s[0:1]
	v_mov_b32_e32 v12, 0x3c5fc5da
	v_fmac_f32_e32 v12, 0x3d1c21a7, v11
	v_mov_b32_e32 v13, 0x3d034c3c
	v_fmac_f32_e32 v13, v11, v12
	;; [unrolled: 2-line block ×4, first 2 shown]
	v_sqrt_f32_e32 v12, v11
	v_mov_b32_e32 v14, 0x3e2aaaac
	v_fmac_f32_e32 v14, v11, v13
	v_mul_f32_e32 v11, v11, v14
	v_fmac_f32_e32 v12, v12, v11
	v_add_f32_e32 v12, v12, v12
	v_sub_f32_e32 v12, 0x3fc90fdb, v12
	v_fma_f32 v11, |v7|, v11, |v7|
	v_cmp_lt_f32_e64 s[0:1], |v7|, 0.5
	v_cndmask_b32_e64 v11, v12, v11, s[0:1]
	v_cvt_f16_f32_e32 v11, v11
	v_lshrrev_b32_e32 v7, 16, v7
	s_movk_i32 s0, 0x7fff
	v_bfi_b32 v11, s0, v11, v7
.LBB49_25:
	s_or_b64 exec, exec, s[4:5]
	v_or_b32_e32 v7, 0x400, v0
	v_cmp_gt_i32_e64 s[0:1], s6, v7
                                        ; implicit-def: $vgpr7
	s_and_saveexec_b64 s[4:5], s[0:1]
	s_cbranch_execz .LBB49_27
; %bb.26:
	v_fma_f32 v7, |v9|, -0.5, 0.5
	v_mul_f32_e32 v12, v9, v9
	v_cmp_ge_f32_e64 s[0:1], |v9|, 0.5
	v_cndmask_b32_e64 v7, v12, v7, s[0:1]
	v_mov_b32_e32 v12, 0x3c5fc5da
	v_fmac_f32_e32 v12, 0x3d1c21a7, v7
	v_mov_b32_e32 v13, 0x3d034c3c
	v_fmac_f32_e32 v13, v7, v12
	;; [unrolled: 2-line block ×4, first 2 shown]
	v_sqrt_f32_e32 v12, v7
	v_mov_b32_e32 v14, 0x3e2aaaac
	v_fmac_f32_e32 v14, v7, v13
	v_mul_f32_e32 v7, v7, v14
	v_fmac_f32_e32 v12, v12, v7
	v_add_f32_e32 v12, v12, v12
	v_sub_f32_e32 v12, 0x3fc90fdb, v12
	v_fma_f32 v7, |v9|, v7, |v9|
	v_cmp_lt_f32_e64 s[0:1], |v9|, 0.5
	v_cndmask_b32_e64 v7, v12, v7, s[0:1]
	v_cvt_f16_f32_e32 v7, v7
	v_lshrrev_b32_e32 v9, 16, v9
	s_movk_i32 s0, 0x7fff
	v_bfi_b32 v7, s0, v7, v9
.LBB49_27:
	s_or_b64 exec, exec, s[4:5]
	v_or_b32_e32 v9, 0x500, v0
	v_cmp_gt_i32_e64 s[0:1], s6, v9
                                        ; implicit-def: $vgpr9
	s_and_saveexec_b64 s[4:5], s[0:1]
	s_cbranch_execz .LBB49_29
; %bb.28:
	v_fma_f32 v9, |v3|, -0.5, 0.5
	v_mul_f32_e32 v12, v3, v3
	v_cmp_ge_f32_e64 s[0:1], |v3|, 0.5
	v_cndmask_b32_e64 v9, v12, v9, s[0:1]
	v_mov_b32_e32 v12, 0x3c5fc5da
	v_fmac_f32_e32 v12, 0x3d1c21a7, v9
	v_mov_b32_e32 v13, 0x3d034c3c
	v_fmac_f32_e32 v13, v9, v12
	;; [unrolled: 2-line block ×4, first 2 shown]
	v_sqrt_f32_e32 v12, v9
	v_mov_b32_e32 v14, 0x3e2aaaac
	v_fmac_f32_e32 v14, v9, v13
	v_mul_f32_e32 v9, v9, v14
	v_fmac_f32_e32 v12, v12, v9
	v_add_f32_e32 v12, v12, v12
	v_sub_f32_e32 v12, 0x3fc90fdb, v12
	v_fma_f32 v9, |v3|, v9, |v3|
	v_cmp_lt_f32_e64 s[0:1], |v3|, 0.5
	v_cndmask_b32_e64 v9, v12, v9, s[0:1]
	v_cvt_f16_f32_e32 v9, v9
	v_lshrrev_b32_e32 v3, 16, v3
	s_movk_i32 s0, 0x7fff
	v_bfi_b32 v9, s0, v9, v3
.LBB49_29:
	s_or_b64 exec, exec, s[4:5]
	v_or_b32_e32 v3, 0x600, v0
	v_cmp_gt_i32_e64 s[0:1], s6, v3
                                        ; implicit-def: $vgpr3
	s_and_saveexec_b64 s[4:5], s[0:1]
	s_cbranch_execz .LBB49_31
; %bb.30:
	v_fma_f32 v3, |v4|, -0.5, 0.5
	v_mul_f32_e32 v12, v4, v4
	v_cmp_ge_f32_e64 s[0:1], |v4|, 0.5
	v_cndmask_b32_e64 v3, v12, v3, s[0:1]
	v_mov_b32_e32 v12, 0x3c5fc5da
	v_fmac_f32_e32 v12, 0x3d1c21a7, v3
	v_mov_b32_e32 v13, 0x3d034c3c
	v_fmac_f32_e32 v13, v3, v12
	;; [unrolled: 2-line block ×4, first 2 shown]
	v_sqrt_f32_e32 v12, v3
	v_mov_b32_e32 v14, 0x3e2aaaac
	v_fmac_f32_e32 v14, v3, v13
	v_mul_f32_e32 v3, v3, v14
	v_fmac_f32_e32 v12, v12, v3
	v_add_f32_e32 v12, v12, v12
	v_sub_f32_e32 v12, 0x3fc90fdb, v12
	v_fma_f32 v3, |v4|, v3, |v4|
	v_cmp_lt_f32_e64 s[0:1], |v4|, 0.5
	v_cndmask_b32_e64 v3, v12, v3, s[0:1]
	v_cvt_f16_f32_e32 v3, v3
	v_lshrrev_b32_e32 v4, 16, v4
	s_movk_i32 s0, 0x7fff
	v_bfi_b32 v3, s0, v3, v4
.LBB49_31:
	s_or_b64 exec, exec, s[4:5]
	v_or_b32_e32 v4, 0x700, v0
	v_cmp_gt_i32_e64 s[0:1], s6, v4
                                        ; implicit-def: $vgpr4
	s_and_saveexec_b64 s[4:5], s[0:1]
	s_cbranch_execnz .LBB49_44
; %bb.32:
	s_or_b64 exec, exec, s[4:5]
	s_and_saveexec_b64 s[0:1], vcc
	s_xor_b64 s[0:1], exec, s[0:1]
	s_cbranch_execnz .LBB49_45
.LBB49_33:
	s_or_b64 exec, exec, s[0:1]
	v_cmp_gt_i32_e32 vcc, s6, v0
	s_and_saveexec_b64 s[0:1], vcc
	s_cbranch_execnz .LBB49_46
.LBB49_34:
	s_or_b64 exec, exec, s[0:1]
	v_cmp_gt_i32_e32 vcc, s6, v0
	s_and_saveexec_b64 s[0:1], vcc
	s_cbranch_execnz .LBB49_47
.LBB49_35:
	s_or_b64 exec, exec, s[0:1]
	v_cmp_gt_i32_e32 vcc, s6, v0
	s_and_saveexec_b64 s[0:1], vcc
	s_cbranch_execnz .LBB49_48
.LBB49_36:
	s_or_b64 exec, exec, s[0:1]
	v_cmp_gt_i32_e32 vcc, s6, v0
	s_and_saveexec_b64 s[0:1], vcc
	s_cbranch_execnz .LBB49_49
.LBB49_37:
	s_or_b64 exec, exec, s[0:1]
	v_cmp_gt_i32_e32 vcc, s6, v0
	s_and_saveexec_b64 s[0:1], vcc
	s_cbranch_execnz .LBB49_50
.LBB49_38:
	s_or_b64 exec, exec, s[0:1]
	v_cmp_gt_i32_e32 vcc, s6, v0
	s_and_saveexec_b64 s[0:1], vcc
	s_cbranch_execnz .LBB49_51
.LBB49_39:
	s_or_b64 exec, exec, s[0:1]
	v_cmp_gt_i32_e32 vcc, s6, v0
	s_and_saveexec_b64 s[0:1], vcc
	s_cbranch_execz .LBB49_41
.LBB49_40:
	v_add_u32_e32 v0, s2, v0
	v_mov_b32_e32 v1, 0
	v_lshlrev_b64 v[0:1], 1, v[0:1]
	v_mov_b32_e32 v2, s9
	v_add_co_u32_e32 v0, vcc, s8, v0
	v_addc_co_u32_e32 v1, vcc, v2, v1, vcc
	global_store_short v[0:1], v4, off
.LBB49_41:
	s_endpgm
.LBB49_42:
	v_add_u32_e32 v12, s2, v5
	v_mov_b32_e32 v13, 0
	v_lshlrev_b64 v[12:13], 1, v[12:13]
	v_mov_b32_e32 v4, s11
	v_add_co_u32_e64 v12, s[0:1], s10, v12
	v_addc_co_u32_e64 v13, s[0:1], v4, v13, s[0:1]
	global_load_ushort v4, v[12:13], off
	v_add_u32_e32 v5, 0x100, v5
	s_waitcnt vmcnt(0)
	v_cvt_f32_f16_e32 v4, v4
	s_or_b64 exec, exec, s[4:5]
	v_cmp_gt_i32_e64 s[0:1], s6, v5
	s_and_saveexec_b64 s[4:5], s[0:1]
	s_cbranch_execz .LBB49_17
.LBB49_43:
	v_add_u32_e32 v12, s2, v5
	v_mov_b32_e32 v13, 0
	v_lshlrev_b64 v[12:13], 1, v[12:13]
	v_mov_b32_e32 v2, s11
	v_add_co_u32_e64 v12, s[0:1], s10, v12
	v_addc_co_u32_e64 v13, s[0:1], v2, v13, s[0:1]
	global_load_ushort v2, v[12:13], off
	s_waitcnt vmcnt(0)
	v_cvt_f32_f16_e32 v2, v2
	s_or_b64 exec, exec, s[4:5]
                                        ; implicit-def: $vgpr5
	s_and_saveexec_b64 s[4:5], vcc
	s_cbranch_execnz .LBB49_18
	s_branch .LBB49_19
.LBB49_44:
	v_fma_f32 v4, |v2|, -0.5, 0.5
	v_mul_f32_e32 v12, v2, v2
	v_cmp_ge_f32_e64 s[0:1], |v2|, 0.5
	v_cndmask_b32_e64 v4, v12, v4, s[0:1]
	v_mov_b32_e32 v12, 0x3c5fc5da
	v_fmac_f32_e32 v12, 0x3d1c21a7, v4
	v_mov_b32_e32 v13, 0x3d034c3c
	v_fmac_f32_e32 v13, v4, v12
	;; [unrolled: 2-line block ×4, first 2 shown]
	v_sqrt_f32_e32 v12, v4
	v_mov_b32_e32 v14, 0x3e2aaaac
	v_fmac_f32_e32 v14, v4, v13
	v_mul_f32_e32 v4, v4, v14
	v_fmac_f32_e32 v12, v12, v4
	v_add_f32_e32 v12, v12, v12
	v_sub_f32_e32 v12, 0x3fc90fdb, v12
	v_fma_f32 v4, |v2|, v4, |v2|
	v_cmp_lt_f32_e64 s[0:1], |v2|, 0.5
	v_cndmask_b32_e64 v4, v12, v4, s[0:1]
	v_cvt_f16_f32_e32 v4, v4
	v_lshrrev_b32_e32 v2, 16, v2
	s_movk_i32 s0, 0x7fff
	v_bfi_b32 v4, s0, v4, v2
	s_or_b64 exec, exec, s[4:5]
	s_and_saveexec_b64 s[0:1], vcc
	s_xor_b64 s[0:1], exec, s[0:1]
	s_cbranch_execz .LBB49_33
.LBB49_45:
	v_mov_b32_e32 v2, 0
	v_lshlrev_b64 v[0:1], 1, v[1:2]
	v_mov_b32_e32 v2, s9
	v_add_co_u32_e32 v0, vcc, s8, v0
	v_addc_co_u32_e32 v1, vcc, v2, v1, vcc
	global_store_short v[0:1], v5, off
	v_mov_b32_e32 v0, v6
	s_or_b64 exec, exec, s[0:1]
	v_cmp_gt_i32_e32 vcc, s6, v0
	s_and_saveexec_b64 s[0:1], vcc
	s_cbranch_execz .LBB49_34
.LBB49_46:
	v_add_u32_e32 v1, s2, v0
	v_mov_b32_e32 v2, 0
	v_lshlrev_b64 v[1:2], 1, v[1:2]
	v_mov_b32_e32 v5, s9
	v_add_co_u32_e32 v1, vcc, s8, v1
	v_addc_co_u32_e32 v2, vcc, v5, v2, vcc
	v_add_u32_e32 v0, 0x100, v0
	global_store_short v[1:2], v8, off
	s_or_b64 exec, exec, s[0:1]
	v_cmp_gt_i32_e32 vcc, s6, v0
	s_and_saveexec_b64 s[0:1], vcc
	s_cbranch_execz .LBB49_35
.LBB49_47:
	v_add_u32_e32 v1, s2, v0
	v_mov_b32_e32 v2, 0
	v_lshlrev_b64 v[1:2], 1, v[1:2]
	v_mov_b32_e32 v5, s9
	v_add_co_u32_e32 v1, vcc, s8, v1
	v_addc_co_u32_e32 v2, vcc, v5, v2, vcc
	v_add_u32_e32 v0, 0x100, v0
	global_store_short v[1:2], v10, off
	s_or_b64 exec, exec, s[0:1]
	v_cmp_gt_i32_e32 vcc, s6, v0
	s_and_saveexec_b64 s[0:1], vcc
	s_cbranch_execz .LBB49_36
.LBB49_48:
	v_add_u32_e32 v1, s2, v0
	v_mov_b32_e32 v2, 0
	v_lshlrev_b64 v[1:2], 1, v[1:2]
	v_mov_b32_e32 v5, s9
	v_add_co_u32_e32 v1, vcc, s8, v1
	v_addc_co_u32_e32 v2, vcc, v5, v2, vcc
	v_add_u32_e32 v0, 0x100, v0
	global_store_short v[1:2], v11, off
	s_or_b64 exec, exec, s[0:1]
	v_cmp_gt_i32_e32 vcc, s6, v0
	s_and_saveexec_b64 s[0:1], vcc
	s_cbranch_execz .LBB49_37
.LBB49_49:
	v_add_u32_e32 v1, s2, v0
	v_mov_b32_e32 v2, 0
	v_lshlrev_b64 v[1:2], 1, v[1:2]
	v_mov_b32_e32 v5, s9
	v_add_co_u32_e32 v1, vcc, s8, v1
	v_addc_co_u32_e32 v2, vcc, v5, v2, vcc
	v_add_u32_e32 v0, 0x100, v0
	global_store_short v[1:2], v7, off
	s_or_b64 exec, exec, s[0:1]
	v_cmp_gt_i32_e32 vcc, s6, v0
	s_and_saveexec_b64 s[0:1], vcc
	s_cbranch_execz .LBB49_38
.LBB49_50:
	v_add_u32_e32 v1, s2, v0
	v_mov_b32_e32 v2, 0
	v_lshlrev_b64 v[1:2], 1, v[1:2]
	v_mov_b32_e32 v5, s9
	v_add_co_u32_e32 v1, vcc, s8, v1
	v_addc_co_u32_e32 v2, vcc, v5, v2, vcc
	v_add_u32_e32 v0, 0x100, v0
	global_store_short v[1:2], v9, off
	s_or_b64 exec, exec, s[0:1]
	v_cmp_gt_i32_e32 vcc, s6, v0
	s_and_saveexec_b64 s[0:1], vcc
	s_cbranch_execz .LBB49_39
.LBB49_51:
	v_add_u32_e32 v1, s2, v0
	v_mov_b32_e32 v2, 0
	v_lshlrev_b64 v[1:2], 1, v[1:2]
	v_mov_b32_e32 v5, s9
	v_add_co_u32_e32 v1, vcc, s8, v1
	v_addc_co_u32_e32 v2, vcc, v5, v2, vcc
	v_add_u32_e32 v0, 0x100, v0
	global_store_short v[1:2], v3, off
	s_or_b64 exec, exec, s[0:1]
	v_cmp_gt_i32_e32 vcc, s6, v0
	s_and_saveexec_b64 s[0:1], vcc
	s_cbranch_execnz .LBB49_40
	s_branch .LBB49_41
	.section	.rodata,"a",@progbits
	.p2align	6, 0x0
	.amdhsa_kernel _ZN2at6native29vectorized_elementwise_kernelILi16EZZZNS0_16asin_kernel_cudaERNS_18TensorIteratorBaseEENKUlvE0_clEvENKUlvE1_clEvEUlN3c104HalfEE_St5arrayIPcLm2EEEEviT0_T1_
		.amdhsa_group_segment_fixed_size 0
		.amdhsa_private_segment_fixed_size 0
		.amdhsa_kernarg_size 24
		.amdhsa_user_sgpr_count 6
		.amdhsa_user_sgpr_private_segment_buffer 1
		.amdhsa_user_sgpr_dispatch_ptr 0
		.amdhsa_user_sgpr_queue_ptr 0
		.amdhsa_user_sgpr_kernarg_segment_ptr 1
		.amdhsa_user_sgpr_dispatch_id 0
		.amdhsa_user_sgpr_flat_scratch_init 0
		.amdhsa_user_sgpr_private_segment_size 0
		.amdhsa_uses_dynamic_stack 0
		.amdhsa_system_sgpr_private_segment_wavefront_offset 0
		.amdhsa_system_sgpr_workgroup_id_x 1
		.amdhsa_system_sgpr_workgroup_id_y 0
		.amdhsa_system_sgpr_workgroup_id_z 0
		.amdhsa_system_sgpr_workgroup_info 0
		.amdhsa_system_vgpr_workitem_id 0
		.amdhsa_next_free_vgpr 20
		.amdhsa_next_free_sgpr 12
		.amdhsa_reserve_vcc 1
		.amdhsa_reserve_flat_scratch 0
		.amdhsa_float_round_mode_32 0
		.amdhsa_float_round_mode_16_64 0
		.amdhsa_float_denorm_mode_32 3
		.amdhsa_float_denorm_mode_16_64 3
		.amdhsa_dx10_clamp 1
		.amdhsa_ieee_mode 1
		.amdhsa_fp16_overflow 0
		.amdhsa_exception_fp_ieee_invalid_op 0
		.amdhsa_exception_fp_denorm_src 0
		.amdhsa_exception_fp_ieee_div_zero 0
		.amdhsa_exception_fp_ieee_overflow 0
		.amdhsa_exception_fp_ieee_underflow 0
		.amdhsa_exception_fp_ieee_inexact 0
		.amdhsa_exception_int_div_zero 0
	.end_amdhsa_kernel
	.section	.text._ZN2at6native29vectorized_elementwise_kernelILi16EZZZNS0_16asin_kernel_cudaERNS_18TensorIteratorBaseEENKUlvE0_clEvENKUlvE1_clEvEUlN3c104HalfEE_St5arrayIPcLm2EEEEviT0_T1_,"axG",@progbits,_ZN2at6native29vectorized_elementwise_kernelILi16EZZZNS0_16asin_kernel_cudaERNS_18TensorIteratorBaseEENKUlvE0_clEvENKUlvE1_clEvEUlN3c104HalfEE_St5arrayIPcLm2EEEEviT0_T1_,comdat
.Lfunc_end49:
	.size	_ZN2at6native29vectorized_elementwise_kernelILi16EZZZNS0_16asin_kernel_cudaERNS_18TensorIteratorBaseEENKUlvE0_clEvENKUlvE1_clEvEUlN3c104HalfEE_St5arrayIPcLm2EEEEviT0_T1_, .Lfunc_end49-_ZN2at6native29vectorized_elementwise_kernelILi16EZZZNS0_16asin_kernel_cudaERNS_18TensorIteratorBaseEENKUlvE0_clEvENKUlvE1_clEvEUlN3c104HalfEE_St5arrayIPcLm2EEEEviT0_T1_
                                        ; -- End function
	.set _ZN2at6native29vectorized_elementwise_kernelILi16EZZZNS0_16asin_kernel_cudaERNS_18TensorIteratorBaseEENKUlvE0_clEvENKUlvE1_clEvEUlN3c104HalfEE_St5arrayIPcLm2EEEEviT0_T1_.num_vgpr, 20
	.set _ZN2at6native29vectorized_elementwise_kernelILi16EZZZNS0_16asin_kernel_cudaERNS_18TensorIteratorBaseEENKUlvE0_clEvENKUlvE1_clEvEUlN3c104HalfEE_St5arrayIPcLm2EEEEviT0_T1_.num_agpr, 0
	.set _ZN2at6native29vectorized_elementwise_kernelILi16EZZZNS0_16asin_kernel_cudaERNS_18TensorIteratorBaseEENKUlvE0_clEvENKUlvE1_clEvEUlN3c104HalfEE_St5arrayIPcLm2EEEEviT0_T1_.numbered_sgpr, 12
	.set _ZN2at6native29vectorized_elementwise_kernelILi16EZZZNS0_16asin_kernel_cudaERNS_18TensorIteratorBaseEENKUlvE0_clEvENKUlvE1_clEvEUlN3c104HalfEE_St5arrayIPcLm2EEEEviT0_T1_.num_named_barrier, 0
	.set _ZN2at6native29vectorized_elementwise_kernelILi16EZZZNS0_16asin_kernel_cudaERNS_18TensorIteratorBaseEENKUlvE0_clEvENKUlvE1_clEvEUlN3c104HalfEE_St5arrayIPcLm2EEEEviT0_T1_.private_seg_size, 0
	.set _ZN2at6native29vectorized_elementwise_kernelILi16EZZZNS0_16asin_kernel_cudaERNS_18TensorIteratorBaseEENKUlvE0_clEvENKUlvE1_clEvEUlN3c104HalfEE_St5arrayIPcLm2EEEEviT0_T1_.uses_vcc, 1
	.set _ZN2at6native29vectorized_elementwise_kernelILi16EZZZNS0_16asin_kernel_cudaERNS_18TensorIteratorBaseEENKUlvE0_clEvENKUlvE1_clEvEUlN3c104HalfEE_St5arrayIPcLm2EEEEviT0_T1_.uses_flat_scratch, 0
	.set _ZN2at6native29vectorized_elementwise_kernelILi16EZZZNS0_16asin_kernel_cudaERNS_18TensorIteratorBaseEENKUlvE0_clEvENKUlvE1_clEvEUlN3c104HalfEE_St5arrayIPcLm2EEEEviT0_T1_.has_dyn_sized_stack, 0
	.set _ZN2at6native29vectorized_elementwise_kernelILi16EZZZNS0_16asin_kernel_cudaERNS_18TensorIteratorBaseEENKUlvE0_clEvENKUlvE1_clEvEUlN3c104HalfEE_St5arrayIPcLm2EEEEviT0_T1_.has_recursion, 0
	.set _ZN2at6native29vectorized_elementwise_kernelILi16EZZZNS0_16asin_kernel_cudaERNS_18TensorIteratorBaseEENKUlvE0_clEvENKUlvE1_clEvEUlN3c104HalfEE_St5arrayIPcLm2EEEEviT0_T1_.has_indirect_call, 0
	.section	.AMDGPU.csdata,"",@progbits
; Kernel info:
; codeLenInByte = 4016
; TotalNumSgprs: 16
; NumVgprs: 20
; ScratchSize: 0
; MemoryBound: 0
; FloatMode: 240
; IeeeMode: 1
; LDSByteSize: 0 bytes/workgroup (compile time only)
; SGPRBlocks: 1
; VGPRBlocks: 4
; NumSGPRsForWavesPerEU: 16
; NumVGPRsForWavesPerEU: 20
; Occupancy: 10
; WaveLimiterHint : 0
; COMPUTE_PGM_RSRC2:SCRATCH_EN: 0
; COMPUTE_PGM_RSRC2:USER_SGPR: 6
; COMPUTE_PGM_RSRC2:TRAP_HANDLER: 0
; COMPUTE_PGM_RSRC2:TGID_X_EN: 1
; COMPUTE_PGM_RSRC2:TGID_Y_EN: 0
; COMPUTE_PGM_RSRC2:TGID_Z_EN: 0
; COMPUTE_PGM_RSRC2:TIDIG_COMP_CNT: 0
	.section	.text._ZN2at6native29vectorized_elementwise_kernelILi8EZZZNS0_16asin_kernel_cudaERNS_18TensorIteratorBaseEENKUlvE0_clEvENKUlvE1_clEvEUlN3c104HalfEE_St5arrayIPcLm2EEEEviT0_T1_,"axG",@progbits,_ZN2at6native29vectorized_elementwise_kernelILi8EZZZNS0_16asin_kernel_cudaERNS_18TensorIteratorBaseEENKUlvE0_clEvENKUlvE1_clEvEUlN3c104HalfEE_St5arrayIPcLm2EEEEviT0_T1_,comdat
	.globl	_ZN2at6native29vectorized_elementwise_kernelILi8EZZZNS0_16asin_kernel_cudaERNS_18TensorIteratorBaseEENKUlvE0_clEvENKUlvE1_clEvEUlN3c104HalfEE_St5arrayIPcLm2EEEEviT0_T1_ ; -- Begin function _ZN2at6native29vectorized_elementwise_kernelILi8EZZZNS0_16asin_kernel_cudaERNS_18TensorIteratorBaseEENKUlvE0_clEvENKUlvE1_clEvEUlN3c104HalfEE_St5arrayIPcLm2EEEEviT0_T1_
	.p2align	8
	.type	_ZN2at6native29vectorized_elementwise_kernelILi8EZZZNS0_16asin_kernel_cudaERNS_18TensorIteratorBaseEENKUlvE0_clEvENKUlvE1_clEvEUlN3c104HalfEE_St5arrayIPcLm2EEEEviT0_T1_,@function
_ZN2at6native29vectorized_elementwise_kernelILi8EZZZNS0_16asin_kernel_cudaERNS_18TensorIteratorBaseEENKUlvE0_clEvENKUlvE1_clEvEUlN3c104HalfEE_St5arrayIPcLm2EEEEviT0_T1_: ; @_ZN2at6native29vectorized_elementwise_kernelILi8EZZZNS0_16asin_kernel_cudaERNS_18TensorIteratorBaseEENKUlvE0_clEvENKUlvE1_clEvEUlN3c104HalfEE_St5arrayIPcLm2EEEEviT0_T1_
; %bb.0:
	s_load_dword s0, s[4:5], 0x0
	s_load_dwordx4 s[8:11], s[4:5], 0x8
	s_lshl_b32 s2, s6, 11
	s_waitcnt lgkmcnt(0)
	s_sub_i32 s6, s0, s2
	s_cmpk_gt_i32 s6, 0x7ff
	s_mov_b64 s[0:1], -1
	s_cbranch_scc0 .LBB50_2
; %bb.1:
	s_ashr_i32 s3, s2, 31
	s_lshl_b64 s[0:1], s[2:3], 1
	s_add_u32 s4, s10, s0
	s_addc_u32 s5, s11, s1
	v_lshlrev_b32_e32 v5, 4, v0
	global_load_dwordx4 v[1:4], v5, s[4:5]
	s_mov_b32 s4, -0.5
	v_mov_b32_e32 v11, 0.5
	v_mov_b32_e32 v14, 0x3c5fc5da
	v_mov_b32_e32 v15, 0x3d034c3c
	;; [unrolled: 1-line block ×5, first 2 shown]
	s_movk_i32 s3, 0x7fff
	s_add_u32 s0, s8, s0
	s_addc_u32 s1, s9, s1
	s_waitcnt vmcnt(0)
	v_cvt_f32_f16_e32 v10, v1
	v_fma_mix_f32 v12, |v1|, s4, v11 op_sel_hi:[1,0,0]
	v_lshrrev_b32_e32 v6, 16, v1
	v_lshrrev_b32_e32 v7, 16, v2
	v_mul_f32_e32 v13, v10, v10
	v_cmp_ge_f32_e64 vcc, |v10|, 0.5
	v_cndmask_b32_e32 v12, v13, v12, vcc
	v_fmac_f32_e32 v14, 0x3d1c21a7, v12
	v_fma_f32 v14, v12, v14, v15
	v_fma_f32 v14, v12, v14, v16
	;; [unrolled: 1-line block ×4, first 2 shown]
	v_mul_f32_e32 v14, v12, v14
	v_sqrt_f32_e32 v12, v12
	v_cmp_lt_f32_e64 vcc, |v10|, 0.5
	v_lshrrev_b32_e32 v8, 16, v3
	v_lshrrev_b32_e32 v9, 16, v4
	v_fmac_f32_e32 v12, v12, v14
	v_add_f32_e32 v12, v12, v12
	v_sub_f32_e32 v12, 0x3fc90fdb, v12
	v_fma_mix_f32 v14, |v1|, v14, |v1| op_sel_hi:[1,0,1]
	v_cndmask_b32_e32 v10, v12, v14, vcc
	v_cvt_f32_f16_e32 v12, v6
	v_fma_mix_f32 v14, |v1|, s4, v11 op_sel:[1,0,0] op_sel_hi:[1,0,0]
	v_cvt_f16_f32_e32 v10, v10
	v_mov_b32_e32 v13, 0x3c5fc5da
	v_mul_f32_e32 v19, v12, v12
	v_cmp_ge_f32_e64 vcc, |v12|, 0.5
	v_cndmask_b32_e32 v14, v19, v14, vcc
	v_mov_b32_e32 v19, 0x3c5fc5da
	v_fmac_f32_e32 v19, 0x3d1c21a7, v14
	v_fma_f32 v19, v14, v19, v15
	v_fma_f32 v19, v14, v19, v16
	v_fma_f32 v19, v14, v19, v17
	v_fma_f32 v19, v14, v19, v18
	v_mul_f32_e32 v19, v14, v19
	v_sqrt_f32_e32 v14, v14
	v_bfi_b32 v10, s3, v10, v1
	v_fma_mix_f32 v1, |v1|, v19, |v1| op_sel:[1,0,1] op_sel_hi:[1,0,1]
	v_cmp_lt_f32_e64 vcc, |v12|, 0.5
	v_fmac_f32_e32 v14, v14, v19
	v_add_f32_e32 v14, v14, v14
	v_sub_f32_e32 v14, 0x3fc90fdb, v14
	v_cndmask_b32_e32 v1, v14, v1, vcc
	v_cvt_f16_f32_e32 v1, v1
	v_fma_mix_f32 v12, |v2|, s4, v11 op_sel_hi:[1,0,0]
	v_bfi_b32 v1, s3, v1, v6
	v_cvt_f32_f16_e32 v6, v2
	v_pack_b32_f16 v1, v10, v1
	v_mul_f32_e32 v14, v6, v6
	v_cmp_ge_f32_e64 vcc, |v6|, 0.5
	v_cndmask_b32_e32 v12, v14, v12, vcc
	v_mov_b32_e32 v14, 0x3c5fc5da
	v_fmac_f32_e32 v14, 0x3d1c21a7, v12
	v_fma_f32 v14, v12, v14, v15
	v_fma_f32 v14, v12, v14, v16
	v_fma_f32 v14, v12, v14, v17
	v_fma_f32 v14, v12, v14, v18
	v_mul_f32_e32 v14, v12, v14
	v_sqrt_f32_e32 v12, v12
	v_cmp_lt_f32_e64 vcc, |v6|, 0.5
	v_fmac_f32_e32 v12, v12, v14
	v_add_f32_e32 v12, v12, v12
	v_sub_f32_e32 v12, 0x3fc90fdb, v12
	v_fma_mix_f32 v14, |v2|, v14, |v2| op_sel_hi:[1,0,1]
	v_cndmask_b32_e32 v6, v12, v14, vcc
	v_cvt_f32_f16_e32 v12, v7
	v_fma_mix_f32 v14, |v2|, s4, v11 op_sel:[1,0,0] op_sel_hi:[1,0,0]
	v_cvt_f16_f32_e32 v6, v6
	v_mul_f32_e32 v19, v12, v12
	v_cmp_ge_f32_e64 vcc, |v12|, 0.5
	v_cndmask_b32_e32 v14, v19, v14, vcc
	v_mov_b32_e32 v19, 0x3c5fc5da
	v_fmac_f32_e32 v19, 0x3d1c21a7, v14
	v_fma_f32 v19, v14, v19, v15
	v_fma_f32 v19, v14, v19, v16
	;; [unrolled: 1-line block ×4, first 2 shown]
	v_mul_f32_e32 v19, v14, v19
	v_sqrt_f32_e32 v14, v14
	v_bfi_b32 v6, s3, v6, v2
	v_fma_mix_f32 v2, |v2|, v19, |v2| op_sel:[1,0,1] op_sel_hi:[1,0,1]
	v_cmp_lt_f32_e64 vcc, |v12|, 0.5
	v_fmac_f32_e32 v14, v14, v19
	v_add_f32_e32 v14, v14, v14
	v_sub_f32_e32 v14, 0x3fc90fdb, v14
	v_cndmask_b32_e32 v2, v14, v2, vcc
	v_cvt_f16_f32_e32 v2, v2
	v_fma_mix_f32 v12, |v3|, s4, v11 op_sel_hi:[1,0,0]
	v_bfi_b32 v2, s3, v2, v7
	v_cvt_f32_f16_e32 v7, v3
	v_pack_b32_f16 v2, v6, v2
	v_mul_f32_e32 v14, v7, v7
	v_cmp_ge_f32_e64 vcc, |v7|, 0.5
	v_cndmask_b32_e32 v12, v14, v12, vcc
	v_mov_b32_e32 v14, 0x3c5fc5da
	v_fmac_f32_e32 v14, 0x3d1c21a7, v12
	v_fma_f32 v14, v12, v14, v15
	v_fma_f32 v14, v12, v14, v16
	;; [unrolled: 1-line block ×4, first 2 shown]
	v_mul_f32_e32 v14, v12, v14
	v_sqrt_f32_e32 v12, v12
	v_cmp_lt_f32_e64 vcc, |v7|, 0.5
	v_fmac_f32_e32 v12, v12, v14
	v_add_f32_e32 v12, v12, v12
	v_sub_f32_e32 v12, 0x3fc90fdb, v12
	v_fma_mix_f32 v14, |v3|, v14, |v3| op_sel_hi:[1,0,1]
	v_cndmask_b32_e32 v7, v12, v14, vcc
	v_cvt_f32_f16_e32 v12, v8
	v_fma_mix_f32 v14, |v3|, s4, v11 op_sel:[1,0,0] op_sel_hi:[1,0,0]
	v_cvt_f16_f32_e32 v7, v7
	v_mul_f32_e32 v19, v12, v12
	v_cmp_ge_f32_e64 vcc, |v12|, 0.5
	v_cndmask_b32_e32 v14, v19, v14, vcc
	v_mov_b32_e32 v19, 0x3c5fc5da
	v_fmac_f32_e32 v19, 0x3d1c21a7, v14
	v_fma_f32 v19, v14, v19, v15
	v_fma_f32 v19, v14, v19, v16
	;; [unrolled: 1-line block ×4, first 2 shown]
	v_mul_f32_e32 v19, v14, v19
	v_sqrt_f32_e32 v14, v14
	v_bfi_b32 v7, s3, v7, v3
	v_fma_mix_f32 v3, |v3|, v19, |v3| op_sel:[1,0,1] op_sel_hi:[1,0,1]
	v_cmp_lt_f32_e64 vcc, |v12|, 0.5
	v_fmac_f32_e32 v14, v14, v19
	v_add_f32_e32 v14, v14, v14
	v_sub_f32_e32 v14, 0x3fc90fdb, v14
	v_cndmask_b32_e32 v3, v14, v3, vcc
	v_cvt_f16_f32_e32 v3, v3
	v_fma_mix_f32 v12, |v4|, s4, v11 op_sel_hi:[1,0,0]
	v_fma_mix_f32 v11, |v4|, s4, v11 op_sel:[1,0,0] op_sel_hi:[1,0,0]
	v_bfi_b32 v3, s3, v3, v8
	v_cvt_f32_f16_e32 v8, v4
	v_pack_b32_f16 v3, v7, v3
	v_mul_f32_e32 v14, v8, v8
	v_cmp_ge_f32_e64 vcc, |v8|, 0.5
	v_cndmask_b32_e32 v12, v14, v12, vcc
	v_mov_b32_e32 v14, 0x3c5fc5da
	v_fmac_f32_e32 v14, 0x3d1c21a7, v12
	v_fma_f32 v14, v12, v14, v15
	v_fma_f32 v14, v12, v14, v16
	;; [unrolled: 1-line block ×4, first 2 shown]
	v_mul_f32_e32 v14, v12, v14
	v_sqrt_f32_e32 v12, v12
	v_cmp_lt_f32_e64 vcc, |v8|, 0.5
	v_fmac_f32_e32 v12, v12, v14
	v_add_f32_e32 v12, v12, v12
	v_sub_f32_e32 v12, 0x3fc90fdb, v12
	v_fma_mix_f32 v14, |v4|, v14, |v4| op_sel_hi:[1,0,1]
	v_cndmask_b32_e32 v8, v12, v14, vcc
	v_cvt_f32_f16_e32 v12, v9
	v_cvt_f16_f32_e32 v8, v8
	v_mul_f32_e32 v14, v12, v12
	v_cmp_ge_f32_e64 vcc, |v12|, 0.5
	v_cndmask_b32_e32 v11, v14, v11, vcc
	v_fmac_f32_e32 v13, 0x3d1c21a7, v11
	v_fmac_f32_e32 v15, v11, v13
	v_fmac_f32_e32 v16, v11, v15
	v_fmac_f32_e32 v17, v11, v16
	v_fmac_f32_e32 v18, v11, v17
	v_mul_f32_e32 v13, v11, v18
	v_sqrt_f32_e32 v11, v11
	v_bfi_b32 v8, s3, v8, v4
	v_fma_mix_f32 v4, |v4|, v13, |v4| op_sel:[1,0,1] op_sel_hi:[1,0,1]
	v_cmp_lt_f32_e64 vcc, |v12|, 0.5
	v_fmac_f32_e32 v11, v11, v13
	v_add_f32_e32 v11, v11, v11
	v_sub_f32_e32 v11, 0x3fc90fdb, v11
	v_cndmask_b32_e32 v4, v11, v4, vcc
	v_cvt_f16_f32_e32 v4, v4
	v_bfi_b32 v4, s3, v4, v9
	v_pack_b32_f16 v4, v8, v4
	global_store_dwordx4 v5, v[1:4], s[0:1]
	s_mov_b64 s[0:1], 0
.LBB50_2:
	s_andn2_b64 vcc, exec, s[0:1]
	s_cbranch_vccnz .LBB50_41
; %bb.3:
	v_cmp_gt_i32_e32 vcc, s6, v0
	v_mov_b32_e32 v10, 0
	v_or_b32_e32 v1, s2, v0
	v_mov_b32_e32 v6, 0
	v_mov_b32_e32 v5, v0
	s_and_saveexec_b64 s[4:5], vcc
	s_cbranch_execz .LBB50_5
; %bb.4:
	v_mov_b32_e32 v2, 0
	v_lshlrev_b64 v[2:3], 1, v[1:2]
	v_mov_b32_e32 v4, s11
	v_add_co_u32_e64 v2, s[0:1], s10, v2
	v_addc_co_u32_e64 v3, s[0:1], v4, v3, s[0:1]
	global_load_ushort v2, v[2:3], off
	v_or_b32_e32 v5, 0x100, v0
	s_waitcnt vmcnt(0)
	v_cvt_f32_f16_e32 v6, v2
.LBB50_5:
	s_or_b64 exec, exec, s[4:5]
	v_cmp_gt_i32_e64 s[0:1], s6, v5
	s_and_saveexec_b64 s[4:5], s[0:1]
	s_cbranch_execz .LBB50_7
; %bb.6:
	v_add_u32_e32 v2, s2, v5
	v_mov_b32_e32 v3, 0
	v_lshlrev_b64 v[2:3], 1, v[2:3]
	v_mov_b32_e32 v4, s11
	v_add_co_u32_e64 v2, s[0:1], s10, v2
	v_addc_co_u32_e64 v3, s[0:1], v4, v3, s[0:1]
	global_load_ushort v2, v[2:3], off
	v_add_u32_e32 v5, 0x100, v5
	s_waitcnt vmcnt(0)
	v_cvt_f32_f16_e32 v10, v2
.LBB50_7:
	s_or_b64 exec, exec, s[4:5]
	v_cmp_gt_i32_e64 s[0:1], s6, v5
	v_mov_b32_e32 v7, 0
	v_mov_b32_e32 v11, 0
	s_and_saveexec_b64 s[4:5], s[0:1]
	s_cbranch_execz .LBB50_9
; %bb.8:
	v_add_u32_e32 v2, s2, v5
	v_mov_b32_e32 v3, 0
	v_lshlrev_b64 v[2:3], 1, v[2:3]
	v_mov_b32_e32 v4, s11
	v_add_co_u32_e64 v2, s[0:1], s10, v2
	v_addc_co_u32_e64 v3, s[0:1], v4, v3, s[0:1]
	global_load_ushort v2, v[2:3], off
	v_add_u32_e32 v5, 0x100, v5
	s_waitcnt vmcnt(0)
	v_cvt_f32_f16_e32 v11, v2
.LBB50_9:
	s_or_b64 exec, exec, s[4:5]
	v_cmp_gt_i32_e64 s[0:1], s6, v5
	s_and_saveexec_b64 s[4:5], s[0:1]
	s_cbranch_execz .LBB50_11
; %bb.10:
	v_add_u32_e32 v2, s2, v5
	v_mov_b32_e32 v3, 0
	v_lshlrev_b64 v[2:3], 1, v[2:3]
	v_mov_b32_e32 v4, s11
	v_add_co_u32_e64 v2, s[0:1], s10, v2
	v_addc_co_u32_e64 v3, s[0:1], v4, v3, s[0:1]
	global_load_ushort v2, v[2:3], off
	v_add_u32_e32 v5, 0x100, v5
	s_waitcnt vmcnt(0)
	v_cvt_f32_f16_e32 v7, v2
.LBB50_11:
	s_or_b64 exec, exec, s[4:5]
	v_cmp_gt_i32_e64 s[0:1], s6, v5
	v_mov_b32_e32 v3, 0
	v_mov_b32_e32 v9, 0
	s_and_saveexec_b64 s[4:5], s[0:1]
	s_cbranch_execz .LBB50_13
; %bb.12:
	v_add_u32_e32 v8, s2, v5
	v_mov_b32_e32 v9, 0
	v_lshlrev_b64 v[8:9], 1, v[8:9]
	v_mov_b32_e32 v2, s11
	v_add_co_u32_e64 v8, s[0:1], s10, v8
	v_addc_co_u32_e64 v9, s[0:1], v2, v9, s[0:1]
	global_load_ushort v2, v[8:9], off
	v_add_u32_e32 v5, 0x100, v5
	s_waitcnt vmcnt(0)
	v_cvt_f32_f16_e32 v9, v2
.LBB50_13:
	s_or_b64 exec, exec, s[4:5]
	v_cmp_gt_i32_e64 s[0:1], s6, v5
	s_and_saveexec_b64 s[4:5], s[0:1]
	s_cbranch_execz .LBB50_15
; %bb.14:
	v_add_u32_e32 v2, s2, v5
	v_mov_b32_e32 v3, 0
	v_lshlrev_b64 v[2:3], 1, v[2:3]
	v_mov_b32_e32 v4, s11
	v_add_co_u32_e64 v2, s[0:1], s10, v2
	v_addc_co_u32_e64 v3, s[0:1], v4, v3, s[0:1]
	global_load_ushort v2, v[2:3], off
	v_add_u32_e32 v5, 0x100, v5
	s_waitcnt vmcnt(0)
	v_cvt_f32_f16_e32 v3, v2
.LBB50_15:
	s_or_b64 exec, exec, s[4:5]
	v_cmp_gt_i32_e64 s[0:1], s6, v5
	v_mov_b32_e32 v2, 0
	v_mov_b32_e32 v4, 0
	s_and_saveexec_b64 s[4:5], s[0:1]
	s_cbranch_execnz .LBB50_42
; %bb.16:
	s_or_b64 exec, exec, s[4:5]
	v_cmp_gt_i32_e64 s[0:1], s6, v5
	s_and_saveexec_b64 s[4:5], s[0:1]
	s_cbranch_execnz .LBB50_43
.LBB50_17:
	s_or_b64 exec, exec, s[4:5]
                                        ; implicit-def: $vgpr5
	s_and_saveexec_b64 s[4:5], vcc
	s_cbranch_execz .LBB50_19
.LBB50_18:
	v_fma_f32 v5, |v6|, -0.5, 0.5
	v_mul_f32_e32 v8, v6, v6
	v_cmp_ge_f32_e64 s[0:1], |v6|, 0.5
	v_cndmask_b32_e64 v5, v8, v5, s[0:1]
	v_mov_b32_e32 v8, 0x3c5fc5da
	v_fmac_f32_e32 v8, 0x3d1c21a7, v5
	v_mov_b32_e32 v12, 0x3d034c3c
	v_fmac_f32_e32 v12, v5, v8
	;; [unrolled: 2-line block ×4, first 2 shown]
	v_sqrt_f32_e32 v8, v5
	v_mov_b32_e32 v13, 0x3e2aaaac
	v_fmac_f32_e32 v13, v5, v12
	v_mul_f32_e32 v5, v5, v13
	v_fmac_f32_e32 v8, v8, v5
	v_add_f32_e32 v8, v8, v8
	v_sub_f32_e32 v8, 0x3fc90fdb, v8
	v_fma_f32 v5, |v6|, v5, |v6|
	v_cmp_lt_f32_e64 s[0:1], |v6|, 0.5
	v_cndmask_b32_e64 v5, v8, v5, s[0:1]
	v_cvt_f16_f32_e32 v5, v5
	v_lshrrev_b32_e32 v6, 16, v6
	s_movk_i32 s0, 0x7fff
	v_bfi_b32 v5, s0, v5, v6
.LBB50_19:
	s_or_b64 exec, exec, s[4:5]
	v_or_b32_e32 v6, 0x100, v0
	v_cmp_gt_i32_e64 s[0:1], s6, v6
                                        ; implicit-def: $vgpr8
	s_and_saveexec_b64 s[4:5], s[0:1]
	s_cbranch_execz .LBB50_21
; %bb.20:
	v_fma_f32 v8, |v10|, -0.5, 0.5
	v_mul_f32_e32 v12, v10, v10
	v_cmp_ge_f32_e64 s[0:1], |v10|, 0.5
	v_cndmask_b32_e64 v8, v12, v8, s[0:1]
	v_mov_b32_e32 v12, 0x3c5fc5da
	v_fmac_f32_e32 v12, 0x3d1c21a7, v8
	v_mov_b32_e32 v13, 0x3d034c3c
	v_fmac_f32_e32 v13, v8, v12
	;; [unrolled: 2-line block ×4, first 2 shown]
	v_sqrt_f32_e32 v12, v8
	v_mov_b32_e32 v14, 0x3e2aaaac
	v_fmac_f32_e32 v14, v8, v13
	v_mul_f32_e32 v8, v8, v14
	v_fmac_f32_e32 v12, v12, v8
	v_add_f32_e32 v12, v12, v12
	v_sub_f32_e32 v12, 0x3fc90fdb, v12
	v_fma_f32 v8, |v10|, v8, |v10|
	v_cmp_lt_f32_e64 s[0:1], |v10|, 0.5
	v_cndmask_b32_e64 v8, v12, v8, s[0:1]
	v_cvt_f16_f32_e32 v8, v8
	v_lshrrev_b32_e32 v10, 16, v10
	s_movk_i32 s0, 0x7fff
	v_bfi_b32 v8, s0, v8, v10
.LBB50_21:
	s_or_b64 exec, exec, s[4:5]
	v_or_b32_e32 v10, 0x200, v0
	v_cmp_gt_i32_e64 s[0:1], s6, v10
                                        ; implicit-def: $vgpr10
	s_and_saveexec_b64 s[4:5], s[0:1]
	s_cbranch_execz .LBB50_23
; %bb.22:
	v_fma_f32 v10, |v11|, -0.5, 0.5
	v_mul_f32_e32 v12, v11, v11
	v_cmp_ge_f32_e64 s[0:1], |v11|, 0.5
	v_cndmask_b32_e64 v10, v12, v10, s[0:1]
	v_mov_b32_e32 v12, 0x3c5fc5da
	v_fmac_f32_e32 v12, 0x3d1c21a7, v10
	v_mov_b32_e32 v13, 0x3d034c3c
	v_fmac_f32_e32 v13, v10, v12
	;; [unrolled: 2-line block ×4, first 2 shown]
	v_sqrt_f32_e32 v12, v10
	v_mov_b32_e32 v14, 0x3e2aaaac
	v_fmac_f32_e32 v14, v10, v13
	v_mul_f32_e32 v10, v10, v14
	v_fmac_f32_e32 v12, v12, v10
	v_add_f32_e32 v12, v12, v12
	v_sub_f32_e32 v12, 0x3fc90fdb, v12
	v_fma_f32 v10, |v11|, v10, |v11|
	v_cmp_lt_f32_e64 s[0:1], |v11|, 0.5
	v_cndmask_b32_e64 v10, v12, v10, s[0:1]
	v_cvt_f16_f32_e32 v10, v10
	v_lshrrev_b32_e32 v11, 16, v11
	s_movk_i32 s0, 0x7fff
	v_bfi_b32 v10, s0, v10, v11
.LBB50_23:
	s_or_b64 exec, exec, s[4:5]
	v_or_b32_e32 v11, 0x300, v0
	v_cmp_gt_i32_e64 s[0:1], s6, v11
                                        ; implicit-def: $vgpr11
	s_and_saveexec_b64 s[4:5], s[0:1]
	s_cbranch_execz .LBB50_25
; %bb.24:
	v_fma_f32 v11, |v7|, -0.5, 0.5
	v_mul_f32_e32 v12, v7, v7
	v_cmp_ge_f32_e64 s[0:1], |v7|, 0.5
	v_cndmask_b32_e64 v11, v12, v11, s[0:1]
	v_mov_b32_e32 v12, 0x3c5fc5da
	v_fmac_f32_e32 v12, 0x3d1c21a7, v11
	v_mov_b32_e32 v13, 0x3d034c3c
	v_fmac_f32_e32 v13, v11, v12
	;; [unrolled: 2-line block ×4, first 2 shown]
	v_sqrt_f32_e32 v12, v11
	v_mov_b32_e32 v14, 0x3e2aaaac
	v_fmac_f32_e32 v14, v11, v13
	v_mul_f32_e32 v11, v11, v14
	v_fmac_f32_e32 v12, v12, v11
	v_add_f32_e32 v12, v12, v12
	v_sub_f32_e32 v12, 0x3fc90fdb, v12
	v_fma_f32 v11, |v7|, v11, |v7|
	v_cmp_lt_f32_e64 s[0:1], |v7|, 0.5
	v_cndmask_b32_e64 v11, v12, v11, s[0:1]
	v_cvt_f16_f32_e32 v11, v11
	v_lshrrev_b32_e32 v7, 16, v7
	s_movk_i32 s0, 0x7fff
	v_bfi_b32 v11, s0, v11, v7
.LBB50_25:
	s_or_b64 exec, exec, s[4:5]
	v_or_b32_e32 v7, 0x400, v0
	v_cmp_gt_i32_e64 s[0:1], s6, v7
                                        ; implicit-def: $vgpr7
	s_and_saveexec_b64 s[4:5], s[0:1]
	s_cbranch_execz .LBB50_27
; %bb.26:
	v_fma_f32 v7, |v9|, -0.5, 0.5
	v_mul_f32_e32 v12, v9, v9
	v_cmp_ge_f32_e64 s[0:1], |v9|, 0.5
	v_cndmask_b32_e64 v7, v12, v7, s[0:1]
	v_mov_b32_e32 v12, 0x3c5fc5da
	v_fmac_f32_e32 v12, 0x3d1c21a7, v7
	v_mov_b32_e32 v13, 0x3d034c3c
	v_fmac_f32_e32 v13, v7, v12
	;; [unrolled: 2-line block ×4, first 2 shown]
	v_sqrt_f32_e32 v12, v7
	v_mov_b32_e32 v14, 0x3e2aaaac
	v_fmac_f32_e32 v14, v7, v13
	v_mul_f32_e32 v7, v7, v14
	v_fmac_f32_e32 v12, v12, v7
	v_add_f32_e32 v12, v12, v12
	v_sub_f32_e32 v12, 0x3fc90fdb, v12
	v_fma_f32 v7, |v9|, v7, |v9|
	v_cmp_lt_f32_e64 s[0:1], |v9|, 0.5
	v_cndmask_b32_e64 v7, v12, v7, s[0:1]
	v_cvt_f16_f32_e32 v7, v7
	v_lshrrev_b32_e32 v9, 16, v9
	s_movk_i32 s0, 0x7fff
	v_bfi_b32 v7, s0, v7, v9
.LBB50_27:
	s_or_b64 exec, exec, s[4:5]
	v_or_b32_e32 v9, 0x500, v0
	v_cmp_gt_i32_e64 s[0:1], s6, v9
                                        ; implicit-def: $vgpr9
	s_and_saveexec_b64 s[4:5], s[0:1]
	s_cbranch_execz .LBB50_29
; %bb.28:
	v_fma_f32 v9, |v3|, -0.5, 0.5
	v_mul_f32_e32 v12, v3, v3
	v_cmp_ge_f32_e64 s[0:1], |v3|, 0.5
	v_cndmask_b32_e64 v9, v12, v9, s[0:1]
	v_mov_b32_e32 v12, 0x3c5fc5da
	v_fmac_f32_e32 v12, 0x3d1c21a7, v9
	v_mov_b32_e32 v13, 0x3d034c3c
	v_fmac_f32_e32 v13, v9, v12
	;; [unrolled: 2-line block ×4, first 2 shown]
	v_sqrt_f32_e32 v12, v9
	v_mov_b32_e32 v14, 0x3e2aaaac
	v_fmac_f32_e32 v14, v9, v13
	v_mul_f32_e32 v9, v9, v14
	v_fmac_f32_e32 v12, v12, v9
	v_add_f32_e32 v12, v12, v12
	v_sub_f32_e32 v12, 0x3fc90fdb, v12
	v_fma_f32 v9, |v3|, v9, |v3|
	v_cmp_lt_f32_e64 s[0:1], |v3|, 0.5
	v_cndmask_b32_e64 v9, v12, v9, s[0:1]
	v_cvt_f16_f32_e32 v9, v9
	v_lshrrev_b32_e32 v3, 16, v3
	s_movk_i32 s0, 0x7fff
	v_bfi_b32 v9, s0, v9, v3
.LBB50_29:
	s_or_b64 exec, exec, s[4:5]
	v_or_b32_e32 v3, 0x600, v0
	v_cmp_gt_i32_e64 s[0:1], s6, v3
                                        ; implicit-def: $vgpr3
	s_and_saveexec_b64 s[4:5], s[0:1]
	s_cbranch_execz .LBB50_31
; %bb.30:
	v_fma_f32 v3, |v4|, -0.5, 0.5
	v_mul_f32_e32 v12, v4, v4
	v_cmp_ge_f32_e64 s[0:1], |v4|, 0.5
	v_cndmask_b32_e64 v3, v12, v3, s[0:1]
	v_mov_b32_e32 v12, 0x3c5fc5da
	v_fmac_f32_e32 v12, 0x3d1c21a7, v3
	v_mov_b32_e32 v13, 0x3d034c3c
	v_fmac_f32_e32 v13, v3, v12
	;; [unrolled: 2-line block ×4, first 2 shown]
	v_sqrt_f32_e32 v12, v3
	v_mov_b32_e32 v14, 0x3e2aaaac
	v_fmac_f32_e32 v14, v3, v13
	v_mul_f32_e32 v3, v3, v14
	v_fmac_f32_e32 v12, v12, v3
	v_add_f32_e32 v12, v12, v12
	v_sub_f32_e32 v12, 0x3fc90fdb, v12
	v_fma_f32 v3, |v4|, v3, |v4|
	v_cmp_lt_f32_e64 s[0:1], |v4|, 0.5
	v_cndmask_b32_e64 v3, v12, v3, s[0:1]
	v_cvt_f16_f32_e32 v3, v3
	v_lshrrev_b32_e32 v4, 16, v4
	s_movk_i32 s0, 0x7fff
	v_bfi_b32 v3, s0, v3, v4
.LBB50_31:
	s_or_b64 exec, exec, s[4:5]
	v_or_b32_e32 v4, 0x700, v0
	v_cmp_gt_i32_e64 s[0:1], s6, v4
                                        ; implicit-def: $vgpr4
	s_and_saveexec_b64 s[4:5], s[0:1]
	s_cbranch_execnz .LBB50_44
; %bb.32:
	s_or_b64 exec, exec, s[4:5]
	s_and_saveexec_b64 s[0:1], vcc
	s_xor_b64 s[0:1], exec, s[0:1]
	s_cbranch_execnz .LBB50_45
.LBB50_33:
	s_or_b64 exec, exec, s[0:1]
	v_cmp_gt_i32_e32 vcc, s6, v0
	s_and_saveexec_b64 s[0:1], vcc
	s_cbranch_execnz .LBB50_46
.LBB50_34:
	s_or_b64 exec, exec, s[0:1]
	v_cmp_gt_i32_e32 vcc, s6, v0
	s_and_saveexec_b64 s[0:1], vcc
	s_cbranch_execnz .LBB50_47
.LBB50_35:
	s_or_b64 exec, exec, s[0:1]
	v_cmp_gt_i32_e32 vcc, s6, v0
	s_and_saveexec_b64 s[0:1], vcc
	s_cbranch_execnz .LBB50_48
.LBB50_36:
	s_or_b64 exec, exec, s[0:1]
	v_cmp_gt_i32_e32 vcc, s6, v0
	s_and_saveexec_b64 s[0:1], vcc
	s_cbranch_execnz .LBB50_49
.LBB50_37:
	s_or_b64 exec, exec, s[0:1]
	v_cmp_gt_i32_e32 vcc, s6, v0
	s_and_saveexec_b64 s[0:1], vcc
	s_cbranch_execnz .LBB50_50
.LBB50_38:
	s_or_b64 exec, exec, s[0:1]
	v_cmp_gt_i32_e32 vcc, s6, v0
	s_and_saveexec_b64 s[0:1], vcc
	s_cbranch_execnz .LBB50_51
.LBB50_39:
	s_or_b64 exec, exec, s[0:1]
	v_cmp_gt_i32_e32 vcc, s6, v0
	s_and_saveexec_b64 s[0:1], vcc
	s_cbranch_execz .LBB50_41
.LBB50_40:
	v_add_u32_e32 v0, s2, v0
	v_mov_b32_e32 v1, 0
	v_lshlrev_b64 v[0:1], 1, v[0:1]
	v_mov_b32_e32 v2, s9
	v_add_co_u32_e32 v0, vcc, s8, v0
	v_addc_co_u32_e32 v1, vcc, v2, v1, vcc
	global_store_short v[0:1], v4, off
.LBB50_41:
	s_endpgm
.LBB50_42:
	v_add_u32_e32 v12, s2, v5
	v_mov_b32_e32 v13, 0
	v_lshlrev_b64 v[12:13], 1, v[12:13]
	v_mov_b32_e32 v4, s11
	v_add_co_u32_e64 v12, s[0:1], s10, v12
	v_addc_co_u32_e64 v13, s[0:1], v4, v13, s[0:1]
	global_load_ushort v4, v[12:13], off
	v_add_u32_e32 v5, 0x100, v5
	s_waitcnt vmcnt(0)
	v_cvt_f32_f16_e32 v4, v4
	s_or_b64 exec, exec, s[4:5]
	v_cmp_gt_i32_e64 s[0:1], s6, v5
	s_and_saveexec_b64 s[4:5], s[0:1]
	s_cbranch_execz .LBB50_17
.LBB50_43:
	v_add_u32_e32 v12, s2, v5
	v_mov_b32_e32 v13, 0
	v_lshlrev_b64 v[12:13], 1, v[12:13]
	v_mov_b32_e32 v2, s11
	v_add_co_u32_e64 v12, s[0:1], s10, v12
	v_addc_co_u32_e64 v13, s[0:1], v2, v13, s[0:1]
	global_load_ushort v2, v[12:13], off
	s_waitcnt vmcnt(0)
	v_cvt_f32_f16_e32 v2, v2
	s_or_b64 exec, exec, s[4:5]
                                        ; implicit-def: $vgpr5
	s_and_saveexec_b64 s[4:5], vcc
	s_cbranch_execnz .LBB50_18
	s_branch .LBB50_19
.LBB50_44:
	v_fma_f32 v4, |v2|, -0.5, 0.5
	v_mul_f32_e32 v12, v2, v2
	v_cmp_ge_f32_e64 s[0:1], |v2|, 0.5
	v_cndmask_b32_e64 v4, v12, v4, s[0:1]
	v_mov_b32_e32 v12, 0x3c5fc5da
	v_fmac_f32_e32 v12, 0x3d1c21a7, v4
	v_mov_b32_e32 v13, 0x3d034c3c
	v_fmac_f32_e32 v13, v4, v12
	;; [unrolled: 2-line block ×4, first 2 shown]
	v_sqrt_f32_e32 v12, v4
	v_mov_b32_e32 v14, 0x3e2aaaac
	v_fmac_f32_e32 v14, v4, v13
	v_mul_f32_e32 v4, v4, v14
	v_fmac_f32_e32 v12, v12, v4
	v_add_f32_e32 v12, v12, v12
	v_sub_f32_e32 v12, 0x3fc90fdb, v12
	v_fma_f32 v4, |v2|, v4, |v2|
	v_cmp_lt_f32_e64 s[0:1], |v2|, 0.5
	v_cndmask_b32_e64 v4, v12, v4, s[0:1]
	v_cvt_f16_f32_e32 v4, v4
	v_lshrrev_b32_e32 v2, 16, v2
	s_movk_i32 s0, 0x7fff
	v_bfi_b32 v4, s0, v4, v2
	s_or_b64 exec, exec, s[4:5]
	s_and_saveexec_b64 s[0:1], vcc
	s_xor_b64 s[0:1], exec, s[0:1]
	s_cbranch_execz .LBB50_33
.LBB50_45:
	v_mov_b32_e32 v2, 0
	v_lshlrev_b64 v[0:1], 1, v[1:2]
	v_mov_b32_e32 v2, s9
	v_add_co_u32_e32 v0, vcc, s8, v0
	v_addc_co_u32_e32 v1, vcc, v2, v1, vcc
	global_store_short v[0:1], v5, off
	v_mov_b32_e32 v0, v6
	s_or_b64 exec, exec, s[0:1]
	v_cmp_gt_i32_e32 vcc, s6, v0
	s_and_saveexec_b64 s[0:1], vcc
	s_cbranch_execz .LBB50_34
.LBB50_46:
	v_add_u32_e32 v1, s2, v0
	v_mov_b32_e32 v2, 0
	v_lshlrev_b64 v[1:2], 1, v[1:2]
	v_mov_b32_e32 v5, s9
	v_add_co_u32_e32 v1, vcc, s8, v1
	v_addc_co_u32_e32 v2, vcc, v5, v2, vcc
	v_add_u32_e32 v0, 0x100, v0
	global_store_short v[1:2], v8, off
	s_or_b64 exec, exec, s[0:1]
	v_cmp_gt_i32_e32 vcc, s6, v0
	s_and_saveexec_b64 s[0:1], vcc
	s_cbranch_execz .LBB50_35
.LBB50_47:
	v_add_u32_e32 v1, s2, v0
	v_mov_b32_e32 v2, 0
	v_lshlrev_b64 v[1:2], 1, v[1:2]
	v_mov_b32_e32 v5, s9
	v_add_co_u32_e32 v1, vcc, s8, v1
	v_addc_co_u32_e32 v2, vcc, v5, v2, vcc
	v_add_u32_e32 v0, 0x100, v0
	global_store_short v[1:2], v10, off
	s_or_b64 exec, exec, s[0:1]
	v_cmp_gt_i32_e32 vcc, s6, v0
	s_and_saveexec_b64 s[0:1], vcc
	s_cbranch_execz .LBB50_36
.LBB50_48:
	v_add_u32_e32 v1, s2, v0
	v_mov_b32_e32 v2, 0
	v_lshlrev_b64 v[1:2], 1, v[1:2]
	v_mov_b32_e32 v5, s9
	v_add_co_u32_e32 v1, vcc, s8, v1
	v_addc_co_u32_e32 v2, vcc, v5, v2, vcc
	v_add_u32_e32 v0, 0x100, v0
	global_store_short v[1:2], v11, off
	s_or_b64 exec, exec, s[0:1]
	v_cmp_gt_i32_e32 vcc, s6, v0
	s_and_saveexec_b64 s[0:1], vcc
	s_cbranch_execz .LBB50_37
.LBB50_49:
	v_add_u32_e32 v1, s2, v0
	v_mov_b32_e32 v2, 0
	v_lshlrev_b64 v[1:2], 1, v[1:2]
	v_mov_b32_e32 v5, s9
	v_add_co_u32_e32 v1, vcc, s8, v1
	v_addc_co_u32_e32 v2, vcc, v5, v2, vcc
	v_add_u32_e32 v0, 0x100, v0
	global_store_short v[1:2], v7, off
	s_or_b64 exec, exec, s[0:1]
	v_cmp_gt_i32_e32 vcc, s6, v0
	s_and_saveexec_b64 s[0:1], vcc
	s_cbranch_execz .LBB50_38
.LBB50_50:
	v_add_u32_e32 v1, s2, v0
	v_mov_b32_e32 v2, 0
	v_lshlrev_b64 v[1:2], 1, v[1:2]
	v_mov_b32_e32 v5, s9
	v_add_co_u32_e32 v1, vcc, s8, v1
	v_addc_co_u32_e32 v2, vcc, v5, v2, vcc
	v_add_u32_e32 v0, 0x100, v0
	global_store_short v[1:2], v9, off
	s_or_b64 exec, exec, s[0:1]
	v_cmp_gt_i32_e32 vcc, s6, v0
	s_and_saveexec_b64 s[0:1], vcc
	s_cbranch_execz .LBB50_39
.LBB50_51:
	v_add_u32_e32 v1, s2, v0
	v_mov_b32_e32 v2, 0
	v_lshlrev_b64 v[1:2], 1, v[1:2]
	v_mov_b32_e32 v5, s9
	v_add_co_u32_e32 v1, vcc, s8, v1
	v_addc_co_u32_e32 v2, vcc, v5, v2, vcc
	v_add_u32_e32 v0, 0x100, v0
	global_store_short v[1:2], v3, off
	s_or_b64 exec, exec, s[0:1]
	v_cmp_gt_i32_e32 vcc, s6, v0
	s_and_saveexec_b64 s[0:1], vcc
	s_cbranch_execnz .LBB50_40
	s_branch .LBB50_41
	.section	.rodata,"a",@progbits
	.p2align	6, 0x0
	.amdhsa_kernel _ZN2at6native29vectorized_elementwise_kernelILi8EZZZNS0_16asin_kernel_cudaERNS_18TensorIteratorBaseEENKUlvE0_clEvENKUlvE1_clEvEUlN3c104HalfEE_St5arrayIPcLm2EEEEviT0_T1_
		.amdhsa_group_segment_fixed_size 0
		.amdhsa_private_segment_fixed_size 0
		.amdhsa_kernarg_size 24
		.amdhsa_user_sgpr_count 6
		.amdhsa_user_sgpr_private_segment_buffer 1
		.amdhsa_user_sgpr_dispatch_ptr 0
		.amdhsa_user_sgpr_queue_ptr 0
		.amdhsa_user_sgpr_kernarg_segment_ptr 1
		.amdhsa_user_sgpr_dispatch_id 0
		.amdhsa_user_sgpr_flat_scratch_init 0
		.amdhsa_user_sgpr_private_segment_size 0
		.amdhsa_uses_dynamic_stack 0
		.amdhsa_system_sgpr_private_segment_wavefront_offset 0
		.amdhsa_system_sgpr_workgroup_id_x 1
		.amdhsa_system_sgpr_workgroup_id_y 0
		.amdhsa_system_sgpr_workgroup_id_z 0
		.amdhsa_system_sgpr_workgroup_info 0
		.amdhsa_system_vgpr_workitem_id 0
		.amdhsa_next_free_vgpr 20
		.amdhsa_next_free_sgpr 12
		.amdhsa_reserve_vcc 1
		.amdhsa_reserve_flat_scratch 0
		.amdhsa_float_round_mode_32 0
		.amdhsa_float_round_mode_16_64 0
		.amdhsa_float_denorm_mode_32 3
		.amdhsa_float_denorm_mode_16_64 3
		.amdhsa_dx10_clamp 1
		.amdhsa_ieee_mode 1
		.amdhsa_fp16_overflow 0
		.amdhsa_exception_fp_ieee_invalid_op 0
		.amdhsa_exception_fp_denorm_src 0
		.amdhsa_exception_fp_ieee_div_zero 0
		.amdhsa_exception_fp_ieee_overflow 0
		.amdhsa_exception_fp_ieee_underflow 0
		.amdhsa_exception_fp_ieee_inexact 0
		.amdhsa_exception_int_div_zero 0
	.end_amdhsa_kernel
	.section	.text._ZN2at6native29vectorized_elementwise_kernelILi8EZZZNS0_16asin_kernel_cudaERNS_18TensorIteratorBaseEENKUlvE0_clEvENKUlvE1_clEvEUlN3c104HalfEE_St5arrayIPcLm2EEEEviT0_T1_,"axG",@progbits,_ZN2at6native29vectorized_elementwise_kernelILi8EZZZNS0_16asin_kernel_cudaERNS_18TensorIteratorBaseEENKUlvE0_clEvENKUlvE1_clEvEUlN3c104HalfEE_St5arrayIPcLm2EEEEviT0_T1_,comdat
.Lfunc_end50:
	.size	_ZN2at6native29vectorized_elementwise_kernelILi8EZZZNS0_16asin_kernel_cudaERNS_18TensorIteratorBaseEENKUlvE0_clEvENKUlvE1_clEvEUlN3c104HalfEE_St5arrayIPcLm2EEEEviT0_T1_, .Lfunc_end50-_ZN2at6native29vectorized_elementwise_kernelILi8EZZZNS0_16asin_kernel_cudaERNS_18TensorIteratorBaseEENKUlvE0_clEvENKUlvE1_clEvEUlN3c104HalfEE_St5arrayIPcLm2EEEEviT0_T1_
                                        ; -- End function
	.set _ZN2at6native29vectorized_elementwise_kernelILi8EZZZNS0_16asin_kernel_cudaERNS_18TensorIteratorBaseEENKUlvE0_clEvENKUlvE1_clEvEUlN3c104HalfEE_St5arrayIPcLm2EEEEviT0_T1_.num_vgpr, 20
	.set _ZN2at6native29vectorized_elementwise_kernelILi8EZZZNS0_16asin_kernel_cudaERNS_18TensorIteratorBaseEENKUlvE0_clEvENKUlvE1_clEvEUlN3c104HalfEE_St5arrayIPcLm2EEEEviT0_T1_.num_agpr, 0
	.set _ZN2at6native29vectorized_elementwise_kernelILi8EZZZNS0_16asin_kernel_cudaERNS_18TensorIteratorBaseEENKUlvE0_clEvENKUlvE1_clEvEUlN3c104HalfEE_St5arrayIPcLm2EEEEviT0_T1_.numbered_sgpr, 12
	.set _ZN2at6native29vectorized_elementwise_kernelILi8EZZZNS0_16asin_kernel_cudaERNS_18TensorIteratorBaseEENKUlvE0_clEvENKUlvE1_clEvEUlN3c104HalfEE_St5arrayIPcLm2EEEEviT0_T1_.num_named_barrier, 0
	.set _ZN2at6native29vectorized_elementwise_kernelILi8EZZZNS0_16asin_kernel_cudaERNS_18TensorIteratorBaseEENKUlvE0_clEvENKUlvE1_clEvEUlN3c104HalfEE_St5arrayIPcLm2EEEEviT0_T1_.private_seg_size, 0
	.set _ZN2at6native29vectorized_elementwise_kernelILi8EZZZNS0_16asin_kernel_cudaERNS_18TensorIteratorBaseEENKUlvE0_clEvENKUlvE1_clEvEUlN3c104HalfEE_St5arrayIPcLm2EEEEviT0_T1_.uses_vcc, 1
	.set _ZN2at6native29vectorized_elementwise_kernelILi8EZZZNS0_16asin_kernel_cudaERNS_18TensorIteratorBaseEENKUlvE0_clEvENKUlvE1_clEvEUlN3c104HalfEE_St5arrayIPcLm2EEEEviT0_T1_.uses_flat_scratch, 0
	.set _ZN2at6native29vectorized_elementwise_kernelILi8EZZZNS0_16asin_kernel_cudaERNS_18TensorIteratorBaseEENKUlvE0_clEvENKUlvE1_clEvEUlN3c104HalfEE_St5arrayIPcLm2EEEEviT0_T1_.has_dyn_sized_stack, 0
	.set _ZN2at6native29vectorized_elementwise_kernelILi8EZZZNS0_16asin_kernel_cudaERNS_18TensorIteratorBaseEENKUlvE0_clEvENKUlvE1_clEvEUlN3c104HalfEE_St5arrayIPcLm2EEEEviT0_T1_.has_recursion, 0
	.set _ZN2at6native29vectorized_elementwise_kernelILi8EZZZNS0_16asin_kernel_cudaERNS_18TensorIteratorBaseEENKUlvE0_clEvENKUlvE1_clEvEUlN3c104HalfEE_St5arrayIPcLm2EEEEviT0_T1_.has_indirect_call, 0
	.section	.AMDGPU.csdata,"",@progbits
; Kernel info:
; codeLenInByte = 4016
; TotalNumSgprs: 16
; NumVgprs: 20
; ScratchSize: 0
; MemoryBound: 0
; FloatMode: 240
; IeeeMode: 1
; LDSByteSize: 0 bytes/workgroup (compile time only)
; SGPRBlocks: 1
; VGPRBlocks: 4
; NumSGPRsForWavesPerEU: 16
; NumVGPRsForWavesPerEU: 20
; Occupancy: 10
; WaveLimiterHint : 0
; COMPUTE_PGM_RSRC2:SCRATCH_EN: 0
; COMPUTE_PGM_RSRC2:USER_SGPR: 6
; COMPUTE_PGM_RSRC2:TRAP_HANDLER: 0
; COMPUTE_PGM_RSRC2:TGID_X_EN: 1
; COMPUTE_PGM_RSRC2:TGID_Y_EN: 0
; COMPUTE_PGM_RSRC2:TGID_Z_EN: 0
; COMPUTE_PGM_RSRC2:TIDIG_COMP_CNT: 0
	.section	.text._ZN2at6native29vectorized_elementwise_kernelILi4EZZZNS0_16asin_kernel_cudaERNS_18TensorIteratorBaseEENKUlvE0_clEvENKUlvE1_clEvEUlN3c104HalfEE_St5arrayIPcLm2EEEEviT0_T1_,"axG",@progbits,_ZN2at6native29vectorized_elementwise_kernelILi4EZZZNS0_16asin_kernel_cudaERNS_18TensorIteratorBaseEENKUlvE0_clEvENKUlvE1_clEvEUlN3c104HalfEE_St5arrayIPcLm2EEEEviT0_T1_,comdat
	.globl	_ZN2at6native29vectorized_elementwise_kernelILi4EZZZNS0_16asin_kernel_cudaERNS_18TensorIteratorBaseEENKUlvE0_clEvENKUlvE1_clEvEUlN3c104HalfEE_St5arrayIPcLm2EEEEviT0_T1_ ; -- Begin function _ZN2at6native29vectorized_elementwise_kernelILi4EZZZNS0_16asin_kernel_cudaERNS_18TensorIteratorBaseEENKUlvE0_clEvENKUlvE1_clEvEUlN3c104HalfEE_St5arrayIPcLm2EEEEviT0_T1_
	.p2align	8
	.type	_ZN2at6native29vectorized_elementwise_kernelILi4EZZZNS0_16asin_kernel_cudaERNS_18TensorIteratorBaseEENKUlvE0_clEvENKUlvE1_clEvEUlN3c104HalfEE_St5arrayIPcLm2EEEEviT0_T1_,@function
_ZN2at6native29vectorized_elementwise_kernelILi4EZZZNS0_16asin_kernel_cudaERNS_18TensorIteratorBaseEENKUlvE0_clEvENKUlvE1_clEvEUlN3c104HalfEE_St5arrayIPcLm2EEEEviT0_T1_: ; @_ZN2at6native29vectorized_elementwise_kernelILi4EZZZNS0_16asin_kernel_cudaERNS_18TensorIteratorBaseEENKUlvE0_clEvENKUlvE1_clEvEUlN3c104HalfEE_St5arrayIPcLm2EEEEviT0_T1_
; %bb.0:
	s_load_dword s0, s[4:5], 0x0
	s_load_dwordx4 s[12:15], s[4:5], 0x8
	s_lshl_b32 s10, s6, 11
	s_waitcnt lgkmcnt(0)
	s_sub_i32 s18, s0, s10
	s_cmpk_gt_i32 s18, 0x7ff
	s_mov_b64 s[0:1], -1
	s_cbranch_scc0 .LBB51_2
; %bb.1:
	s_ashr_i32 s11, s10, 31
	s_lshl_b64 s[16:17], s[10:11], 1
	s_add_u32 s0, s14, s16
	s_addc_u32 s1, s15, s17
	v_lshlrev_b32_e32 v5, 3, v0
	global_load_dwordx2 v[1:2], v5, s[0:1]
	global_load_dwordx2 v[3:4], v5, s[0:1] offset:2048
	s_mov_b32 s11, -0.5
	v_mov_b32_e32 v6, 0.5
	v_mov_b32_e32 v15, 0x3d034c3c
	v_mov_b32_e32 v16, 0x3d3641b1
	;; [unrolled: 1-line block ×5, first 2 shown]
	s_waitcnt vmcnt(1)
	v_cvt_f32_f16_e32 v8, v1
	v_cvt_f32_f16_e32 v10, v2
	v_fma_mix_f32 v9, |v1|, s11, v6 op_sel_hi:[1,0,0]
	v_lshrrev_b32_e32 v7, 16, v1
	v_cmp_ge_f32_e64 s[0:1], |v8|, 0.5
	v_cmp_lt_f32_e64 vcc, |v8|, 0.5
	v_mul_f32_e32 v8, v8, v8
	v_fma_mix_f32 v11, |v2|, s11, v6 op_sel_hi:[1,0,0]
	s_waitcnt vmcnt(0)
	v_cvt_f32_f16_e32 v12, v3
	v_cndmask_b32_e64 v8, v8, v9, s[0:1]
	v_cmp_ge_f32_e64 s[2:3], |v10|, 0.5
	v_cmp_lt_f32_e64 s[0:1], |v10|, 0.5
	v_mul_f32_e32 v10, v10, v10
	v_cndmask_b32_e64 v10, v10, v11, s[2:3]
	v_cvt_f32_f16_e32 v11, v7
	v_fma_mix_f32 v9, |v3|, s11, v6 op_sel_hi:[1,0,0]
	v_cmp_ge_f32_e64 s[2:3], |v12|, 0.5
	v_cmp_lt_f32_e64 s[4:5], |v12|, 0.5
	v_mul_f32_e32 v12, v12, v12
	v_cndmask_b32_e64 v9, v12, v9, s[2:3]
	v_fma_mix_f32 v12, |v1|, s11, v6 op_sel:[1,0,0] op_sel_hi:[1,0,0]
	v_cmp_ge_f32_e64 s[2:3], |v11|, 0.5
	v_cmp_lt_f32_e64 s[6:7], |v11|, 0.5
	v_mul_f32_e32 v11, v11, v11
	v_cndmask_b32_e64 v11, v11, v12, s[2:3]
	v_lshrrev_b32_e32 v12, 16, v2
	v_cvt_f32_f16_e32 v13, v12
	v_fma_mix_f32 v14, |v2|, s11, v6 op_sel:[1,0,0] op_sel_hi:[1,0,0]
	v_fmac_f32_e32 v19, 0x3d1c21a7, v11
	v_fma_f32 v19, v11, v19, v15
	v_cmp_ge_f32_e64 s[2:3], |v13|, 0.5
	v_cmp_lt_f32_e64 s[8:9], |v13|, 0.5
	v_mul_f32_e32 v13, v13, v13
	v_cndmask_b32_e64 v13, v13, v14, s[2:3]
	v_mov_b32_e32 v14, 0x3c5fc5da
	v_fmac_f32_e32 v14, 0x3d1c21a7, v8
	v_fma_f32 v14, v8, v14, v15
	v_fma_f32 v14, v8, v14, v16
	;; [unrolled: 1-line block ×4, first 2 shown]
	v_mul_f32_e32 v14, v8, v14
	v_sqrt_f32_e32 v8, v8
	v_fma_f32 v19, v11, v19, v16
	v_fma_f32 v19, v11, v19, v17
	;; [unrolled: 1-line block ×3, first 2 shown]
	v_fmac_f32_e32 v8, v8, v14
	v_add_f32_e32 v8, v8, v8
	v_fma_mix_f32 v14, |v1|, v14, |v1| op_sel_hi:[1,0,1]
	v_sub_f32_e32 v8, 0x3fc90fdb, v8
	v_cndmask_b32_e32 v8, v8, v14, vcc
	v_mov_b32_e32 v14, 0x3c5fc5da
	v_fmac_f32_e32 v14, 0x3d1c21a7, v10
	v_fma_f32 v14, v10, v14, v15
	v_fma_f32 v14, v10, v14, v16
	;; [unrolled: 1-line block ×4, first 2 shown]
	v_mul_f32_e32 v14, v10, v14
	v_sqrt_f32_e32 v10, v10
	v_cvt_f16_f32_e32 v8, v8
	v_mul_f32_e32 v19, v11, v19
	v_fmac_f32_e32 v10, v10, v14
	v_add_f32_e32 v10, v10, v10
	v_fma_mix_f32 v14, |v2|, v14, |v2| op_sel_hi:[1,0,1]
	v_sub_f32_e32 v10, 0x3fc90fdb, v10
	v_cndmask_b32_e64 v10, v10, v14, s[0:1]
	v_mov_b32_e32 v14, 0x3c5fc5da
	v_fmac_f32_e32 v14, 0x3d1c21a7, v13
	v_fma_f32 v14, v13, v14, v15
	v_fma_f32 v14, v13, v14, v16
	;; [unrolled: 1-line block ×4, first 2 shown]
	v_mul_f32_e32 v14, v13, v14
	v_sqrt_f32_e32 v13, v13
	v_cvt_f16_f32_e32 v10, v10
	s_movk_i32 s0, 0x7fff
	v_bfi_b32 v8, s0, v8, v1
	v_fmac_f32_e32 v13, v13, v14
	v_fma_mix_f32 v14, |v2|, v14, |v2| op_sel:[1,0,1] op_sel_hi:[1,0,1]
	v_bfi_b32 v2, s0, v10, v2
	v_sqrt_f32_e32 v10, v11
	v_fma_mix_f32 v1, |v1|, v19, |v1| op_sel:[1,0,1] op_sel_hi:[1,0,1]
	v_fmac_f32_e32 v10, v10, v19
	v_add_f32_e32 v10, v10, v10
	v_sub_f32_e32 v10, 0x3fc90fdb, v10
	v_cndmask_b32_e64 v1, v10, v1, s[6:7]
	v_cvt_f16_f32_e32 v1, v1
	v_add_f32_e32 v10, v13, v13
	v_sub_f32_e32 v10, 0x3fc90fdb, v10
	v_cndmask_b32_e64 v10, v10, v14, s[8:9]
	v_bfi_b32 v1, s0, v1, v7
	v_cvt_f16_f32_e32 v7, v10
	v_mov_b32_e32 v10, 0x3c5fc5da
	v_fmac_f32_e32 v10, 0x3d1c21a7, v9
	v_fma_f32 v10, v9, v10, v15
	v_fma_f32 v10, v9, v10, v16
	;; [unrolled: 1-line block ×4, first 2 shown]
	v_mul_f32_e32 v10, v9, v10
	v_sqrt_f32_e32 v9, v9
	v_bfi_b32 v7, s0, v7, v12
	v_fma_mix_f32 v12, |v3|, s11, v6 op_sel:[1,0,0] op_sel_hi:[1,0,0]
	v_pack_b32_f16 v2, v2, v7
	v_fmac_f32_e32 v9, v9, v10
	v_add_f32_e32 v9, v9, v9
	v_sub_f32_e32 v9, 0x3fc90fdb, v9
	v_fma_mix_f32 v10, |v3|, v10, |v3| op_sel_hi:[1,0,1]
	v_cndmask_b32_e64 v9, v9, v10, s[4:5]
	v_lshrrev_b32_e32 v10, 16, v3
	v_cvt_f32_f16_e32 v11, v10
	v_cvt_f16_f32_e32 v9, v9
	v_pack_b32_f16 v1, v8, v1
	v_cmp_ge_f32_e64 vcc, |v11|, 0.5
	v_mul_f32_e32 v13, v11, v11
	v_cndmask_b32_e32 v12, v13, v12, vcc
	v_cmp_lt_f32_e64 vcc, |v11|, 0.5
	v_mov_b32_e32 v11, 0x3c5fc5da
	v_fmac_f32_e32 v11, 0x3d1c21a7, v12
	v_fma_f32 v11, v12, v11, v15
	v_fma_f32 v11, v12, v11, v16
	;; [unrolled: 1-line block ×4, first 2 shown]
	v_mul_f32_e32 v11, v12, v11
	v_sqrt_f32_e32 v12, v12
	v_fma_mix_f32 v13, |v4|, s11, v6 op_sel_hi:[1,0,0]
	v_fma_mix_f32 v6, |v4|, s11, v6 op_sel:[1,0,0] op_sel_hi:[1,0,0]
	v_fmac_f32_e32 v12, v12, v11
	v_add_f32_e32 v12, v12, v12
	v_sub_f32_e32 v12, 0x3fc90fdb, v12
	v_fma_mix_f32 v11, |v3|, v11, |v3| op_sel:[1,0,1] op_sel_hi:[1,0,1]
	v_cndmask_b32_e32 v11, v12, v11, vcc
	v_cvt_f32_f16_e32 v12, v4
	v_cvt_f16_f32_e32 v11, v11
	v_bfi_b32 v3, s0, v9, v3
	v_cmp_ge_f32_e64 vcc, |v12|, 0.5
	v_mul_f32_e32 v14, v12, v12
	v_cndmask_b32_e32 v13, v14, v13, vcc
	v_cmp_lt_f32_e64 vcc, |v12|, 0.5
	v_mov_b32_e32 v12, 0x3c5fc5da
	v_fmac_f32_e32 v12, 0x3d1c21a7, v13
	v_fma_f32 v12, v13, v12, v15
	v_fma_f32 v12, v13, v12, v16
	;; [unrolled: 1-line block ×4, first 2 shown]
	v_mul_f32_e32 v12, v13, v12
	v_sqrt_f32_e32 v13, v13
	v_bfi_b32 v10, s0, v11, v10
	v_fmac_f32_e32 v13, v13, v12
	v_add_f32_e32 v13, v13, v13
	v_sub_f32_e32 v13, 0x3fc90fdb, v13
	v_fma_mix_f32 v12, |v4|, v12, |v4| op_sel_hi:[1,0,1]
	v_cndmask_b32_e32 v12, v13, v12, vcc
	v_lshrrev_b32_e32 v13, 16, v4
	v_cvt_f32_f16_e32 v14, v13
	v_cvt_f16_f32_e32 v11, v12
	v_cmp_ge_f32_e64 vcc, |v14|, 0.5
	v_mul_f32_e32 v19, v14, v14
	v_cndmask_b32_e32 v6, v19, v6, vcc
	v_mov_b32_e32 v19, 0x3c5fc5da
	v_fmac_f32_e32 v19, 0x3d1c21a7, v6
	v_fmac_f32_e32 v15, v6, v19
	v_fmac_f32_e32 v16, v6, v15
	v_fmac_f32_e32 v17, v6, v16
	v_fmac_f32_e32 v18, v6, v17
	v_cmp_lt_f32_e64 vcc, |v14|, 0.5
	v_mul_f32_e32 v14, v6, v18
	v_sqrt_f32_e32 v6, v6
	v_fmac_f32_e32 v6, v6, v14
	v_add_f32_e32 v6, v6, v6
	v_sub_f32_e32 v6, 0x3fc90fdb, v6
	v_fma_mix_f32 v14, |v4|, v14, |v4| op_sel:[1,0,1] op_sel_hi:[1,0,1]
	v_cndmask_b32_e32 v6, v6, v14, vcc
	v_cvt_f16_f32_e32 v6, v6
	v_bfi_b32 v4, s0, v11, v4
	v_bfi_b32 v6, s0, v6, v13
	s_add_u32 s0, s12, s16
	s_addc_u32 s1, s13, s17
	global_store_dwordx2 v5, v[1:2], s[0:1]
	v_pack_b32_f16 v2, v4, v6
	v_pack_b32_f16 v1, v3, v10
	global_store_dwordx2 v5, v[1:2], s[0:1] offset:2048
	s_mov_b64 s[0:1], 0
.LBB51_2:
	s_andn2_b64 vcc, exec, s[0:1]
	s_cbranch_vccnz .LBB51_41
; %bb.3:
	v_cmp_gt_i32_e32 vcc, s18, v0
	v_mov_b32_e32 v10, 0
	v_or_b32_e32 v1, s10, v0
	v_mov_b32_e32 v6, 0
	v_mov_b32_e32 v5, v0
	s_and_saveexec_b64 s[2:3], vcc
	s_cbranch_execz .LBB51_5
; %bb.4:
	v_mov_b32_e32 v2, 0
	v_lshlrev_b64 v[2:3], 1, v[1:2]
	v_mov_b32_e32 v4, s15
	v_add_co_u32_e64 v2, s[0:1], s14, v2
	v_addc_co_u32_e64 v3, s[0:1], v4, v3, s[0:1]
	global_load_ushort v2, v[2:3], off
	v_or_b32_e32 v5, 0x100, v0
	s_waitcnt vmcnt(0)
	v_cvt_f32_f16_e32 v6, v2
.LBB51_5:
	s_or_b64 exec, exec, s[2:3]
	v_cmp_gt_i32_e64 s[0:1], s18, v5
	s_and_saveexec_b64 s[2:3], s[0:1]
	s_cbranch_execz .LBB51_7
; %bb.6:
	v_add_u32_e32 v2, s10, v5
	v_mov_b32_e32 v3, 0
	v_lshlrev_b64 v[2:3], 1, v[2:3]
	v_mov_b32_e32 v4, s15
	v_add_co_u32_e64 v2, s[0:1], s14, v2
	v_addc_co_u32_e64 v3, s[0:1], v4, v3, s[0:1]
	global_load_ushort v2, v[2:3], off
	v_add_u32_e32 v5, 0x100, v5
	s_waitcnt vmcnt(0)
	v_cvt_f32_f16_e32 v10, v2
.LBB51_7:
	s_or_b64 exec, exec, s[2:3]
	v_cmp_gt_i32_e64 s[0:1], s18, v5
	v_mov_b32_e32 v7, 0
	v_mov_b32_e32 v11, 0
	s_and_saveexec_b64 s[2:3], s[0:1]
	s_cbranch_execz .LBB51_9
; %bb.8:
	v_add_u32_e32 v2, s10, v5
	v_mov_b32_e32 v3, 0
	v_lshlrev_b64 v[2:3], 1, v[2:3]
	v_mov_b32_e32 v4, s15
	v_add_co_u32_e64 v2, s[0:1], s14, v2
	v_addc_co_u32_e64 v3, s[0:1], v4, v3, s[0:1]
	global_load_ushort v2, v[2:3], off
	v_add_u32_e32 v5, 0x100, v5
	s_waitcnt vmcnt(0)
	v_cvt_f32_f16_e32 v11, v2
.LBB51_9:
	s_or_b64 exec, exec, s[2:3]
	v_cmp_gt_i32_e64 s[0:1], s18, v5
	s_and_saveexec_b64 s[2:3], s[0:1]
	s_cbranch_execz .LBB51_11
; %bb.10:
	v_add_u32_e32 v2, s10, v5
	v_mov_b32_e32 v3, 0
	v_lshlrev_b64 v[2:3], 1, v[2:3]
	v_mov_b32_e32 v4, s15
	v_add_co_u32_e64 v2, s[0:1], s14, v2
	v_addc_co_u32_e64 v3, s[0:1], v4, v3, s[0:1]
	global_load_ushort v2, v[2:3], off
	v_add_u32_e32 v5, 0x100, v5
	s_waitcnt vmcnt(0)
	v_cvt_f32_f16_e32 v7, v2
.LBB51_11:
	s_or_b64 exec, exec, s[2:3]
	v_cmp_gt_i32_e64 s[0:1], s18, v5
	v_mov_b32_e32 v3, 0
	v_mov_b32_e32 v9, 0
	s_and_saveexec_b64 s[2:3], s[0:1]
	s_cbranch_execz .LBB51_13
; %bb.12:
	v_add_u32_e32 v8, s10, v5
	v_mov_b32_e32 v9, 0
	v_lshlrev_b64 v[8:9], 1, v[8:9]
	v_mov_b32_e32 v2, s15
	v_add_co_u32_e64 v8, s[0:1], s14, v8
	v_addc_co_u32_e64 v9, s[0:1], v2, v9, s[0:1]
	global_load_ushort v2, v[8:9], off
	v_add_u32_e32 v5, 0x100, v5
	s_waitcnt vmcnt(0)
	v_cvt_f32_f16_e32 v9, v2
.LBB51_13:
	s_or_b64 exec, exec, s[2:3]
	v_cmp_gt_i32_e64 s[0:1], s18, v5
	s_and_saveexec_b64 s[2:3], s[0:1]
	s_cbranch_execz .LBB51_15
; %bb.14:
	v_add_u32_e32 v2, s10, v5
	v_mov_b32_e32 v3, 0
	v_lshlrev_b64 v[2:3], 1, v[2:3]
	v_mov_b32_e32 v4, s15
	v_add_co_u32_e64 v2, s[0:1], s14, v2
	v_addc_co_u32_e64 v3, s[0:1], v4, v3, s[0:1]
	global_load_ushort v2, v[2:3], off
	v_add_u32_e32 v5, 0x100, v5
	s_waitcnt vmcnt(0)
	v_cvt_f32_f16_e32 v3, v2
.LBB51_15:
	s_or_b64 exec, exec, s[2:3]
	v_cmp_gt_i32_e64 s[0:1], s18, v5
	v_mov_b32_e32 v2, 0
	v_mov_b32_e32 v4, 0
	s_and_saveexec_b64 s[2:3], s[0:1]
	s_cbranch_execnz .LBB51_42
; %bb.16:
	s_or_b64 exec, exec, s[2:3]
	v_cmp_gt_i32_e64 s[0:1], s18, v5
	s_and_saveexec_b64 s[2:3], s[0:1]
	s_cbranch_execnz .LBB51_43
.LBB51_17:
	s_or_b64 exec, exec, s[2:3]
                                        ; implicit-def: $vgpr5
	s_and_saveexec_b64 s[2:3], vcc
	s_cbranch_execz .LBB51_19
.LBB51_18:
	v_fma_f32 v5, |v6|, -0.5, 0.5
	v_mul_f32_e32 v8, v6, v6
	v_cmp_ge_f32_e64 s[0:1], |v6|, 0.5
	v_cndmask_b32_e64 v5, v8, v5, s[0:1]
	v_mov_b32_e32 v8, 0x3c5fc5da
	v_fmac_f32_e32 v8, 0x3d1c21a7, v5
	v_mov_b32_e32 v12, 0x3d034c3c
	v_fmac_f32_e32 v12, v5, v8
	;; [unrolled: 2-line block ×4, first 2 shown]
	v_sqrt_f32_e32 v8, v5
	v_mov_b32_e32 v13, 0x3e2aaaac
	v_fmac_f32_e32 v13, v5, v12
	v_mul_f32_e32 v5, v5, v13
	v_fmac_f32_e32 v8, v8, v5
	v_add_f32_e32 v8, v8, v8
	v_sub_f32_e32 v8, 0x3fc90fdb, v8
	v_fma_f32 v5, |v6|, v5, |v6|
	v_cmp_lt_f32_e64 s[0:1], |v6|, 0.5
	v_cndmask_b32_e64 v5, v8, v5, s[0:1]
	v_cvt_f16_f32_e32 v5, v5
	v_lshrrev_b32_e32 v6, 16, v6
	s_movk_i32 s0, 0x7fff
	v_bfi_b32 v5, s0, v5, v6
.LBB51_19:
	s_or_b64 exec, exec, s[2:3]
	v_or_b32_e32 v6, 0x100, v0
	v_cmp_gt_i32_e64 s[0:1], s18, v6
                                        ; implicit-def: $vgpr8
	s_and_saveexec_b64 s[2:3], s[0:1]
	s_cbranch_execz .LBB51_21
; %bb.20:
	v_fma_f32 v8, |v10|, -0.5, 0.5
	v_mul_f32_e32 v12, v10, v10
	v_cmp_ge_f32_e64 s[0:1], |v10|, 0.5
	v_cndmask_b32_e64 v8, v12, v8, s[0:1]
	v_mov_b32_e32 v12, 0x3c5fc5da
	v_fmac_f32_e32 v12, 0x3d1c21a7, v8
	v_mov_b32_e32 v13, 0x3d034c3c
	v_fmac_f32_e32 v13, v8, v12
	;; [unrolled: 2-line block ×4, first 2 shown]
	v_sqrt_f32_e32 v12, v8
	v_mov_b32_e32 v14, 0x3e2aaaac
	v_fmac_f32_e32 v14, v8, v13
	v_mul_f32_e32 v8, v8, v14
	v_fmac_f32_e32 v12, v12, v8
	v_add_f32_e32 v12, v12, v12
	v_sub_f32_e32 v12, 0x3fc90fdb, v12
	v_fma_f32 v8, |v10|, v8, |v10|
	v_cmp_lt_f32_e64 s[0:1], |v10|, 0.5
	v_cndmask_b32_e64 v8, v12, v8, s[0:1]
	v_cvt_f16_f32_e32 v8, v8
	v_lshrrev_b32_e32 v10, 16, v10
	s_movk_i32 s0, 0x7fff
	v_bfi_b32 v8, s0, v8, v10
.LBB51_21:
	s_or_b64 exec, exec, s[2:3]
	v_or_b32_e32 v10, 0x200, v0
	v_cmp_gt_i32_e64 s[0:1], s18, v10
                                        ; implicit-def: $vgpr10
	s_and_saveexec_b64 s[2:3], s[0:1]
	s_cbranch_execz .LBB51_23
; %bb.22:
	v_fma_f32 v10, |v11|, -0.5, 0.5
	v_mul_f32_e32 v12, v11, v11
	v_cmp_ge_f32_e64 s[0:1], |v11|, 0.5
	v_cndmask_b32_e64 v10, v12, v10, s[0:1]
	v_mov_b32_e32 v12, 0x3c5fc5da
	v_fmac_f32_e32 v12, 0x3d1c21a7, v10
	v_mov_b32_e32 v13, 0x3d034c3c
	v_fmac_f32_e32 v13, v10, v12
	;; [unrolled: 2-line block ×4, first 2 shown]
	v_sqrt_f32_e32 v12, v10
	v_mov_b32_e32 v14, 0x3e2aaaac
	v_fmac_f32_e32 v14, v10, v13
	v_mul_f32_e32 v10, v10, v14
	v_fmac_f32_e32 v12, v12, v10
	v_add_f32_e32 v12, v12, v12
	v_sub_f32_e32 v12, 0x3fc90fdb, v12
	v_fma_f32 v10, |v11|, v10, |v11|
	v_cmp_lt_f32_e64 s[0:1], |v11|, 0.5
	v_cndmask_b32_e64 v10, v12, v10, s[0:1]
	v_cvt_f16_f32_e32 v10, v10
	v_lshrrev_b32_e32 v11, 16, v11
	s_movk_i32 s0, 0x7fff
	v_bfi_b32 v10, s0, v10, v11
.LBB51_23:
	s_or_b64 exec, exec, s[2:3]
	v_or_b32_e32 v11, 0x300, v0
	v_cmp_gt_i32_e64 s[0:1], s18, v11
                                        ; implicit-def: $vgpr11
	s_and_saveexec_b64 s[2:3], s[0:1]
	s_cbranch_execz .LBB51_25
; %bb.24:
	v_fma_f32 v11, |v7|, -0.5, 0.5
	v_mul_f32_e32 v12, v7, v7
	v_cmp_ge_f32_e64 s[0:1], |v7|, 0.5
	v_cndmask_b32_e64 v11, v12, v11, s[0:1]
	v_mov_b32_e32 v12, 0x3c5fc5da
	v_fmac_f32_e32 v12, 0x3d1c21a7, v11
	v_mov_b32_e32 v13, 0x3d034c3c
	v_fmac_f32_e32 v13, v11, v12
	;; [unrolled: 2-line block ×4, first 2 shown]
	v_sqrt_f32_e32 v12, v11
	v_mov_b32_e32 v14, 0x3e2aaaac
	v_fmac_f32_e32 v14, v11, v13
	v_mul_f32_e32 v11, v11, v14
	v_fmac_f32_e32 v12, v12, v11
	v_add_f32_e32 v12, v12, v12
	v_sub_f32_e32 v12, 0x3fc90fdb, v12
	v_fma_f32 v11, |v7|, v11, |v7|
	v_cmp_lt_f32_e64 s[0:1], |v7|, 0.5
	v_cndmask_b32_e64 v11, v12, v11, s[0:1]
	v_cvt_f16_f32_e32 v11, v11
	v_lshrrev_b32_e32 v7, 16, v7
	s_movk_i32 s0, 0x7fff
	v_bfi_b32 v11, s0, v11, v7
.LBB51_25:
	s_or_b64 exec, exec, s[2:3]
	v_or_b32_e32 v7, 0x400, v0
	v_cmp_gt_i32_e64 s[0:1], s18, v7
                                        ; implicit-def: $vgpr7
	s_and_saveexec_b64 s[2:3], s[0:1]
	s_cbranch_execz .LBB51_27
; %bb.26:
	v_fma_f32 v7, |v9|, -0.5, 0.5
	v_mul_f32_e32 v12, v9, v9
	v_cmp_ge_f32_e64 s[0:1], |v9|, 0.5
	v_cndmask_b32_e64 v7, v12, v7, s[0:1]
	v_mov_b32_e32 v12, 0x3c5fc5da
	v_fmac_f32_e32 v12, 0x3d1c21a7, v7
	v_mov_b32_e32 v13, 0x3d034c3c
	v_fmac_f32_e32 v13, v7, v12
	;; [unrolled: 2-line block ×4, first 2 shown]
	v_sqrt_f32_e32 v12, v7
	v_mov_b32_e32 v14, 0x3e2aaaac
	v_fmac_f32_e32 v14, v7, v13
	v_mul_f32_e32 v7, v7, v14
	v_fmac_f32_e32 v12, v12, v7
	v_add_f32_e32 v12, v12, v12
	v_sub_f32_e32 v12, 0x3fc90fdb, v12
	v_fma_f32 v7, |v9|, v7, |v9|
	v_cmp_lt_f32_e64 s[0:1], |v9|, 0.5
	v_cndmask_b32_e64 v7, v12, v7, s[0:1]
	v_cvt_f16_f32_e32 v7, v7
	v_lshrrev_b32_e32 v9, 16, v9
	s_movk_i32 s0, 0x7fff
	v_bfi_b32 v7, s0, v7, v9
.LBB51_27:
	s_or_b64 exec, exec, s[2:3]
	v_or_b32_e32 v9, 0x500, v0
	v_cmp_gt_i32_e64 s[0:1], s18, v9
                                        ; implicit-def: $vgpr9
	s_and_saveexec_b64 s[2:3], s[0:1]
	s_cbranch_execz .LBB51_29
; %bb.28:
	v_fma_f32 v9, |v3|, -0.5, 0.5
	v_mul_f32_e32 v12, v3, v3
	v_cmp_ge_f32_e64 s[0:1], |v3|, 0.5
	v_cndmask_b32_e64 v9, v12, v9, s[0:1]
	v_mov_b32_e32 v12, 0x3c5fc5da
	v_fmac_f32_e32 v12, 0x3d1c21a7, v9
	v_mov_b32_e32 v13, 0x3d034c3c
	v_fmac_f32_e32 v13, v9, v12
	;; [unrolled: 2-line block ×4, first 2 shown]
	v_sqrt_f32_e32 v12, v9
	v_mov_b32_e32 v14, 0x3e2aaaac
	v_fmac_f32_e32 v14, v9, v13
	v_mul_f32_e32 v9, v9, v14
	v_fmac_f32_e32 v12, v12, v9
	v_add_f32_e32 v12, v12, v12
	v_sub_f32_e32 v12, 0x3fc90fdb, v12
	v_fma_f32 v9, |v3|, v9, |v3|
	v_cmp_lt_f32_e64 s[0:1], |v3|, 0.5
	v_cndmask_b32_e64 v9, v12, v9, s[0:1]
	v_cvt_f16_f32_e32 v9, v9
	v_lshrrev_b32_e32 v3, 16, v3
	s_movk_i32 s0, 0x7fff
	v_bfi_b32 v9, s0, v9, v3
.LBB51_29:
	s_or_b64 exec, exec, s[2:3]
	v_or_b32_e32 v3, 0x600, v0
	v_cmp_gt_i32_e64 s[0:1], s18, v3
                                        ; implicit-def: $vgpr3
	s_and_saveexec_b64 s[2:3], s[0:1]
	s_cbranch_execz .LBB51_31
; %bb.30:
	v_fma_f32 v3, |v4|, -0.5, 0.5
	v_mul_f32_e32 v12, v4, v4
	v_cmp_ge_f32_e64 s[0:1], |v4|, 0.5
	v_cndmask_b32_e64 v3, v12, v3, s[0:1]
	v_mov_b32_e32 v12, 0x3c5fc5da
	v_fmac_f32_e32 v12, 0x3d1c21a7, v3
	v_mov_b32_e32 v13, 0x3d034c3c
	v_fmac_f32_e32 v13, v3, v12
	;; [unrolled: 2-line block ×4, first 2 shown]
	v_sqrt_f32_e32 v12, v3
	v_mov_b32_e32 v14, 0x3e2aaaac
	v_fmac_f32_e32 v14, v3, v13
	v_mul_f32_e32 v3, v3, v14
	v_fmac_f32_e32 v12, v12, v3
	v_add_f32_e32 v12, v12, v12
	v_sub_f32_e32 v12, 0x3fc90fdb, v12
	v_fma_f32 v3, |v4|, v3, |v4|
	v_cmp_lt_f32_e64 s[0:1], |v4|, 0.5
	v_cndmask_b32_e64 v3, v12, v3, s[0:1]
	v_cvt_f16_f32_e32 v3, v3
	v_lshrrev_b32_e32 v4, 16, v4
	s_movk_i32 s0, 0x7fff
	v_bfi_b32 v3, s0, v3, v4
.LBB51_31:
	s_or_b64 exec, exec, s[2:3]
	v_or_b32_e32 v4, 0x700, v0
	v_cmp_gt_i32_e64 s[0:1], s18, v4
                                        ; implicit-def: $vgpr4
	s_and_saveexec_b64 s[2:3], s[0:1]
	s_cbranch_execnz .LBB51_44
; %bb.32:
	s_or_b64 exec, exec, s[2:3]
	s_and_saveexec_b64 s[0:1], vcc
	s_xor_b64 s[0:1], exec, s[0:1]
	s_cbranch_execnz .LBB51_45
.LBB51_33:
	s_or_b64 exec, exec, s[0:1]
	v_cmp_gt_i32_e32 vcc, s18, v0
	s_and_saveexec_b64 s[0:1], vcc
	s_cbranch_execnz .LBB51_46
.LBB51_34:
	s_or_b64 exec, exec, s[0:1]
	v_cmp_gt_i32_e32 vcc, s18, v0
	s_and_saveexec_b64 s[0:1], vcc
	s_cbranch_execnz .LBB51_47
.LBB51_35:
	s_or_b64 exec, exec, s[0:1]
	v_cmp_gt_i32_e32 vcc, s18, v0
	s_and_saveexec_b64 s[0:1], vcc
	s_cbranch_execnz .LBB51_48
.LBB51_36:
	s_or_b64 exec, exec, s[0:1]
	v_cmp_gt_i32_e32 vcc, s18, v0
	s_and_saveexec_b64 s[0:1], vcc
	s_cbranch_execnz .LBB51_49
.LBB51_37:
	s_or_b64 exec, exec, s[0:1]
	v_cmp_gt_i32_e32 vcc, s18, v0
	s_and_saveexec_b64 s[0:1], vcc
	s_cbranch_execnz .LBB51_50
.LBB51_38:
	s_or_b64 exec, exec, s[0:1]
	v_cmp_gt_i32_e32 vcc, s18, v0
	s_and_saveexec_b64 s[0:1], vcc
	s_cbranch_execnz .LBB51_51
.LBB51_39:
	s_or_b64 exec, exec, s[0:1]
	v_cmp_gt_i32_e32 vcc, s18, v0
	s_and_saveexec_b64 s[0:1], vcc
	s_cbranch_execz .LBB51_41
.LBB51_40:
	v_add_u32_e32 v0, s10, v0
	v_mov_b32_e32 v1, 0
	v_lshlrev_b64 v[0:1], 1, v[0:1]
	v_mov_b32_e32 v2, s13
	v_add_co_u32_e32 v0, vcc, s12, v0
	v_addc_co_u32_e32 v1, vcc, v2, v1, vcc
	global_store_short v[0:1], v4, off
.LBB51_41:
	s_endpgm
.LBB51_42:
	v_add_u32_e32 v12, s10, v5
	v_mov_b32_e32 v13, 0
	v_lshlrev_b64 v[12:13], 1, v[12:13]
	v_mov_b32_e32 v4, s15
	v_add_co_u32_e64 v12, s[0:1], s14, v12
	v_addc_co_u32_e64 v13, s[0:1], v4, v13, s[0:1]
	global_load_ushort v4, v[12:13], off
	v_add_u32_e32 v5, 0x100, v5
	s_waitcnt vmcnt(0)
	v_cvt_f32_f16_e32 v4, v4
	s_or_b64 exec, exec, s[2:3]
	v_cmp_gt_i32_e64 s[0:1], s18, v5
	s_and_saveexec_b64 s[2:3], s[0:1]
	s_cbranch_execz .LBB51_17
.LBB51_43:
	v_add_u32_e32 v12, s10, v5
	v_mov_b32_e32 v13, 0
	v_lshlrev_b64 v[12:13], 1, v[12:13]
	v_mov_b32_e32 v2, s15
	v_add_co_u32_e64 v12, s[0:1], s14, v12
	v_addc_co_u32_e64 v13, s[0:1], v2, v13, s[0:1]
	global_load_ushort v2, v[12:13], off
	s_waitcnt vmcnt(0)
	v_cvt_f32_f16_e32 v2, v2
	s_or_b64 exec, exec, s[2:3]
                                        ; implicit-def: $vgpr5
	s_and_saveexec_b64 s[2:3], vcc
	s_cbranch_execnz .LBB51_18
	s_branch .LBB51_19
.LBB51_44:
	v_fma_f32 v4, |v2|, -0.5, 0.5
	v_mul_f32_e32 v12, v2, v2
	v_cmp_ge_f32_e64 s[0:1], |v2|, 0.5
	v_cndmask_b32_e64 v4, v12, v4, s[0:1]
	v_mov_b32_e32 v12, 0x3c5fc5da
	v_fmac_f32_e32 v12, 0x3d1c21a7, v4
	v_mov_b32_e32 v13, 0x3d034c3c
	v_fmac_f32_e32 v13, v4, v12
	v_mov_b32_e32 v12, 0x3d3641b1
	v_fmac_f32_e32 v12, v4, v13
	v_mov_b32_e32 v13, 0x3d999bc8
	v_fmac_f32_e32 v13, v4, v12
	v_sqrt_f32_e32 v12, v4
	v_mov_b32_e32 v14, 0x3e2aaaac
	v_fmac_f32_e32 v14, v4, v13
	v_mul_f32_e32 v4, v4, v14
	v_fmac_f32_e32 v12, v12, v4
	v_add_f32_e32 v12, v12, v12
	v_sub_f32_e32 v12, 0x3fc90fdb, v12
	v_fma_f32 v4, |v2|, v4, |v2|
	v_cmp_lt_f32_e64 s[0:1], |v2|, 0.5
	v_cndmask_b32_e64 v4, v12, v4, s[0:1]
	v_cvt_f16_f32_e32 v4, v4
	v_lshrrev_b32_e32 v2, 16, v2
	s_movk_i32 s0, 0x7fff
	v_bfi_b32 v4, s0, v4, v2
	s_or_b64 exec, exec, s[2:3]
	s_and_saveexec_b64 s[0:1], vcc
	s_xor_b64 s[0:1], exec, s[0:1]
	s_cbranch_execz .LBB51_33
.LBB51_45:
	v_mov_b32_e32 v2, 0
	v_lshlrev_b64 v[0:1], 1, v[1:2]
	v_mov_b32_e32 v2, s13
	v_add_co_u32_e32 v0, vcc, s12, v0
	v_addc_co_u32_e32 v1, vcc, v2, v1, vcc
	global_store_short v[0:1], v5, off
	v_mov_b32_e32 v0, v6
	s_or_b64 exec, exec, s[0:1]
	v_cmp_gt_i32_e32 vcc, s18, v0
	s_and_saveexec_b64 s[0:1], vcc
	s_cbranch_execz .LBB51_34
.LBB51_46:
	v_add_u32_e32 v1, s10, v0
	v_mov_b32_e32 v2, 0
	v_lshlrev_b64 v[1:2], 1, v[1:2]
	v_mov_b32_e32 v5, s13
	v_add_co_u32_e32 v1, vcc, s12, v1
	v_addc_co_u32_e32 v2, vcc, v5, v2, vcc
	v_add_u32_e32 v0, 0x100, v0
	global_store_short v[1:2], v8, off
	s_or_b64 exec, exec, s[0:1]
	v_cmp_gt_i32_e32 vcc, s18, v0
	s_and_saveexec_b64 s[0:1], vcc
	s_cbranch_execz .LBB51_35
.LBB51_47:
	v_add_u32_e32 v1, s10, v0
	v_mov_b32_e32 v2, 0
	v_lshlrev_b64 v[1:2], 1, v[1:2]
	v_mov_b32_e32 v5, s13
	v_add_co_u32_e32 v1, vcc, s12, v1
	v_addc_co_u32_e32 v2, vcc, v5, v2, vcc
	v_add_u32_e32 v0, 0x100, v0
	global_store_short v[1:2], v10, off
	s_or_b64 exec, exec, s[0:1]
	v_cmp_gt_i32_e32 vcc, s18, v0
	s_and_saveexec_b64 s[0:1], vcc
	s_cbranch_execz .LBB51_36
.LBB51_48:
	v_add_u32_e32 v1, s10, v0
	v_mov_b32_e32 v2, 0
	v_lshlrev_b64 v[1:2], 1, v[1:2]
	v_mov_b32_e32 v5, s13
	v_add_co_u32_e32 v1, vcc, s12, v1
	v_addc_co_u32_e32 v2, vcc, v5, v2, vcc
	v_add_u32_e32 v0, 0x100, v0
	global_store_short v[1:2], v11, off
	s_or_b64 exec, exec, s[0:1]
	v_cmp_gt_i32_e32 vcc, s18, v0
	s_and_saveexec_b64 s[0:1], vcc
	s_cbranch_execz .LBB51_37
.LBB51_49:
	v_add_u32_e32 v1, s10, v0
	v_mov_b32_e32 v2, 0
	v_lshlrev_b64 v[1:2], 1, v[1:2]
	v_mov_b32_e32 v5, s13
	v_add_co_u32_e32 v1, vcc, s12, v1
	v_addc_co_u32_e32 v2, vcc, v5, v2, vcc
	v_add_u32_e32 v0, 0x100, v0
	global_store_short v[1:2], v7, off
	s_or_b64 exec, exec, s[0:1]
	v_cmp_gt_i32_e32 vcc, s18, v0
	s_and_saveexec_b64 s[0:1], vcc
	s_cbranch_execz .LBB51_38
.LBB51_50:
	v_add_u32_e32 v1, s10, v0
	v_mov_b32_e32 v2, 0
	v_lshlrev_b64 v[1:2], 1, v[1:2]
	v_mov_b32_e32 v5, s13
	v_add_co_u32_e32 v1, vcc, s12, v1
	v_addc_co_u32_e32 v2, vcc, v5, v2, vcc
	v_add_u32_e32 v0, 0x100, v0
	global_store_short v[1:2], v9, off
	s_or_b64 exec, exec, s[0:1]
	v_cmp_gt_i32_e32 vcc, s18, v0
	s_and_saveexec_b64 s[0:1], vcc
	s_cbranch_execz .LBB51_39
.LBB51_51:
	v_add_u32_e32 v1, s10, v0
	v_mov_b32_e32 v2, 0
	v_lshlrev_b64 v[1:2], 1, v[1:2]
	v_mov_b32_e32 v5, s13
	v_add_co_u32_e32 v1, vcc, s12, v1
	v_addc_co_u32_e32 v2, vcc, v5, v2, vcc
	v_add_u32_e32 v0, 0x100, v0
	global_store_short v[1:2], v3, off
	s_or_b64 exec, exec, s[0:1]
	v_cmp_gt_i32_e32 vcc, s18, v0
	s_and_saveexec_b64 s[0:1], vcc
	s_cbranch_execnz .LBB51_40
	s_branch .LBB51_41
	.section	.rodata,"a",@progbits
	.p2align	6, 0x0
	.amdhsa_kernel _ZN2at6native29vectorized_elementwise_kernelILi4EZZZNS0_16asin_kernel_cudaERNS_18TensorIteratorBaseEENKUlvE0_clEvENKUlvE1_clEvEUlN3c104HalfEE_St5arrayIPcLm2EEEEviT0_T1_
		.amdhsa_group_segment_fixed_size 0
		.amdhsa_private_segment_fixed_size 0
		.amdhsa_kernarg_size 24
		.amdhsa_user_sgpr_count 6
		.amdhsa_user_sgpr_private_segment_buffer 1
		.amdhsa_user_sgpr_dispatch_ptr 0
		.amdhsa_user_sgpr_queue_ptr 0
		.amdhsa_user_sgpr_kernarg_segment_ptr 1
		.amdhsa_user_sgpr_dispatch_id 0
		.amdhsa_user_sgpr_flat_scratch_init 0
		.amdhsa_user_sgpr_private_segment_size 0
		.amdhsa_uses_dynamic_stack 0
		.amdhsa_system_sgpr_private_segment_wavefront_offset 0
		.amdhsa_system_sgpr_workgroup_id_x 1
		.amdhsa_system_sgpr_workgroup_id_y 0
		.amdhsa_system_sgpr_workgroup_id_z 0
		.amdhsa_system_sgpr_workgroup_info 0
		.amdhsa_system_vgpr_workitem_id 0
		.amdhsa_next_free_vgpr 20
		.amdhsa_next_free_sgpr 19
		.amdhsa_reserve_vcc 1
		.amdhsa_reserve_flat_scratch 0
		.amdhsa_float_round_mode_32 0
		.amdhsa_float_round_mode_16_64 0
		.amdhsa_float_denorm_mode_32 3
		.amdhsa_float_denorm_mode_16_64 3
		.amdhsa_dx10_clamp 1
		.amdhsa_ieee_mode 1
		.amdhsa_fp16_overflow 0
		.amdhsa_exception_fp_ieee_invalid_op 0
		.amdhsa_exception_fp_denorm_src 0
		.amdhsa_exception_fp_ieee_div_zero 0
		.amdhsa_exception_fp_ieee_overflow 0
		.amdhsa_exception_fp_ieee_underflow 0
		.amdhsa_exception_fp_ieee_inexact 0
		.amdhsa_exception_int_div_zero 0
	.end_amdhsa_kernel
	.section	.text._ZN2at6native29vectorized_elementwise_kernelILi4EZZZNS0_16asin_kernel_cudaERNS_18TensorIteratorBaseEENKUlvE0_clEvENKUlvE1_clEvEUlN3c104HalfEE_St5arrayIPcLm2EEEEviT0_T1_,"axG",@progbits,_ZN2at6native29vectorized_elementwise_kernelILi4EZZZNS0_16asin_kernel_cudaERNS_18TensorIteratorBaseEENKUlvE0_clEvENKUlvE1_clEvEUlN3c104HalfEE_St5arrayIPcLm2EEEEviT0_T1_,comdat
.Lfunc_end51:
	.size	_ZN2at6native29vectorized_elementwise_kernelILi4EZZZNS0_16asin_kernel_cudaERNS_18TensorIteratorBaseEENKUlvE0_clEvENKUlvE1_clEvEUlN3c104HalfEE_St5arrayIPcLm2EEEEviT0_T1_, .Lfunc_end51-_ZN2at6native29vectorized_elementwise_kernelILi4EZZZNS0_16asin_kernel_cudaERNS_18TensorIteratorBaseEENKUlvE0_clEvENKUlvE1_clEvEUlN3c104HalfEE_St5arrayIPcLm2EEEEviT0_T1_
                                        ; -- End function
	.set _ZN2at6native29vectorized_elementwise_kernelILi4EZZZNS0_16asin_kernel_cudaERNS_18TensorIteratorBaseEENKUlvE0_clEvENKUlvE1_clEvEUlN3c104HalfEE_St5arrayIPcLm2EEEEviT0_T1_.num_vgpr, 20
	.set _ZN2at6native29vectorized_elementwise_kernelILi4EZZZNS0_16asin_kernel_cudaERNS_18TensorIteratorBaseEENKUlvE0_clEvENKUlvE1_clEvEUlN3c104HalfEE_St5arrayIPcLm2EEEEviT0_T1_.num_agpr, 0
	.set _ZN2at6native29vectorized_elementwise_kernelILi4EZZZNS0_16asin_kernel_cudaERNS_18TensorIteratorBaseEENKUlvE0_clEvENKUlvE1_clEvEUlN3c104HalfEE_St5arrayIPcLm2EEEEviT0_T1_.numbered_sgpr, 19
	.set _ZN2at6native29vectorized_elementwise_kernelILi4EZZZNS0_16asin_kernel_cudaERNS_18TensorIteratorBaseEENKUlvE0_clEvENKUlvE1_clEvEUlN3c104HalfEE_St5arrayIPcLm2EEEEviT0_T1_.num_named_barrier, 0
	.set _ZN2at6native29vectorized_elementwise_kernelILi4EZZZNS0_16asin_kernel_cudaERNS_18TensorIteratorBaseEENKUlvE0_clEvENKUlvE1_clEvEUlN3c104HalfEE_St5arrayIPcLm2EEEEviT0_T1_.private_seg_size, 0
	.set _ZN2at6native29vectorized_elementwise_kernelILi4EZZZNS0_16asin_kernel_cudaERNS_18TensorIteratorBaseEENKUlvE0_clEvENKUlvE1_clEvEUlN3c104HalfEE_St5arrayIPcLm2EEEEviT0_T1_.uses_vcc, 1
	.set _ZN2at6native29vectorized_elementwise_kernelILi4EZZZNS0_16asin_kernel_cudaERNS_18TensorIteratorBaseEENKUlvE0_clEvENKUlvE1_clEvEUlN3c104HalfEE_St5arrayIPcLm2EEEEviT0_T1_.uses_flat_scratch, 0
	.set _ZN2at6native29vectorized_elementwise_kernelILi4EZZZNS0_16asin_kernel_cudaERNS_18TensorIteratorBaseEENKUlvE0_clEvENKUlvE1_clEvEUlN3c104HalfEE_St5arrayIPcLm2EEEEviT0_T1_.has_dyn_sized_stack, 0
	.set _ZN2at6native29vectorized_elementwise_kernelILi4EZZZNS0_16asin_kernel_cudaERNS_18TensorIteratorBaseEENKUlvE0_clEvENKUlvE1_clEvEUlN3c104HalfEE_St5arrayIPcLm2EEEEviT0_T1_.has_recursion, 0
	.set _ZN2at6native29vectorized_elementwise_kernelILi4EZZZNS0_16asin_kernel_cudaERNS_18TensorIteratorBaseEENKUlvE0_clEvENKUlvE1_clEvEUlN3c104HalfEE_St5arrayIPcLm2EEEEviT0_T1_.has_indirect_call, 0
	.section	.AMDGPU.csdata,"",@progbits
; Kernel info:
; codeLenInByte = 4072
; TotalNumSgprs: 23
; NumVgprs: 20
; ScratchSize: 0
; MemoryBound: 0
; FloatMode: 240
; IeeeMode: 1
; LDSByteSize: 0 bytes/workgroup (compile time only)
; SGPRBlocks: 2
; VGPRBlocks: 4
; NumSGPRsForWavesPerEU: 23
; NumVGPRsForWavesPerEU: 20
; Occupancy: 10
; WaveLimiterHint : 1
; COMPUTE_PGM_RSRC2:SCRATCH_EN: 0
; COMPUTE_PGM_RSRC2:USER_SGPR: 6
; COMPUTE_PGM_RSRC2:TRAP_HANDLER: 0
; COMPUTE_PGM_RSRC2:TGID_X_EN: 1
; COMPUTE_PGM_RSRC2:TGID_Y_EN: 0
; COMPUTE_PGM_RSRC2:TGID_Z_EN: 0
; COMPUTE_PGM_RSRC2:TIDIG_COMP_CNT: 0
	.section	.text._ZN2at6native29vectorized_elementwise_kernelILi2EZZZNS0_16asin_kernel_cudaERNS_18TensorIteratorBaseEENKUlvE0_clEvENKUlvE1_clEvEUlN3c104HalfEE_St5arrayIPcLm2EEEEviT0_T1_,"axG",@progbits,_ZN2at6native29vectorized_elementwise_kernelILi2EZZZNS0_16asin_kernel_cudaERNS_18TensorIteratorBaseEENKUlvE0_clEvENKUlvE1_clEvEUlN3c104HalfEE_St5arrayIPcLm2EEEEviT0_T1_,comdat
	.globl	_ZN2at6native29vectorized_elementwise_kernelILi2EZZZNS0_16asin_kernel_cudaERNS_18TensorIteratorBaseEENKUlvE0_clEvENKUlvE1_clEvEUlN3c104HalfEE_St5arrayIPcLm2EEEEviT0_T1_ ; -- Begin function _ZN2at6native29vectorized_elementwise_kernelILi2EZZZNS0_16asin_kernel_cudaERNS_18TensorIteratorBaseEENKUlvE0_clEvENKUlvE1_clEvEUlN3c104HalfEE_St5arrayIPcLm2EEEEviT0_T1_
	.p2align	8
	.type	_ZN2at6native29vectorized_elementwise_kernelILi2EZZZNS0_16asin_kernel_cudaERNS_18TensorIteratorBaseEENKUlvE0_clEvENKUlvE1_clEvEUlN3c104HalfEE_St5arrayIPcLm2EEEEviT0_T1_,@function
_ZN2at6native29vectorized_elementwise_kernelILi2EZZZNS0_16asin_kernel_cudaERNS_18TensorIteratorBaseEENKUlvE0_clEvENKUlvE1_clEvEUlN3c104HalfEE_St5arrayIPcLm2EEEEviT0_T1_: ; @_ZN2at6native29vectorized_elementwise_kernelILi2EZZZNS0_16asin_kernel_cudaERNS_18TensorIteratorBaseEENKUlvE0_clEvENKUlvE1_clEvEUlN3c104HalfEE_St5arrayIPcLm2EEEEviT0_T1_
; %bb.0:
	s_load_dword s0, s[4:5], 0x0
	s_load_dwordx4 s[8:11], s[4:5], 0x8
	s_lshl_b32 s2, s6, 11
	s_waitcnt lgkmcnt(0)
	s_sub_i32 s6, s0, s2
	s_cmpk_gt_i32 s6, 0x7ff
	s_mov_b64 s[0:1], -1
	s_cbranch_scc0 .LBB52_2
; %bb.1:
	s_ashr_i32 s3, s2, 31
	s_lshl_b64 s[4:5], s[2:3], 1
	s_add_u32 s0, s10, s4
	s_addc_u32 s1, s11, s5
	v_lshlrev_b32_e32 v1, 2, v0
	global_load_dword v2, v1, s[0:1]
	global_load_dword v3, v1, s[0:1] offset:1024
	global_load_dword v7, v1, s[0:1] offset:2048
	;; [unrolled: 1-line block ×3, first 2 shown]
	s_mov_b32 s3, -0.5
	v_mov_b32_e32 v4, 0.5
	v_mov_b32_e32 v5, 0x3c5fc5da
	v_mov_b32_e32 v6, 0x3d034c3c
	;; [unrolled: 1-line block ×4, first 2 shown]
	s_movk_i32 s7, 0x7fff
	s_waitcnt vmcnt(3)
	v_cvt_f32_f16_e32 v11, v2
	v_lshrrev_b32_e32 v9, 16, v2
	s_waitcnt vmcnt(2)
	v_cvt_f32_f16_e32 v14, v3
	v_lshrrev_b32_e32 v10, 16, v3
	v_cvt_f32_f16_e32 v17, v9
	v_cvt_f32_f16_e32 v18, v10
	v_fma_mix_f32 v12, |v2|, s3, v4 op_sel_hi:[1,0,0]
	v_mul_f32_e32 v19, v11, v11
	v_cmp_ge_f32_e64 vcc, |v11|, 0.5
	v_fma_mix_f32 v15, |v3|, s3, v4 op_sel_hi:[1,0,0]
	v_cndmask_b32_e32 v12, v19, v12, vcc
	v_mul_f32_e32 v19, v14, v14
	v_cmp_ge_f32_e64 vcc, |v14|, 0.5
	v_fma_mix_f32 v13, |v2|, s3, v4 op_sel:[1,0,0] op_sel_hi:[1,0,0]
	v_cndmask_b32_e32 v15, v19, v15, vcc
	v_mul_f32_e32 v19, v17, v17
	v_cmp_ge_f32_e64 vcc, |v17|, 0.5
	v_fma_mix_f32 v16, |v3|, s3, v4 op_sel:[1,0,0] op_sel_hi:[1,0,0]
	v_cndmask_b32_e32 v13, v19, v13, vcc
	v_mul_f32_e32 v19, v18, v18
	v_cmp_ge_f32_e64 vcc, |v18|, 0.5
	v_fmac_f32_e32 v5, 0x3d1c21a7, v12
	v_cndmask_b32_e32 v16, v19, v16, vcc
	v_mov_b32_e32 v19, 0x3d3641b1
	v_fma_f32 v5, v12, v5, v6
	v_fma_f32 v5, v12, v5, v19
	;; [unrolled: 1-line block ×4, first 2 shown]
	v_mul_f32_e32 v5, v12, v5
	v_sqrt_f32_e32 v12, v12
	v_cmp_lt_f32_e64 vcc, |v11|, 0.5
	v_mov_b32_e32 v11, 0x3c5fc5da
	v_fmac_f32_e32 v11, 0x3d1c21a7, v13
	v_fma_f32 v11, v13, v11, v6
	v_fmac_f32_e32 v12, v12, v5
	v_fma_f32 v11, v13, v11, v19
	v_add_f32_e32 v12, v12, v12
	v_fma_f32 v11, v13, v11, v20
	v_fma_mix_f32 v5, |v2|, v5, |v2| op_sel_hi:[1,0,1]
	v_sub_f32_e32 v12, 0x3fc90fdb, v12
	v_fma_f32 v11, v13, v11, v21
	v_cndmask_b32_e32 v5, v12, v5, vcc
	v_mul_f32_e32 v11, v13, v11
	v_sqrt_f32_e32 v12, v13
	v_mov_b32_e32 v13, 0x3c5fc5da
	v_fmac_f32_e32 v13, 0x3d1c21a7, v15
	v_fma_f32 v13, v15, v13, v6
	v_fma_f32 v13, v15, v13, v19
	;; [unrolled: 1-line block ×4, first 2 shown]
	v_mul_f32_e32 v13, v15, v13
	v_sqrt_f32_e32 v15, v15
	v_cmp_lt_f32_e64 s[0:1], |v14|, 0.5
	v_mov_b32_e32 v14, 0x3c5fc5da
	v_fmac_f32_e32 v14, 0x3d1c21a7, v16
	v_fmac_f32_e32 v15, v15, v13
	v_add_f32_e32 v15, v15, v15
	v_fma_mix_f32 v13, |v3|, v13, |v3| op_sel_hi:[1,0,1]
	v_sub_f32_e32 v15, 0x3fc90fdb, v15
	v_fma_f32 v14, v16, v14, v6
	v_fmac_f32_e32 v12, v12, v11
	v_cndmask_b32_e64 v13, v15, v13, s[0:1]
	v_fma_f32 v14, v16, v14, v19
	v_sqrt_f32_e32 v15, v16
	v_add_f32_e32 v12, v12, v12
	v_fma_f32 v14, v16, v14, v20
	v_fma_mix_f32 v11, |v2|, v11, |v2| op_sel:[1,0,1] op_sel_hi:[1,0,1]
	v_sub_f32_e32 v12, 0x3fc90fdb, v12
	v_cmp_lt_f32_e64 vcc, |v17|, 0.5
	v_fma_f32 v14, v16, v14, v21
	v_mul_f32_e32 v14, v16, v14
	v_cndmask_b32_e32 v11, v12, v11, vcc
	s_waitcnt vmcnt(1)
	v_cvt_f32_f16_e32 v12, v7
	v_cvt_f16_f32_e32 v5, v5
	v_fmac_f32_e32 v15, v15, v14
	v_cvt_f16_f32_e32 v11, v11
	v_add_f32_e32 v15, v15, v15
	v_fma_mix_f32 v14, |v3|, v14, |v3| op_sel:[1,0,1] op_sel_hi:[1,0,1]
	v_sub_f32_e32 v15, 0x3fc90fdb, v15
	v_cmp_lt_f32_e64 s[0:1], |v18|, 0.5
	v_cndmask_b32_e64 v14, v15, v14, s[0:1]
	v_fma_mix_f32 v15, |v7|, s3, v4 op_sel_hi:[1,0,0]
	v_cvt_f16_f32_e32 v13, v13
	v_bfi_b32 v2, s7, v5, v2
	v_mul_f32_e32 v5, v12, v12
	v_cmp_ge_f32_e64 vcc, |v12|, 0.5
	v_bfi_b32 v9, s7, v11, v9
	v_cndmask_b32_e32 v5, v5, v15, vcc
	v_mov_b32_e32 v11, 0x3c5fc5da
	v_fmac_f32_e32 v11, 0x3d1c21a7, v5
	v_fma_f32 v11, v5, v11, v6
	v_bfi_b32 v3, s7, v13, v3
	v_fma_f32 v11, v5, v11, v19
	v_sqrt_f32_e32 v13, v5
	v_fma_f32 v11, v5, v11, v20
	v_fma_f32 v11, v5, v11, v21
	v_mul_f32_e32 v5, v5, v11
	v_lshrrev_b32_e32 v16, 16, v7
	v_fmac_f32_e32 v13, v13, v5
	v_add_f32_e32 v11, v13, v13
	v_cvt_f32_f16_e32 v13, v16
	v_sub_f32_e32 v11, 0x3fc90fdb, v11
	v_fma_mix_f32 v5, |v7|, v5, |v7| op_sel_hi:[1,0,1]
	v_cmp_lt_f32_e64 vcc, |v12|, 0.5
	v_cvt_f16_f32_e32 v14, v14
	v_cndmask_b32_e32 v5, v11, v5, vcc
	v_fma_mix_f32 v11, |v7|, s3, v4 op_sel:[1,0,0] op_sel_hi:[1,0,0]
	v_mul_f32_e32 v12, v13, v13
	v_cmp_ge_f32_e64 vcc, |v13|, 0.5
	v_cndmask_b32_e32 v11, v12, v11, vcc
	v_mov_b32_e32 v12, 0x3c5fc5da
	v_fmac_f32_e32 v12, 0x3d1c21a7, v11
	v_fma_f32 v12, v11, v12, v6
	v_bfi_b32 v10, s7, v14, v10
	v_fma_f32 v12, v11, v12, v19
	v_sqrt_f32_e32 v14, v11
	v_fma_f32 v12, v11, v12, v20
	v_fma_f32 v12, v11, v12, v21
	v_mul_f32_e32 v11, v11, v12
	v_fmac_f32_e32 v14, v14, v11
	v_add_f32_e32 v12, v14, v14
	s_waitcnt vmcnt(0)
	v_cvt_f32_f16_e32 v14, v8
	v_sub_f32_e32 v12, 0x3fc90fdb, v12
	v_fma_mix_f32 v11, |v7|, v11, |v7| op_sel:[1,0,1] op_sel_hi:[1,0,1]
	v_cmp_lt_f32_e64 vcc, |v13|, 0.5
	v_cndmask_b32_e32 v11, v12, v11, vcc
	v_fma_mix_f32 v12, |v8|, s3, v4 op_sel_hi:[1,0,0]
	v_mul_f32_e32 v13, v14, v14
	v_cmp_ge_f32_e64 vcc, |v14|, 0.5
	v_cndmask_b32_e32 v12, v13, v12, vcc
	v_mov_b32_e32 v13, 0x3c5fc5da
	v_fmac_f32_e32 v13, 0x3d1c21a7, v12
	v_fma_f32 v13, v12, v13, v6
	v_fma_f32 v13, v12, v13, v19
	;; [unrolled: 1-line block ×3, first 2 shown]
	v_sqrt_f32_e32 v15, v12
	v_fma_f32 v13, v12, v13, v21
	v_mul_f32_e32 v12, v12, v13
	v_lshrrev_b32_e32 v13, 16, v8
	v_cmp_lt_f32_e64 vcc, |v14|, 0.5
	v_cvt_f32_f16_e32 v14, v13
	v_fmac_f32_e32 v15, v15, v12
	v_add_f32_e32 v15, v15, v15
	v_sub_f32_e32 v15, 0x3fc90fdb, v15
	v_fma_mix_f32 v12, |v8|, v12, |v8| op_sel_hi:[1,0,1]
	v_cndmask_b32_e32 v12, v15, v12, vcc
	v_fma_mix_f32 v4, |v8|, s3, v4 op_sel:[1,0,0] op_sel_hi:[1,0,0]
	v_mul_f32_e32 v15, v14, v14
	v_cmp_ge_f32_e64 vcc, |v14|, 0.5
	v_cndmask_b32_e32 v4, v15, v4, vcc
	v_mov_b32_e32 v15, 0x3c5fc5da
	v_fmac_f32_e32 v15, 0x3d1c21a7, v4
	v_fmac_f32_e32 v6, v4, v15
	;; [unrolled: 1-line block ×3, first 2 shown]
	v_sqrt_f32_e32 v6, v4
	v_fmac_f32_e32 v20, v4, v19
	v_fmac_f32_e32 v21, v4, v20
	v_mul_f32_e32 v4, v4, v21
	v_fmac_f32_e32 v6, v6, v4
	v_add_f32_e32 v6, v6, v6
	v_sub_f32_e32 v6, 0x3fc90fdb, v6
	v_fma_mix_f32 v4, |v8|, v4, |v8| op_sel:[1,0,1] op_sel_hi:[1,0,1]
	v_cmp_lt_f32_e64 vcc, |v14|, 0.5
	v_cvt_f16_f32_e32 v5, v5
	v_cvt_f16_f32_e32 v11, v11
	v_cndmask_b32_e32 v4, v6, v4, vcc
	v_cvt_f16_f32_e32 v12, v12
	v_cvt_f16_f32_e32 v4, v4
	s_add_u32 s0, s8, s4
	s_addc_u32 s1, s9, s5
	v_pack_b32_f16 v2, v2, v9
	v_bfi_b32 v5, s7, v5, v7
	v_bfi_b32 v6, s7, v11, v16
	global_store_dword v1, v2, s[0:1]
	v_pack_b32_f16 v2, v3, v10
	v_bfi_b32 v7, s7, v12, v8
	v_bfi_b32 v4, s7, v4, v13
	global_store_dword v1, v2, s[0:1] offset:1024
	v_pack_b32_f16 v2, v5, v6
	global_store_dword v1, v2, s[0:1] offset:2048
	v_pack_b32_f16 v2, v7, v4
	global_store_dword v1, v2, s[0:1] offset:3072
	s_mov_b64 s[0:1], 0
.LBB52_2:
	s_andn2_b64 vcc, exec, s[0:1]
	s_cbranch_vccnz .LBB52_41
; %bb.3:
	v_cmp_gt_i32_e32 vcc, s6, v0
	v_mov_b32_e32 v10, 0
	v_or_b32_e32 v1, s2, v0
	v_mov_b32_e32 v6, 0
	v_mov_b32_e32 v5, v0
	s_and_saveexec_b64 s[4:5], vcc
	s_cbranch_execz .LBB52_5
; %bb.4:
	v_mov_b32_e32 v2, 0
	v_lshlrev_b64 v[2:3], 1, v[1:2]
	v_mov_b32_e32 v4, s11
	v_add_co_u32_e64 v2, s[0:1], s10, v2
	v_addc_co_u32_e64 v3, s[0:1], v4, v3, s[0:1]
	global_load_ushort v2, v[2:3], off
	v_or_b32_e32 v5, 0x100, v0
	s_waitcnt vmcnt(0)
	v_cvt_f32_f16_e32 v6, v2
.LBB52_5:
	s_or_b64 exec, exec, s[4:5]
	v_cmp_gt_i32_e64 s[0:1], s6, v5
	s_and_saveexec_b64 s[4:5], s[0:1]
	s_cbranch_execz .LBB52_7
; %bb.6:
	v_add_u32_e32 v2, s2, v5
	v_mov_b32_e32 v3, 0
	v_lshlrev_b64 v[2:3], 1, v[2:3]
	v_mov_b32_e32 v4, s11
	v_add_co_u32_e64 v2, s[0:1], s10, v2
	v_addc_co_u32_e64 v3, s[0:1], v4, v3, s[0:1]
	global_load_ushort v2, v[2:3], off
	v_add_u32_e32 v5, 0x100, v5
	s_waitcnt vmcnt(0)
	v_cvt_f32_f16_e32 v10, v2
.LBB52_7:
	s_or_b64 exec, exec, s[4:5]
	v_cmp_gt_i32_e64 s[0:1], s6, v5
	v_mov_b32_e32 v7, 0
	v_mov_b32_e32 v11, 0
	s_and_saveexec_b64 s[4:5], s[0:1]
	s_cbranch_execz .LBB52_9
; %bb.8:
	v_add_u32_e32 v2, s2, v5
	v_mov_b32_e32 v3, 0
	v_lshlrev_b64 v[2:3], 1, v[2:3]
	v_mov_b32_e32 v4, s11
	v_add_co_u32_e64 v2, s[0:1], s10, v2
	v_addc_co_u32_e64 v3, s[0:1], v4, v3, s[0:1]
	global_load_ushort v2, v[2:3], off
	v_add_u32_e32 v5, 0x100, v5
	s_waitcnt vmcnt(0)
	v_cvt_f32_f16_e32 v11, v2
.LBB52_9:
	s_or_b64 exec, exec, s[4:5]
	v_cmp_gt_i32_e64 s[0:1], s6, v5
	s_and_saveexec_b64 s[4:5], s[0:1]
	s_cbranch_execz .LBB52_11
; %bb.10:
	v_add_u32_e32 v2, s2, v5
	v_mov_b32_e32 v3, 0
	v_lshlrev_b64 v[2:3], 1, v[2:3]
	v_mov_b32_e32 v4, s11
	v_add_co_u32_e64 v2, s[0:1], s10, v2
	v_addc_co_u32_e64 v3, s[0:1], v4, v3, s[0:1]
	global_load_ushort v2, v[2:3], off
	v_add_u32_e32 v5, 0x100, v5
	s_waitcnt vmcnt(0)
	v_cvt_f32_f16_e32 v7, v2
.LBB52_11:
	s_or_b64 exec, exec, s[4:5]
	v_cmp_gt_i32_e64 s[0:1], s6, v5
	v_mov_b32_e32 v3, 0
	v_mov_b32_e32 v9, 0
	s_and_saveexec_b64 s[4:5], s[0:1]
	s_cbranch_execz .LBB52_13
; %bb.12:
	v_add_u32_e32 v8, s2, v5
	v_mov_b32_e32 v9, 0
	v_lshlrev_b64 v[8:9], 1, v[8:9]
	v_mov_b32_e32 v2, s11
	v_add_co_u32_e64 v8, s[0:1], s10, v8
	v_addc_co_u32_e64 v9, s[0:1], v2, v9, s[0:1]
	global_load_ushort v2, v[8:9], off
	v_add_u32_e32 v5, 0x100, v5
	s_waitcnt vmcnt(0)
	v_cvt_f32_f16_e32 v9, v2
.LBB52_13:
	s_or_b64 exec, exec, s[4:5]
	v_cmp_gt_i32_e64 s[0:1], s6, v5
	s_and_saveexec_b64 s[4:5], s[0:1]
	s_cbranch_execz .LBB52_15
; %bb.14:
	v_add_u32_e32 v2, s2, v5
	v_mov_b32_e32 v3, 0
	v_lshlrev_b64 v[2:3], 1, v[2:3]
	v_mov_b32_e32 v4, s11
	v_add_co_u32_e64 v2, s[0:1], s10, v2
	v_addc_co_u32_e64 v3, s[0:1], v4, v3, s[0:1]
	global_load_ushort v2, v[2:3], off
	v_add_u32_e32 v5, 0x100, v5
	s_waitcnt vmcnt(0)
	v_cvt_f32_f16_e32 v3, v2
.LBB52_15:
	s_or_b64 exec, exec, s[4:5]
	v_cmp_gt_i32_e64 s[0:1], s6, v5
	v_mov_b32_e32 v2, 0
	v_mov_b32_e32 v4, 0
	s_and_saveexec_b64 s[4:5], s[0:1]
	s_cbranch_execnz .LBB52_42
; %bb.16:
	s_or_b64 exec, exec, s[4:5]
	v_cmp_gt_i32_e64 s[0:1], s6, v5
	s_and_saveexec_b64 s[4:5], s[0:1]
	s_cbranch_execnz .LBB52_43
.LBB52_17:
	s_or_b64 exec, exec, s[4:5]
                                        ; implicit-def: $vgpr5
	s_and_saveexec_b64 s[4:5], vcc
	s_cbranch_execz .LBB52_19
.LBB52_18:
	v_fma_f32 v5, |v6|, -0.5, 0.5
	v_mul_f32_e32 v8, v6, v6
	v_cmp_ge_f32_e64 s[0:1], |v6|, 0.5
	v_cndmask_b32_e64 v5, v8, v5, s[0:1]
	v_mov_b32_e32 v8, 0x3c5fc5da
	v_fmac_f32_e32 v8, 0x3d1c21a7, v5
	v_mov_b32_e32 v12, 0x3d034c3c
	v_fmac_f32_e32 v12, v5, v8
	v_mov_b32_e32 v8, 0x3d3641b1
	v_fmac_f32_e32 v8, v5, v12
	v_mov_b32_e32 v12, 0x3d999bc8
	v_fmac_f32_e32 v12, v5, v8
	v_sqrt_f32_e32 v8, v5
	v_mov_b32_e32 v13, 0x3e2aaaac
	v_fmac_f32_e32 v13, v5, v12
	v_mul_f32_e32 v5, v5, v13
	v_fmac_f32_e32 v8, v8, v5
	v_add_f32_e32 v8, v8, v8
	v_sub_f32_e32 v8, 0x3fc90fdb, v8
	v_fma_f32 v5, |v6|, v5, |v6|
	v_cmp_lt_f32_e64 s[0:1], |v6|, 0.5
	v_cndmask_b32_e64 v5, v8, v5, s[0:1]
	v_cvt_f16_f32_e32 v5, v5
	v_lshrrev_b32_e32 v6, 16, v6
	s_movk_i32 s0, 0x7fff
	v_bfi_b32 v5, s0, v5, v6
.LBB52_19:
	s_or_b64 exec, exec, s[4:5]
	v_or_b32_e32 v6, 0x100, v0
	v_cmp_gt_i32_e64 s[0:1], s6, v6
                                        ; implicit-def: $vgpr8
	s_and_saveexec_b64 s[4:5], s[0:1]
	s_cbranch_execz .LBB52_21
; %bb.20:
	v_fma_f32 v8, |v10|, -0.5, 0.5
	v_mul_f32_e32 v12, v10, v10
	v_cmp_ge_f32_e64 s[0:1], |v10|, 0.5
	v_cndmask_b32_e64 v8, v12, v8, s[0:1]
	v_mov_b32_e32 v12, 0x3c5fc5da
	v_fmac_f32_e32 v12, 0x3d1c21a7, v8
	v_mov_b32_e32 v13, 0x3d034c3c
	v_fmac_f32_e32 v13, v8, v12
	;; [unrolled: 2-line block ×4, first 2 shown]
	v_sqrt_f32_e32 v12, v8
	v_mov_b32_e32 v14, 0x3e2aaaac
	v_fmac_f32_e32 v14, v8, v13
	v_mul_f32_e32 v8, v8, v14
	v_fmac_f32_e32 v12, v12, v8
	v_add_f32_e32 v12, v12, v12
	v_sub_f32_e32 v12, 0x3fc90fdb, v12
	v_fma_f32 v8, |v10|, v8, |v10|
	v_cmp_lt_f32_e64 s[0:1], |v10|, 0.5
	v_cndmask_b32_e64 v8, v12, v8, s[0:1]
	v_cvt_f16_f32_e32 v8, v8
	v_lshrrev_b32_e32 v10, 16, v10
	s_movk_i32 s0, 0x7fff
	v_bfi_b32 v8, s0, v8, v10
.LBB52_21:
	s_or_b64 exec, exec, s[4:5]
	v_or_b32_e32 v10, 0x200, v0
	v_cmp_gt_i32_e64 s[0:1], s6, v10
                                        ; implicit-def: $vgpr10
	s_and_saveexec_b64 s[4:5], s[0:1]
	s_cbranch_execz .LBB52_23
; %bb.22:
	v_fma_f32 v10, |v11|, -0.5, 0.5
	v_mul_f32_e32 v12, v11, v11
	v_cmp_ge_f32_e64 s[0:1], |v11|, 0.5
	v_cndmask_b32_e64 v10, v12, v10, s[0:1]
	v_mov_b32_e32 v12, 0x3c5fc5da
	v_fmac_f32_e32 v12, 0x3d1c21a7, v10
	v_mov_b32_e32 v13, 0x3d034c3c
	v_fmac_f32_e32 v13, v10, v12
	;; [unrolled: 2-line block ×4, first 2 shown]
	v_sqrt_f32_e32 v12, v10
	v_mov_b32_e32 v14, 0x3e2aaaac
	v_fmac_f32_e32 v14, v10, v13
	v_mul_f32_e32 v10, v10, v14
	v_fmac_f32_e32 v12, v12, v10
	v_add_f32_e32 v12, v12, v12
	v_sub_f32_e32 v12, 0x3fc90fdb, v12
	v_fma_f32 v10, |v11|, v10, |v11|
	v_cmp_lt_f32_e64 s[0:1], |v11|, 0.5
	v_cndmask_b32_e64 v10, v12, v10, s[0:1]
	v_cvt_f16_f32_e32 v10, v10
	v_lshrrev_b32_e32 v11, 16, v11
	s_movk_i32 s0, 0x7fff
	v_bfi_b32 v10, s0, v10, v11
.LBB52_23:
	s_or_b64 exec, exec, s[4:5]
	v_or_b32_e32 v11, 0x300, v0
	v_cmp_gt_i32_e64 s[0:1], s6, v11
                                        ; implicit-def: $vgpr11
	s_and_saveexec_b64 s[4:5], s[0:1]
	s_cbranch_execz .LBB52_25
; %bb.24:
	v_fma_f32 v11, |v7|, -0.5, 0.5
	v_mul_f32_e32 v12, v7, v7
	v_cmp_ge_f32_e64 s[0:1], |v7|, 0.5
	v_cndmask_b32_e64 v11, v12, v11, s[0:1]
	v_mov_b32_e32 v12, 0x3c5fc5da
	v_fmac_f32_e32 v12, 0x3d1c21a7, v11
	v_mov_b32_e32 v13, 0x3d034c3c
	v_fmac_f32_e32 v13, v11, v12
	;; [unrolled: 2-line block ×4, first 2 shown]
	v_sqrt_f32_e32 v12, v11
	v_mov_b32_e32 v14, 0x3e2aaaac
	v_fmac_f32_e32 v14, v11, v13
	v_mul_f32_e32 v11, v11, v14
	v_fmac_f32_e32 v12, v12, v11
	v_add_f32_e32 v12, v12, v12
	v_sub_f32_e32 v12, 0x3fc90fdb, v12
	v_fma_f32 v11, |v7|, v11, |v7|
	v_cmp_lt_f32_e64 s[0:1], |v7|, 0.5
	v_cndmask_b32_e64 v11, v12, v11, s[0:1]
	v_cvt_f16_f32_e32 v11, v11
	v_lshrrev_b32_e32 v7, 16, v7
	s_movk_i32 s0, 0x7fff
	v_bfi_b32 v11, s0, v11, v7
.LBB52_25:
	s_or_b64 exec, exec, s[4:5]
	v_or_b32_e32 v7, 0x400, v0
	v_cmp_gt_i32_e64 s[0:1], s6, v7
                                        ; implicit-def: $vgpr7
	s_and_saveexec_b64 s[4:5], s[0:1]
	s_cbranch_execz .LBB52_27
; %bb.26:
	v_fma_f32 v7, |v9|, -0.5, 0.5
	v_mul_f32_e32 v12, v9, v9
	v_cmp_ge_f32_e64 s[0:1], |v9|, 0.5
	v_cndmask_b32_e64 v7, v12, v7, s[0:1]
	v_mov_b32_e32 v12, 0x3c5fc5da
	v_fmac_f32_e32 v12, 0x3d1c21a7, v7
	v_mov_b32_e32 v13, 0x3d034c3c
	v_fmac_f32_e32 v13, v7, v12
	;; [unrolled: 2-line block ×4, first 2 shown]
	v_sqrt_f32_e32 v12, v7
	v_mov_b32_e32 v14, 0x3e2aaaac
	v_fmac_f32_e32 v14, v7, v13
	v_mul_f32_e32 v7, v7, v14
	v_fmac_f32_e32 v12, v12, v7
	v_add_f32_e32 v12, v12, v12
	v_sub_f32_e32 v12, 0x3fc90fdb, v12
	v_fma_f32 v7, |v9|, v7, |v9|
	v_cmp_lt_f32_e64 s[0:1], |v9|, 0.5
	v_cndmask_b32_e64 v7, v12, v7, s[0:1]
	v_cvt_f16_f32_e32 v7, v7
	v_lshrrev_b32_e32 v9, 16, v9
	s_movk_i32 s0, 0x7fff
	v_bfi_b32 v7, s0, v7, v9
.LBB52_27:
	s_or_b64 exec, exec, s[4:5]
	v_or_b32_e32 v9, 0x500, v0
	v_cmp_gt_i32_e64 s[0:1], s6, v9
                                        ; implicit-def: $vgpr9
	s_and_saveexec_b64 s[4:5], s[0:1]
	s_cbranch_execz .LBB52_29
; %bb.28:
	v_fma_f32 v9, |v3|, -0.5, 0.5
	v_mul_f32_e32 v12, v3, v3
	v_cmp_ge_f32_e64 s[0:1], |v3|, 0.5
	v_cndmask_b32_e64 v9, v12, v9, s[0:1]
	v_mov_b32_e32 v12, 0x3c5fc5da
	v_fmac_f32_e32 v12, 0x3d1c21a7, v9
	v_mov_b32_e32 v13, 0x3d034c3c
	v_fmac_f32_e32 v13, v9, v12
	;; [unrolled: 2-line block ×4, first 2 shown]
	v_sqrt_f32_e32 v12, v9
	v_mov_b32_e32 v14, 0x3e2aaaac
	v_fmac_f32_e32 v14, v9, v13
	v_mul_f32_e32 v9, v9, v14
	v_fmac_f32_e32 v12, v12, v9
	v_add_f32_e32 v12, v12, v12
	v_sub_f32_e32 v12, 0x3fc90fdb, v12
	v_fma_f32 v9, |v3|, v9, |v3|
	v_cmp_lt_f32_e64 s[0:1], |v3|, 0.5
	v_cndmask_b32_e64 v9, v12, v9, s[0:1]
	v_cvt_f16_f32_e32 v9, v9
	v_lshrrev_b32_e32 v3, 16, v3
	s_movk_i32 s0, 0x7fff
	v_bfi_b32 v9, s0, v9, v3
.LBB52_29:
	s_or_b64 exec, exec, s[4:5]
	v_or_b32_e32 v3, 0x600, v0
	v_cmp_gt_i32_e64 s[0:1], s6, v3
                                        ; implicit-def: $vgpr3
	s_and_saveexec_b64 s[4:5], s[0:1]
	s_cbranch_execz .LBB52_31
; %bb.30:
	v_fma_f32 v3, |v4|, -0.5, 0.5
	v_mul_f32_e32 v12, v4, v4
	v_cmp_ge_f32_e64 s[0:1], |v4|, 0.5
	v_cndmask_b32_e64 v3, v12, v3, s[0:1]
	v_mov_b32_e32 v12, 0x3c5fc5da
	v_fmac_f32_e32 v12, 0x3d1c21a7, v3
	v_mov_b32_e32 v13, 0x3d034c3c
	v_fmac_f32_e32 v13, v3, v12
	;; [unrolled: 2-line block ×4, first 2 shown]
	v_sqrt_f32_e32 v12, v3
	v_mov_b32_e32 v14, 0x3e2aaaac
	v_fmac_f32_e32 v14, v3, v13
	v_mul_f32_e32 v3, v3, v14
	v_fmac_f32_e32 v12, v12, v3
	v_add_f32_e32 v12, v12, v12
	v_sub_f32_e32 v12, 0x3fc90fdb, v12
	v_fma_f32 v3, |v4|, v3, |v4|
	v_cmp_lt_f32_e64 s[0:1], |v4|, 0.5
	v_cndmask_b32_e64 v3, v12, v3, s[0:1]
	v_cvt_f16_f32_e32 v3, v3
	v_lshrrev_b32_e32 v4, 16, v4
	s_movk_i32 s0, 0x7fff
	v_bfi_b32 v3, s0, v3, v4
.LBB52_31:
	s_or_b64 exec, exec, s[4:5]
	v_or_b32_e32 v4, 0x700, v0
	v_cmp_gt_i32_e64 s[0:1], s6, v4
                                        ; implicit-def: $vgpr4
	s_and_saveexec_b64 s[4:5], s[0:1]
	s_cbranch_execnz .LBB52_44
; %bb.32:
	s_or_b64 exec, exec, s[4:5]
	s_and_saveexec_b64 s[0:1], vcc
	s_xor_b64 s[0:1], exec, s[0:1]
	s_cbranch_execnz .LBB52_45
.LBB52_33:
	s_or_b64 exec, exec, s[0:1]
	v_cmp_gt_i32_e32 vcc, s6, v0
	s_and_saveexec_b64 s[0:1], vcc
	s_cbranch_execnz .LBB52_46
.LBB52_34:
	s_or_b64 exec, exec, s[0:1]
	v_cmp_gt_i32_e32 vcc, s6, v0
	s_and_saveexec_b64 s[0:1], vcc
	s_cbranch_execnz .LBB52_47
.LBB52_35:
	s_or_b64 exec, exec, s[0:1]
	v_cmp_gt_i32_e32 vcc, s6, v0
	s_and_saveexec_b64 s[0:1], vcc
	s_cbranch_execnz .LBB52_48
.LBB52_36:
	s_or_b64 exec, exec, s[0:1]
	v_cmp_gt_i32_e32 vcc, s6, v0
	s_and_saveexec_b64 s[0:1], vcc
	s_cbranch_execnz .LBB52_49
.LBB52_37:
	s_or_b64 exec, exec, s[0:1]
	v_cmp_gt_i32_e32 vcc, s6, v0
	s_and_saveexec_b64 s[0:1], vcc
	s_cbranch_execnz .LBB52_50
.LBB52_38:
	s_or_b64 exec, exec, s[0:1]
	v_cmp_gt_i32_e32 vcc, s6, v0
	s_and_saveexec_b64 s[0:1], vcc
	s_cbranch_execnz .LBB52_51
.LBB52_39:
	s_or_b64 exec, exec, s[0:1]
	v_cmp_gt_i32_e32 vcc, s6, v0
	s_and_saveexec_b64 s[0:1], vcc
	s_cbranch_execz .LBB52_41
.LBB52_40:
	v_add_u32_e32 v0, s2, v0
	v_mov_b32_e32 v1, 0
	v_lshlrev_b64 v[0:1], 1, v[0:1]
	v_mov_b32_e32 v2, s9
	v_add_co_u32_e32 v0, vcc, s8, v0
	v_addc_co_u32_e32 v1, vcc, v2, v1, vcc
	global_store_short v[0:1], v4, off
.LBB52_41:
	s_endpgm
.LBB52_42:
	v_add_u32_e32 v12, s2, v5
	v_mov_b32_e32 v13, 0
	v_lshlrev_b64 v[12:13], 1, v[12:13]
	v_mov_b32_e32 v4, s11
	v_add_co_u32_e64 v12, s[0:1], s10, v12
	v_addc_co_u32_e64 v13, s[0:1], v4, v13, s[0:1]
	global_load_ushort v4, v[12:13], off
	v_add_u32_e32 v5, 0x100, v5
	s_waitcnt vmcnt(0)
	v_cvt_f32_f16_e32 v4, v4
	s_or_b64 exec, exec, s[4:5]
	v_cmp_gt_i32_e64 s[0:1], s6, v5
	s_and_saveexec_b64 s[4:5], s[0:1]
	s_cbranch_execz .LBB52_17
.LBB52_43:
	v_add_u32_e32 v12, s2, v5
	v_mov_b32_e32 v13, 0
	v_lshlrev_b64 v[12:13], 1, v[12:13]
	v_mov_b32_e32 v2, s11
	v_add_co_u32_e64 v12, s[0:1], s10, v12
	v_addc_co_u32_e64 v13, s[0:1], v2, v13, s[0:1]
	global_load_ushort v2, v[12:13], off
	s_waitcnt vmcnt(0)
	v_cvt_f32_f16_e32 v2, v2
	s_or_b64 exec, exec, s[4:5]
                                        ; implicit-def: $vgpr5
	s_and_saveexec_b64 s[4:5], vcc
	s_cbranch_execnz .LBB52_18
	s_branch .LBB52_19
.LBB52_44:
	v_fma_f32 v4, |v2|, -0.5, 0.5
	v_mul_f32_e32 v12, v2, v2
	v_cmp_ge_f32_e64 s[0:1], |v2|, 0.5
	v_cndmask_b32_e64 v4, v12, v4, s[0:1]
	v_mov_b32_e32 v12, 0x3c5fc5da
	v_fmac_f32_e32 v12, 0x3d1c21a7, v4
	v_mov_b32_e32 v13, 0x3d034c3c
	v_fmac_f32_e32 v13, v4, v12
	v_mov_b32_e32 v12, 0x3d3641b1
	v_fmac_f32_e32 v12, v4, v13
	v_mov_b32_e32 v13, 0x3d999bc8
	v_fmac_f32_e32 v13, v4, v12
	v_sqrt_f32_e32 v12, v4
	v_mov_b32_e32 v14, 0x3e2aaaac
	v_fmac_f32_e32 v14, v4, v13
	v_mul_f32_e32 v4, v4, v14
	v_fmac_f32_e32 v12, v12, v4
	v_add_f32_e32 v12, v12, v12
	v_sub_f32_e32 v12, 0x3fc90fdb, v12
	v_fma_f32 v4, |v2|, v4, |v2|
	v_cmp_lt_f32_e64 s[0:1], |v2|, 0.5
	v_cndmask_b32_e64 v4, v12, v4, s[0:1]
	v_cvt_f16_f32_e32 v4, v4
	v_lshrrev_b32_e32 v2, 16, v2
	s_movk_i32 s0, 0x7fff
	v_bfi_b32 v4, s0, v4, v2
	s_or_b64 exec, exec, s[4:5]
	s_and_saveexec_b64 s[0:1], vcc
	s_xor_b64 s[0:1], exec, s[0:1]
	s_cbranch_execz .LBB52_33
.LBB52_45:
	v_mov_b32_e32 v2, 0
	v_lshlrev_b64 v[0:1], 1, v[1:2]
	v_mov_b32_e32 v2, s9
	v_add_co_u32_e32 v0, vcc, s8, v0
	v_addc_co_u32_e32 v1, vcc, v2, v1, vcc
	global_store_short v[0:1], v5, off
	v_mov_b32_e32 v0, v6
	s_or_b64 exec, exec, s[0:1]
	v_cmp_gt_i32_e32 vcc, s6, v0
	s_and_saveexec_b64 s[0:1], vcc
	s_cbranch_execz .LBB52_34
.LBB52_46:
	v_add_u32_e32 v1, s2, v0
	v_mov_b32_e32 v2, 0
	v_lshlrev_b64 v[1:2], 1, v[1:2]
	v_mov_b32_e32 v5, s9
	v_add_co_u32_e32 v1, vcc, s8, v1
	v_addc_co_u32_e32 v2, vcc, v5, v2, vcc
	v_add_u32_e32 v0, 0x100, v0
	global_store_short v[1:2], v8, off
	s_or_b64 exec, exec, s[0:1]
	v_cmp_gt_i32_e32 vcc, s6, v0
	s_and_saveexec_b64 s[0:1], vcc
	s_cbranch_execz .LBB52_35
.LBB52_47:
	v_add_u32_e32 v1, s2, v0
	v_mov_b32_e32 v2, 0
	v_lshlrev_b64 v[1:2], 1, v[1:2]
	v_mov_b32_e32 v5, s9
	v_add_co_u32_e32 v1, vcc, s8, v1
	v_addc_co_u32_e32 v2, vcc, v5, v2, vcc
	v_add_u32_e32 v0, 0x100, v0
	global_store_short v[1:2], v10, off
	s_or_b64 exec, exec, s[0:1]
	v_cmp_gt_i32_e32 vcc, s6, v0
	s_and_saveexec_b64 s[0:1], vcc
	s_cbranch_execz .LBB52_36
.LBB52_48:
	v_add_u32_e32 v1, s2, v0
	v_mov_b32_e32 v2, 0
	v_lshlrev_b64 v[1:2], 1, v[1:2]
	v_mov_b32_e32 v5, s9
	v_add_co_u32_e32 v1, vcc, s8, v1
	v_addc_co_u32_e32 v2, vcc, v5, v2, vcc
	v_add_u32_e32 v0, 0x100, v0
	global_store_short v[1:2], v11, off
	s_or_b64 exec, exec, s[0:1]
	v_cmp_gt_i32_e32 vcc, s6, v0
	s_and_saveexec_b64 s[0:1], vcc
	s_cbranch_execz .LBB52_37
.LBB52_49:
	v_add_u32_e32 v1, s2, v0
	v_mov_b32_e32 v2, 0
	v_lshlrev_b64 v[1:2], 1, v[1:2]
	v_mov_b32_e32 v5, s9
	v_add_co_u32_e32 v1, vcc, s8, v1
	v_addc_co_u32_e32 v2, vcc, v5, v2, vcc
	v_add_u32_e32 v0, 0x100, v0
	global_store_short v[1:2], v7, off
	s_or_b64 exec, exec, s[0:1]
	v_cmp_gt_i32_e32 vcc, s6, v0
	s_and_saveexec_b64 s[0:1], vcc
	s_cbranch_execz .LBB52_38
.LBB52_50:
	v_add_u32_e32 v1, s2, v0
	v_mov_b32_e32 v2, 0
	v_lshlrev_b64 v[1:2], 1, v[1:2]
	v_mov_b32_e32 v5, s9
	v_add_co_u32_e32 v1, vcc, s8, v1
	v_addc_co_u32_e32 v2, vcc, v5, v2, vcc
	v_add_u32_e32 v0, 0x100, v0
	global_store_short v[1:2], v9, off
	s_or_b64 exec, exec, s[0:1]
	v_cmp_gt_i32_e32 vcc, s6, v0
	s_and_saveexec_b64 s[0:1], vcc
	s_cbranch_execz .LBB52_39
.LBB52_51:
	v_add_u32_e32 v1, s2, v0
	v_mov_b32_e32 v2, 0
	v_lshlrev_b64 v[1:2], 1, v[1:2]
	v_mov_b32_e32 v5, s9
	v_add_co_u32_e32 v1, vcc, s8, v1
	v_addc_co_u32_e32 v2, vcc, v5, v2, vcc
	v_add_u32_e32 v0, 0x100, v0
	global_store_short v[1:2], v3, off
	s_or_b64 exec, exec, s[0:1]
	v_cmp_gt_i32_e32 vcc, s6, v0
	s_and_saveexec_b64 s[0:1], vcc
	s_cbranch_execnz .LBB52_40
	s_branch .LBB52_41
	.section	.rodata,"a",@progbits
	.p2align	6, 0x0
	.amdhsa_kernel _ZN2at6native29vectorized_elementwise_kernelILi2EZZZNS0_16asin_kernel_cudaERNS_18TensorIteratorBaseEENKUlvE0_clEvENKUlvE1_clEvEUlN3c104HalfEE_St5arrayIPcLm2EEEEviT0_T1_
		.amdhsa_group_segment_fixed_size 0
		.amdhsa_private_segment_fixed_size 0
		.amdhsa_kernarg_size 24
		.amdhsa_user_sgpr_count 6
		.amdhsa_user_sgpr_private_segment_buffer 1
		.amdhsa_user_sgpr_dispatch_ptr 0
		.amdhsa_user_sgpr_queue_ptr 0
		.amdhsa_user_sgpr_kernarg_segment_ptr 1
		.amdhsa_user_sgpr_dispatch_id 0
		.amdhsa_user_sgpr_flat_scratch_init 0
		.amdhsa_user_sgpr_private_segment_size 0
		.amdhsa_uses_dynamic_stack 0
		.amdhsa_system_sgpr_private_segment_wavefront_offset 0
		.amdhsa_system_sgpr_workgroup_id_x 1
		.amdhsa_system_sgpr_workgroup_id_y 0
		.amdhsa_system_sgpr_workgroup_id_z 0
		.amdhsa_system_sgpr_workgroup_info 0
		.amdhsa_system_vgpr_workitem_id 0
		.amdhsa_next_free_vgpr 22
		.amdhsa_next_free_sgpr 12
		.amdhsa_reserve_vcc 1
		.amdhsa_reserve_flat_scratch 0
		.amdhsa_float_round_mode_32 0
		.amdhsa_float_round_mode_16_64 0
		.amdhsa_float_denorm_mode_32 3
		.amdhsa_float_denorm_mode_16_64 3
		.amdhsa_dx10_clamp 1
		.amdhsa_ieee_mode 1
		.amdhsa_fp16_overflow 0
		.amdhsa_exception_fp_ieee_invalid_op 0
		.amdhsa_exception_fp_denorm_src 0
		.amdhsa_exception_fp_ieee_div_zero 0
		.amdhsa_exception_fp_ieee_overflow 0
		.amdhsa_exception_fp_ieee_underflow 0
		.amdhsa_exception_fp_ieee_inexact 0
		.amdhsa_exception_int_div_zero 0
	.end_amdhsa_kernel
	.section	.text._ZN2at6native29vectorized_elementwise_kernelILi2EZZZNS0_16asin_kernel_cudaERNS_18TensorIteratorBaseEENKUlvE0_clEvENKUlvE1_clEvEUlN3c104HalfEE_St5arrayIPcLm2EEEEviT0_T1_,"axG",@progbits,_ZN2at6native29vectorized_elementwise_kernelILi2EZZZNS0_16asin_kernel_cudaERNS_18TensorIteratorBaseEENKUlvE0_clEvENKUlvE1_clEvEUlN3c104HalfEE_St5arrayIPcLm2EEEEviT0_T1_,comdat
.Lfunc_end52:
	.size	_ZN2at6native29vectorized_elementwise_kernelILi2EZZZNS0_16asin_kernel_cudaERNS_18TensorIteratorBaseEENKUlvE0_clEvENKUlvE1_clEvEUlN3c104HalfEE_St5arrayIPcLm2EEEEviT0_T1_, .Lfunc_end52-_ZN2at6native29vectorized_elementwise_kernelILi2EZZZNS0_16asin_kernel_cudaERNS_18TensorIteratorBaseEENKUlvE0_clEvENKUlvE1_clEvEUlN3c104HalfEE_St5arrayIPcLm2EEEEviT0_T1_
                                        ; -- End function
	.set _ZN2at6native29vectorized_elementwise_kernelILi2EZZZNS0_16asin_kernel_cudaERNS_18TensorIteratorBaseEENKUlvE0_clEvENKUlvE1_clEvEUlN3c104HalfEE_St5arrayIPcLm2EEEEviT0_T1_.num_vgpr, 22
	.set _ZN2at6native29vectorized_elementwise_kernelILi2EZZZNS0_16asin_kernel_cudaERNS_18TensorIteratorBaseEENKUlvE0_clEvENKUlvE1_clEvEUlN3c104HalfEE_St5arrayIPcLm2EEEEviT0_T1_.num_agpr, 0
	.set _ZN2at6native29vectorized_elementwise_kernelILi2EZZZNS0_16asin_kernel_cudaERNS_18TensorIteratorBaseEENKUlvE0_clEvENKUlvE1_clEvEUlN3c104HalfEE_St5arrayIPcLm2EEEEviT0_T1_.numbered_sgpr, 12
	.set _ZN2at6native29vectorized_elementwise_kernelILi2EZZZNS0_16asin_kernel_cudaERNS_18TensorIteratorBaseEENKUlvE0_clEvENKUlvE1_clEvEUlN3c104HalfEE_St5arrayIPcLm2EEEEviT0_T1_.num_named_barrier, 0
	.set _ZN2at6native29vectorized_elementwise_kernelILi2EZZZNS0_16asin_kernel_cudaERNS_18TensorIteratorBaseEENKUlvE0_clEvENKUlvE1_clEvEUlN3c104HalfEE_St5arrayIPcLm2EEEEviT0_T1_.private_seg_size, 0
	.set _ZN2at6native29vectorized_elementwise_kernelILi2EZZZNS0_16asin_kernel_cudaERNS_18TensorIteratorBaseEENKUlvE0_clEvENKUlvE1_clEvEUlN3c104HalfEE_St5arrayIPcLm2EEEEviT0_T1_.uses_vcc, 1
	.set _ZN2at6native29vectorized_elementwise_kernelILi2EZZZNS0_16asin_kernel_cudaERNS_18TensorIteratorBaseEENKUlvE0_clEvENKUlvE1_clEvEUlN3c104HalfEE_St5arrayIPcLm2EEEEviT0_T1_.uses_flat_scratch, 0
	.set _ZN2at6native29vectorized_elementwise_kernelILi2EZZZNS0_16asin_kernel_cudaERNS_18TensorIteratorBaseEENKUlvE0_clEvENKUlvE1_clEvEUlN3c104HalfEE_St5arrayIPcLm2EEEEviT0_T1_.has_dyn_sized_stack, 0
	.set _ZN2at6native29vectorized_elementwise_kernelILi2EZZZNS0_16asin_kernel_cudaERNS_18TensorIteratorBaseEENKUlvE0_clEvENKUlvE1_clEvEUlN3c104HalfEE_St5arrayIPcLm2EEEEviT0_T1_.has_recursion, 0
	.set _ZN2at6native29vectorized_elementwise_kernelILi2EZZZNS0_16asin_kernel_cudaERNS_18TensorIteratorBaseEENKUlvE0_clEvENKUlvE1_clEvEUlN3c104HalfEE_St5arrayIPcLm2EEEEviT0_T1_.has_indirect_call, 0
	.section	.AMDGPU.csdata,"",@progbits
; Kernel info:
; codeLenInByte = 4084
; TotalNumSgprs: 16
; NumVgprs: 22
; ScratchSize: 0
; MemoryBound: 0
; FloatMode: 240
; IeeeMode: 1
; LDSByteSize: 0 bytes/workgroup (compile time only)
; SGPRBlocks: 1
; VGPRBlocks: 5
; NumSGPRsForWavesPerEU: 16
; NumVGPRsForWavesPerEU: 22
; Occupancy: 10
; WaveLimiterHint : 1
; COMPUTE_PGM_RSRC2:SCRATCH_EN: 0
; COMPUTE_PGM_RSRC2:USER_SGPR: 6
; COMPUTE_PGM_RSRC2:TRAP_HANDLER: 0
; COMPUTE_PGM_RSRC2:TGID_X_EN: 1
; COMPUTE_PGM_RSRC2:TGID_Y_EN: 0
; COMPUTE_PGM_RSRC2:TGID_Z_EN: 0
; COMPUTE_PGM_RSRC2:TIDIG_COMP_CNT: 0
	.section	.text._ZN2at6native27unrolled_elementwise_kernelIZZZNS0_16asin_kernel_cudaERNS_18TensorIteratorBaseEENKUlvE0_clEvENKUlvE1_clEvEUlN3c104HalfEE_St5arrayIPcLm2EELi4E23TrivialOffsetCalculatorILi1EjESD_NS0_6memory15LoadWithoutCastENSE_16StoreWithoutCastEEEviT_T0_T2_T3_T4_T5_,"axG",@progbits,_ZN2at6native27unrolled_elementwise_kernelIZZZNS0_16asin_kernel_cudaERNS_18TensorIteratorBaseEENKUlvE0_clEvENKUlvE1_clEvEUlN3c104HalfEE_St5arrayIPcLm2EELi4E23TrivialOffsetCalculatorILi1EjESD_NS0_6memory15LoadWithoutCastENSE_16StoreWithoutCastEEEviT_T0_T2_T3_T4_T5_,comdat
	.globl	_ZN2at6native27unrolled_elementwise_kernelIZZZNS0_16asin_kernel_cudaERNS_18TensorIteratorBaseEENKUlvE0_clEvENKUlvE1_clEvEUlN3c104HalfEE_St5arrayIPcLm2EELi4E23TrivialOffsetCalculatorILi1EjESD_NS0_6memory15LoadWithoutCastENSE_16StoreWithoutCastEEEviT_T0_T2_T3_T4_T5_ ; -- Begin function _ZN2at6native27unrolled_elementwise_kernelIZZZNS0_16asin_kernel_cudaERNS_18TensorIteratorBaseEENKUlvE0_clEvENKUlvE1_clEvEUlN3c104HalfEE_St5arrayIPcLm2EELi4E23TrivialOffsetCalculatorILi1EjESD_NS0_6memory15LoadWithoutCastENSE_16StoreWithoutCastEEEviT_T0_T2_T3_T4_T5_
	.p2align	8
	.type	_ZN2at6native27unrolled_elementwise_kernelIZZZNS0_16asin_kernel_cudaERNS_18TensorIteratorBaseEENKUlvE0_clEvENKUlvE1_clEvEUlN3c104HalfEE_St5arrayIPcLm2EELi4E23TrivialOffsetCalculatorILi1EjESD_NS0_6memory15LoadWithoutCastENSE_16StoreWithoutCastEEEviT_T0_T2_T3_T4_T5_,@function
_ZN2at6native27unrolled_elementwise_kernelIZZZNS0_16asin_kernel_cudaERNS_18TensorIteratorBaseEENKUlvE0_clEvENKUlvE1_clEvEUlN3c104HalfEE_St5arrayIPcLm2EELi4E23TrivialOffsetCalculatorILi1EjESD_NS0_6memory15LoadWithoutCastENSE_16StoreWithoutCastEEEviT_T0_T2_T3_T4_T5_: ; @_ZN2at6native27unrolled_elementwise_kernelIZZZNS0_16asin_kernel_cudaERNS_18TensorIteratorBaseEENKUlvE0_clEvENKUlvE1_clEvEUlN3c104HalfEE_St5arrayIPcLm2EELi4E23TrivialOffsetCalculatorILi1EjESD_NS0_6memory15LoadWithoutCastENSE_16StoreWithoutCastEEEviT_T0_T2_T3_T4_T5_
; %bb.0:
	s_load_dword s0, s[4:5], 0x0
	s_load_dwordx4 s[8:11], s[4:5], 0x8
	s_lshl_b32 s4, s6, 10
	v_mov_b32_e32 v3, 0
	v_or_b32_e32 v1, s4, v0
	s_waitcnt lgkmcnt(0)
	s_sub_i32 s5, s0, s4
	v_cmp_gt_i32_e32 vcc, s5, v0
	v_mov_b32_e32 v6, 0
	v_mov_b32_e32 v5, v0
	s_and_saveexec_b64 s[2:3], vcc
	s_cbranch_execz .LBB53_2
; %bb.1:
	v_mov_b32_e32 v2, 0
	v_lshlrev_b64 v[4:5], 1, v[1:2]
	v_mov_b32_e32 v2, s11
	v_add_co_u32_e64 v4, s[0:1], s10, v4
	v_addc_co_u32_e64 v5, s[0:1], v2, v5, s[0:1]
	global_load_ushort v2, v[4:5], off
	v_or_b32_e32 v5, 0x100, v0
	s_waitcnt vmcnt(0)
	v_cvt_f32_f16_e32 v6, v2
.LBB53_2:
	s_or_b64 exec, exec, s[2:3]
	v_cmp_gt_i32_e64 s[0:1], s5, v5
	s_and_saveexec_b64 s[2:3], s[0:1]
	s_cbranch_execz .LBB53_4
; %bb.3:
	v_add_u32_e32 v2, s4, v5
	v_mov_b32_e32 v3, 0
	v_lshlrev_b64 v[2:3], 1, v[2:3]
	v_mov_b32_e32 v4, s11
	v_add_co_u32_e64 v2, s[0:1], s10, v2
	v_addc_co_u32_e64 v3, s[0:1], v4, v3, s[0:1]
	global_load_ushort v2, v[2:3], off
	v_add_u32_e32 v5, 0x100, v5
	s_waitcnt vmcnt(0)
	v_cvt_f32_f16_e32 v3, v2
.LBB53_4:
	s_or_b64 exec, exec, s[2:3]
	v_cmp_gt_i32_e64 s[0:1], s5, v5
	v_mov_b32_e32 v2, 0
	v_mov_b32_e32 v4, 0
	s_and_saveexec_b64 s[2:3], s[0:1]
	s_cbranch_execnz .LBB53_18
; %bb.5:
	s_or_b64 exec, exec, s[2:3]
	v_cmp_gt_i32_e64 s[0:1], s5, v5
	s_and_saveexec_b64 s[2:3], s[0:1]
	s_cbranch_execnz .LBB53_19
.LBB53_6:
	s_or_b64 exec, exec, s[2:3]
                                        ; implicit-def: $vgpr5
	s_and_saveexec_b64 s[2:3], vcc
	s_cbranch_execz .LBB53_8
.LBB53_7:
	v_fma_f32 v5, |v6|, -0.5, 0.5
	v_mul_f32_e32 v7, v6, v6
	v_cmp_ge_f32_e64 s[0:1], |v6|, 0.5
	v_cndmask_b32_e64 v5, v7, v5, s[0:1]
	v_mov_b32_e32 v7, 0x3c5fc5da
	v_fmac_f32_e32 v7, 0x3d1c21a7, v5
	v_mov_b32_e32 v8, 0x3d034c3c
	v_fmac_f32_e32 v8, v5, v7
	;; [unrolled: 2-line block ×4, first 2 shown]
	v_sqrt_f32_e32 v7, v5
	v_mov_b32_e32 v9, 0x3e2aaaac
	v_fmac_f32_e32 v9, v5, v8
	v_mul_f32_e32 v5, v5, v9
	v_fmac_f32_e32 v7, v7, v5
	v_add_f32_e32 v7, v7, v7
	v_sub_f32_e32 v7, 0x3fc90fdb, v7
	v_fma_f32 v5, |v6|, v5, |v6|
	v_cmp_lt_f32_e64 s[0:1], |v6|, 0.5
	v_cndmask_b32_e64 v5, v7, v5, s[0:1]
	v_cvt_f16_f32_e32 v5, v5
	v_lshrrev_b32_e32 v6, 16, v6
	s_movk_i32 s0, 0x7fff
	v_bfi_b32 v5, s0, v5, v6
.LBB53_8:
	s_or_b64 exec, exec, s[2:3]
	v_or_b32_e32 v6, 0x100, v0
	v_cmp_gt_i32_e64 s[0:1], s5, v6
                                        ; implicit-def: $vgpr7
	s_and_saveexec_b64 s[2:3], s[0:1]
	s_cbranch_execz .LBB53_10
; %bb.9:
	v_fma_f32 v7, |v3|, -0.5, 0.5
	v_mul_f32_e32 v8, v3, v3
	v_cmp_ge_f32_e64 s[0:1], |v3|, 0.5
	v_cndmask_b32_e64 v7, v8, v7, s[0:1]
	v_mov_b32_e32 v8, 0x3c5fc5da
	v_fmac_f32_e32 v8, 0x3d1c21a7, v7
	v_mov_b32_e32 v9, 0x3d034c3c
	v_fmac_f32_e32 v9, v7, v8
	v_mov_b32_e32 v8, 0x3d3641b1
	v_fmac_f32_e32 v8, v7, v9
	v_mov_b32_e32 v9, 0x3d999bc8
	v_fmac_f32_e32 v9, v7, v8
	v_sqrt_f32_e32 v8, v7
	v_mov_b32_e32 v10, 0x3e2aaaac
	v_fmac_f32_e32 v10, v7, v9
	v_mul_f32_e32 v7, v7, v10
	v_fmac_f32_e32 v8, v8, v7
	v_add_f32_e32 v8, v8, v8
	v_sub_f32_e32 v8, 0x3fc90fdb, v8
	v_fma_f32 v7, |v3|, v7, |v3|
	v_cmp_lt_f32_e64 s[0:1], |v3|, 0.5
	v_cndmask_b32_e64 v7, v8, v7, s[0:1]
	v_cvt_f16_f32_e32 v7, v7
	v_lshrrev_b32_e32 v3, 16, v3
	s_movk_i32 s0, 0x7fff
	v_bfi_b32 v7, s0, v7, v3
.LBB53_10:
	s_or_b64 exec, exec, s[2:3]
	v_or_b32_e32 v3, 0x200, v0
	v_cmp_gt_i32_e64 s[0:1], s5, v3
                                        ; implicit-def: $vgpr3
	s_and_saveexec_b64 s[2:3], s[0:1]
	s_cbranch_execz .LBB53_12
; %bb.11:
	v_fma_f32 v3, |v4|, -0.5, 0.5
	v_mul_f32_e32 v8, v4, v4
	v_cmp_ge_f32_e64 s[0:1], |v4|, 0.5
	v_cndmask_b32_e64 v3, v8, v3, s[0:1]
	v_mov_b32_e32 v8, 0x3c5fc5da
	v_fmac_f32_e32 v8, 0x3d1c21a7, v3
	v_mov_b32_e32 v9, 0x3d034c3c
	v_fmac_f32_e32 v9, v3, v8
	;; [unrolled: 2-line block ×4, first 2 shown]
	v_sqrt_f32_e32 v8, v3
	v_mov_b32_e32 v10, 0x3e2aaaac
	v_fmac_f32_e32 v10, v3, v9
	v_mul_f32_e32 v3, v3, v10
	v_fmac_f32_e32 v8, v8, v3
	v_add_f32_e32 v8, v8, v8
	v_sub_f32_e32 v8, 0x3fc90fdb, v8
	v_fma_f32 v3, |v4|, v3, |v4|
	v_cmp_lt_f32_e64 s[0:1], |v4|, 0.5
	v_cndmask_b32_e64 v3, v8, v3, s[0:1]
	v_cvt_f16_f32_e32 v3, v3
	v_lshrrev_b32_e32 v4, 16, v4
	s_movk_i32 s0, 0x7fff
	v_bfi_b32 v3, s0, v3, v4
.LBB53_12:
	s_or_b64 exec, exec, s[2:3]
	v_or_b32_e32 v4, 0x300, v0
	v_cmp_gt_i32_e64 s[0:1], s5, v4
                                        ; implicit-def: $vgpr4
	s_and_saveexec_b64 s[2:3], s[0:1]
	s_cbranch_execnz .LBB53_20
; %bb.13:
	s_or_b64 exec, exec, s[2:3]
	s_and_saveexec_b64 s[0:1], vcc
	s_xor_b64 s[0:1], exec, s[0:1]
	s_cbranch_execnz .LBB53_21
.LBB53_14:
	s_or_b64 exec, exec, s[0:1]
	v_cmp_gt_i32_e32 vcc, s5, v0
	s_and_saveexec_b64 s[0:1], vcc
	s_cbranch_execnz .LBB53_22
.LBB53_15:
	s_or_b64 exec, exec, s[0:1]
	v_cmp_gt_i32_e32 vcc, s5, v0
	s_and_saveexec_b64 s[0:1], vcc
	s_cbranch_execnz .LBB53_23
.LBB53_16:
	s_or_b64 exec, exec, s[0:1]
	v_cmp_gt_i32_e32 vcc, s5, v0
	s_and_saveexec_b64 s[0:1], vcc
	s_cbranch_execnz .LBB53_24
.LBB53_17:
	s_endpgm
.LBB53_18:
	v_add_u32_e32 v7, s4, v5
	v_mov_b32_e32 v8, 0
	v_lshlrev_b64 v[7:8], 1, v[7:8]
	v_mov_b32_e32 v4, s11
	v_add_co_u32_e64 v7, s[0:1], s10, v7
	v_addc_co_u32_e64 v8, s[0:1], v4, v8, s[0:1]
	global_load_ushort v4, v[7:8], off
	v_add_u32_e32 v5, 0x100, v5
	s_waitcnt vmcnt(0)
	v_cvt_f32_f16_e32 v4, v4
	s_or_b64 exec, exec, s[2:3]
	v_cmp_gt_i32_e64 s[0:1], s5, v5
	s_and_saveexec_b64 s[2:3], s[0:1]
	s_cbranch_execz .LBB53_6
.LBB53_19:
	v_add_u32_e32 v7, s4, v5
	v_mov_b32_e32 v8, 0
	v_lshlrev_b64 v[7:8], 1, v[7:8]
	v_mov_b32_e32 v2, s11
	v_add_co_u32_e64 v7, s[0:1], s10, v7
	v_addc_co_u32_e64 v8, s[0:1], v2, v8, s[0:1]
	global_load_ushort v2, v[7:8], off
	s_waitcnt vmcnt(0)
	v_cvt_f32_f16_e32 v2, v2
	s_or_b64 exec, exec, s[2:3]
                                        ; implicit-def: $vgpr5
	s_and_saveexec_b64 s[2:3], vcc
	s_cbranch_execnz .LBB53_7
	s_branch .LBB53_8
.LBB53_20:
	v_fma_f32 v4, |v2|, -0.5, 0.5
	v_mul_f32_e32 v8, v2, v2
	v_cmp_ge_f32_e64 s[0:1], |v2|, 0.5
	v_cndmask_b32_e64 v4, v8, v4, s[0:1]
	v_mov_b32_e32 v8, 0x3c5fc5da
	v_fmac_f32_e32 v8, 0x3d1c21a7, v4
	v_mov_b32_e32 v9, 0x3d034c3c
	v_fmac_f32_e32 v9, v4, v8
	;; [unrolled: 2-line block ×4, first 2 shown]
	v_sqrt_f32_e32 v8, v4
	v_mov_b32_e32 v10, 0x3e2aaaac
	v_fmac_f32_e32 v10, v4, v9
	v_mul_f32_e32 v4, v4, v10
	v_fmac_f32_e32 v8, v8, v4
	v_add_f32_e32 v8, v8, v8
	v_sub_f32_e32 v8, 0x3fc90fdb, v8
	v_fma_f32 v4, |v2|, v4, |v2|
	v_cmp_lt_f32_e64 s[0:1], |v2|, 0.5
	v_cndmask_b32_e64 v4, v8, v4, s[0:1]
	v_cvt_f16_f32_e32 v4, v4
	v_lshrrev_b32_e32 v2, 16, v2
	s_movk_i32 s0, 0x7fff
	v_bfi_b32 v4, s0, v4, v2
	s_or_b64 exec, exec, s[2:3]
	s_and_saveexec_b64 s[0:1], vcc
	s_xor_b64 s[0:1], exec, s[0:1]
	s_cbranch_execz .LBB53_14
.LBB53_21:
	v_mov_b32_e32 v2, 0
	v_lshlrev_b64 v[0:1], 1, v[1:2]
	v_mov_b32_e32 v2, s9
	v_add_co_u32_e32 v0, vcc, s8, v0
	v_addc_co_u32_e32 v1, vcc, v2, v1, vcc
	global_store_short v[0:1], v5, off
	v_mov_b32_e32 v0, v6
	s_or_b64 exec, exec, s[0:1]
	v_cmp_gt_i32_e32 vcc, s5, v0
	s_and_saveexec_b64 s[0:1], vcc
	s_cbranch_execz .LBB53_15
.LBB53_22:
	v_add_u32_e32 v2, 0x100, v0
	v_add_u32_e32 v0, s4, v0
	v_mov_b32_e32 v1, 0
	v_lshlrev_b64 v[0:1], 1, v[0:1]
	v_mov_b32_e32 v5, s9
	v_add_co_u32_e32 v0, vcc, s8, v0
	v_addc_co_u32_e32 v1, vcc, v5, v1, vcc
	global_store_short v[0:1], v7, off
	v_mov_b32_e32 v0, v2
	s_or_b64 exec, exec, s[0:1]
	v_cmp_gt_i32_e32 vcc, s5, v0
	s_and_saveexec_b64 s[0:1], vcc
	s_cbranch_execz .LBB53_16
.LBB53_23:
	v_add_u32_e32 v2, 0x100, v0
	v_add_u32_e32 v0, s4, v0
	v_mov_b32_e32 v1, 0
	v_lshlrev_b64 v[0:1], 1, v[0:1]
	v_mov_b32_e32 v5, s9
	v_add_co_u32_e32 v0, vcc, s8, v0
	v_addc_co_u32_e32 v1, vcc, v5, v1, vcc
	global_store_short v[0:1], v3, off
	v_mov_b32_e32 v0, v2
	s_or_b64 exec, exec, s[0:1]
	v_cmp_gt_i32_e32 vcc, s5, v0
	s_and_saveexec_b64 s[0:1], vcc
	s_cbranch_execz .LBB53_17
.LBB53_24:
	v_add_u32_e32 v0, s4, v0
	v_mov_b32_e32 v1, 0
	v_lshlrev_b64 v[0:1], 1, v[0:1]
	v_mov_b32_e32 v2, s9
	v_add_co_u32_e32 v0, vcc, s8, v0
	v_addc_co_u32_e32 v1, vcc, v2, v1, vcc
	global_store_short v[0:1], v4, off
	s_endpgm
	.section	.rodata,"a",@progbits
	.p2align	6, 0x0
	.amdhsa_kernel _ZN2at6native27unrolled_elementwise_kernelIZZZNS0_16asin_kernel_cudaERNS_18TensorIteratorBaseEENKUlvE0_clEvENKUlvE1_clEvEUlN3c104HalfEE_St5arrayIPcLm2EELi4E23TrivialOffsetCalculatorILi1EjESD_NS0_6memory15LoadWithoutCastENSE_16StoreWithoutCastEEEviT_T0_T2_T3_T4_T5_
		.amdhsa_group_segment_fixed_size 0
		.amdhsa_private_segment_fixed_size 0
		.amdhsa_kernarg_size 28
		.amdhsa_user_sgpr_count 6
		.amdhsa_user_sgpr_private_segment_buffer 1
		.amdhsa_user_sgpr_dispatch_ptr 0
		.amdhsa_user_sgpr_queue_ptr 0
		.amdhsa_user_sgpr_kernarg_segment_ptr 1
		.amdhsa_user_sgpr_dispatch_id 0
		.amdhsa_user_sgpr_flat_scratch_init 0
		.amdhsa_user_sgpr_private_segment_size 0
		.amdhsa_uses_dynamic_stack 0
		.amdhsa_system_sgpr_private_segment_wavefront_offset 0
		.amdhsa_system_sgpr_workgroup_id_x 1
		.amdhsa_system_sgpr_workgroup_id_y 0
		.amdhsa_system_sgpr_workgroup_id_z 0
		.amdhsa_system_sgpr_workgroup_info 0
		.amdhsa_system_vgpr_workitem_id 0
		.amdhsa_next_free_vgpr 11
		.amdhsa_next_free_sgpr 12
		.amdhsa_reserve_vcc 1
		.amdhsa_reserve_flat_scratch 0
		.amdhsa_float_round_mode_32 0
		.amdhsa_float_round_mode_16_64 0
		.amdhsa_float_denorm_mode_32 3
		.amdhsa_float_denorm_mode_16_64 3
		.amdhsa_dx10_clamp 1
		.amdhsa_ieee_mode 1
		.amdhsa_fp16_overflow 0
		.amdhsa_exception_fp_ieee_invalid_op 0
		.amdhsa_exception_fp_denorm_src 0
		.amdhsa_exception_fp_ieee_div_zero 0
		.amdhsa_exception_fp_ieee_overflow 0
		.amdhsa_exception_fp_ieee_underflow 0
		.amdhsa_exception_fp_ieee_inexact 0
		.amdhsa_exception_int_div_zero 0
	.end_amdhsa_kernel
	.section	.text._ZN2at6native27unrolled_elementwise_kernelIZZZNS0_16asin_kernel_cudaERNS_18TensorIteratorBaseEENKUlvE0_clEvENKUlvE1_clEvEUlN3c104HalfEE_St5arrayIPcLm2EELi4E23TrivialOffsetCalculatorILi1EjESD_NS0_6memory15LoadWithoutCastENSE_16StoreWithoutCastEEEviT_T0_T2_T3_T4_T5_,"axG",@progbits,_ZN2at6native27unrolled_elementwise_kernelIZZZNS0_16asin_kernel_cudaERNS_18TensorIteratorBaseEENKUlvE0_clEvENKUlvE1_clEvEUlN3c104HalfEE_St5arrayIPcLm2EELi4E23TrivialOffsetCalculatorILi1EjESD_NS0_6memory15LoadWithoutCastENSE_16StoreWithoutCastEEEviT_T0_T2_T3_T4_T5_,comdat
.Lfunc_end53:
	.size	_ZN2at6native27unrolled_elementwise_kernelIZZZNS0_16asin_kernel_cudaERNS_18TensorIteratorBaseEENKUlvE0_clEvENKUlvE1_clEvEUlN3c104HalfEE_St5arrayIPcLm2EELi4E23TrivialOffsetCalculatorILi1EjESD_NS0_6memory15LoadWithoutCastENSE_16StoreWithoutCastEEEviT_T0_T2_T3_T4_T5_, .Lfunc_end53-_ZN2at6native27unrolled_elementwise_kernelIZZZNS0_16asin_kernel_cudaERNS_18TensorIteratorBaseEENKUlvE0_clEvENKUlvE1_clEvEUlN3c104HalfEE_St5arrayIPcLm2EELi4E23TrivialOffsetCalculatorILi1EjESD_NS0_6memory15LoadWithoutCastENSE_16StoreWithoutCastEEEviT_T0_T2_T3_T4_T5_
                                        ; -- End function
	.set _ZN2at6native27unrolled_elementwise_kernelIZZZNS0_16asin_kernel_cudaERNS_18TensorIteratorBaseEENKUlvE0_clEvENKUlvE1_clEvEUlN3c104HalfEE_St5arrayIPcLm2EELi4E23TrivialOffsetCalculatorILi1EjESD_NS0_6memory15LoadWithoutCastENSE_16StoreWithoutCastEEEviT_T0_T2_T3_T4_T5_.num_vgpr, 11
	.set _ZN2at6native27unrolled_elementwise_kernelIZZZNS0_16asin_kernel_cudaERNS_18TensorIteratorBaseEENKUlvE0_clEvENKUlvE1_clEvEUlN3c104HalfEE_St5arrayIPcLm2EELi4E23TrivialOffsetCalculatorILi1EjESD_NS0_6memory15LoadWithoutCastENSE_16StoreWithoutCastEEEviT_T0_T2_T3_T4_T5_.num_agpr, 0
	.set _ZN2at6native27unrolled_elementwise_kernelIZZZNS0_16asin_kernel_cudaERNS_18TensorIteratorBaseEENKUlvE0_clEvENKUlvE1_clEvEUlN3c104HalfEE_St5arrayIPcLm2EELi4E23TrivialOffsetCalculatorILi1EjESD_NS0_6memory15LoadWithoutCastENSE_16StoreWithoutCastEEEviT_T0_T2_T3_T4_T5_.numbered_sgpr, 12
	.set _ZN2at6native27unrolled_elementwise_kernelIZZZNS0_16asin_kernel_cudaERNS_18TensorIteratorBaseEENKUlvE0_clEvENKUlvE1_clEvEUlN3c104HalfEE_St5arrayIPcLm2EELi4E23TrivialOffsetCalculatorILi1EjESD_NS0_6memory15LoadWithoutCastENSE_16StoreWithoutCastEEEviT_T0_T2_T3_T4_T5_.num_named_barrier, 0
	.set _ZN2at6native27unrolled_elementwise_kernelIZZZNS0_16asin_kernel_cudaERNS_18TensorIteratorBaseEENKUlvE0_clEvENKUlvE1_clEvEUlN3c104HalfEE_St5arrayIPcLm2EELi4E23TrivialOffsetCalculatorILi1EjESD_NS0_6memory15LoadWithoutCastENSE_16StoreWithoutCastEEEviT_T0_T2_T3_T4_T5_.private_seg_size, 0
	.set _ZN2at6native27unrolled_elementwise_kernelIZZZNS0_16asin_kernel_cudaERNS_18TensorIteratorBaseEENKUlvE0_clEvENKUlvE1_clEvEUlN3c104HalfEE_St5arrayIPcLm2EELi4E23TrivialOffsetCalculatorILi1EjESD_NS0_6memory15LoadWithoutCastENSE_16StoreWithoutCastEEEviT_T0_T2_T3_T4_T5_.uses_vcc, 1
	.set _ZN2at6native27unrolled_elementwise_kernelIZZZNS0_16asin_kernel_cudaERNS_18TensorIteratorBaseEENKUlvE0_clEvENKUlvE1_clEvEUlN3c104HalfEE_St5arrayIPcLm2EELi4E23TrivialOffsetCalculatorILi1EjESD_NS0_6memory15LoadWithoutCastENSE_16StoreWithoutCastEEEviT_T0_T2_T3_T4_T5_.uses_flat_scratch, 0
	.set _ZN2at6native27unrolled_elementwise_kernelIZZZNS0_16asin_kernel_cudaERNS_18TensorIteratorBaseEENKUlvE0_clEvENKUlvE1_clEvEUlN3c104HalfEE_St5arrayIPcLm2EELi4E23TrivialOffsetCalculatorILi1EjESD_NS0_6memory15LoadWithoutCastENSE_16StoreWithoutCastEEEviT_T0_T2_T3_T4_T5_.has_dyn_sized_stack, 0
	.set _ZN2at6native27unrolled_elementwise_kernelIZZZNS0_16asin_kernel_cudaERNS_18TensorIteratorBaseEENKUlvE0_clEvENKUlvE1_clEvEUlN3c104HalfEE_St5arrayIPcLm2EELi4E23TrivialOffsetCalculatorILi1EjESD_NS0_6memory15LoadWithoutCastENSE_16StoreWithoutCastEEEviT_T0_T2_T3_T4_T5_.has_recursion, 0
	.set _ZN2at6native27unrolled_elementwise_kernelIZZZNS0_16asin_kernel_cudaERNS_18TensorIteratorBaseEENKUlvE0_clEvENKUlvE1_clEvEUlN3c104HalfEE_St5arrayIPcLm2EELi4E23TrivialOffsetCalculatorILi1EjESD_NS0_6memory15LoadWithoutCastENSE_16StoreWithoutCastEEEviT_T0_T2_T3_T4_T5_.has_indirect_call, 0
	.section	.AMDGPU.csdata,"",@progbits
; Kernel info:
; codeLenInByte = 1428
; TotalNumSgprs: 16
; NumVgprs: 11
; ScratchSize: 0
; MemoryBound: 0
; FloatMode: 240
; IeeeMode: 1
; LDSByteSize: 0 bytes/workgroup (compile time only)
; SGPRBlocks: 1
; VGPRBlocks: 2
; NumSGPRsForWavesPerEU: 16
; NumVGPRsForWavesPerEU: 11
; Occupancy: 10
; WaveLimiterHint : 0
; COMPUTE_PGM_RSRC2:SCRATCH_EN: 0
; COMPUTE_PGM_RSRC2:USER_SGPR: 6
; COMPUTE_PGM_RSRC2:TRAP_HANDLER: 0
; COMPUTE_PGM_RSRC2:TGID_X_EN: 1
; COMPUTE_PGM_RSRC2:TGID_Y_EN: 0
; COMPUTE_PGM_RSRC2:TGID_Z_EN: 0
; COMPUTE_PGM_RSRC2:TIDIG_COMP_CNT: 0
	.section	.text._ZN2at6native32elementwise_kernel_manual_unrollILi128ELi8EZNS0_22gpu_kernel_impl_nocastIZZZNS0_16asin_kernel_cudaERNS_18TensorIteratorBaseEENKUlvE0_clEvENKUlvE1_clEvEUlN3c104HalfEE_EEvS4_RKT_EUlibE_EEviT1_,"axG",@progbits,_ZN2at6native32elementwise_kernel_manual_unrollILi128ELi8EZNS0_22gpu_kernel_impl_nocastIZZZNS0_16asin_kernel_cudaERNS_18TensorIteratorBaseEENKUlvE0_clEvENKUlvE1_clEvEUlN3c104HalfEE_EEvS4_RKT_EUlibE_EEviT1_,comdat
	.globl	_ZN2at6native32elementwise_kernel_manual_unrollILi128ELi8EZNS0_22gpu_kernel_impl_nocastIZZZNS0_16asin_kernel_cudaERNS_18TensorIteratorBaseEENKUlvE0_clEvENKUlvE1_clEvEUlN3c104HalfEE_EEvS4_RKT_EUlibE_EEviT1_ ; -- Begin function _ZN2at6native32elementwise_kernel_manual_unrollILi128ELi8EZNS0_22gpu_kernel_impl_nocastIZZZNS0_16asin_kernel_cudaERNS_18TensorIteratorBaseEENKUlvE0_clEvENKUlvE1_clEvEUlN3c104HalfEE_EEvS4_RKT_EUlibE_EEviT1_
	.p2align	8
	.type	_ZN2at6native32elementwise_kernel_manual_unrollILi128ELi8EZNS0_22gpu_kernel_impl_nocastIZZZNS0_16asin_kernel_cudaERNS_18TensorIteratorBaseEENKUlvE0_clEvENKUlvE1_clEvEUlN3c104HalfEE_EEvS4_RKT_EUlibE_EEviT1_,@function
_ZN2at6native32elementwise_kernel_manual_unrollILi128ELi8EZNS0_22gpu_kernel_impl_nocastIZZZNS0_16asin_kernel_cudaERNS_18TensorIteratorBaseEENKUlvE0_clEvENKUlvE1_clEvEUlN3c104HalfEE_EEvS4_RKT_EUlibE_EEviT1_: ; @_ZN2at6native32elementwise_kernel_manual_unrollILi128ELi8EZNS0_22gpu_kernel_impl_nocastIZZZNS0_16asin_kernel_cudaERNS_18TensorIteratorBaseEENKUlvE0_clEvENKUlvE1_clEvEUlN3c104HalfEE_EEvS4_RKT_EUlibE_EEviT1_
; %bb.0:
	s_load_dword s55, s[4:5], 0x0
	s_load_dword s33, s[4:5], 0x8
	s_add_u32 s34, s4, 8
	s_addc_u32 s35, s5, 0
	v_lshl_or_b32 v17, s6, 10, v0
	v_or_b32_e32 v24, 0x380, v17
	s_waitcnt lgkmcnt(0)
	s_add_i32 s54, s33, -1
	s_cmp_gt_u32 s54, 1
	v_cmp_le_i32_e32 vcc, s55, v24
	s_cselect_b64 s[36:37], -1, 0
	s_and_saveexec_b64 s[0:1], vcc
	s_xor_b64 s[38:39], exec, s[0:1]
	s_cbranch_execz .LBB54_7
; %bb.1:
	s_load_dwordx4 s[24:27], s[34:35], 0x4
	s_load_dwordx2 s[40:41], s[34:35], 0x14
	s_load_dwordx4 s[20:23], s[34:35], 0xc4
	s_load_dwordx4 s[16:19], s[34:35], 0x148
	s_cmp_lg_u32 s33, 0
	s_cselect_b64 s[46:47], -1, 0
	s_add_u32 s44, s34, 0xc4
	s_addc_u32 s45, s35, 0
	s_min_u32 s56, s54, 15
	s_cmp_gt_u32 s33, 1
	s_cselect_b64 s[42:43], -1, 0
	v_cmp_gt_i32_e32 vcc, s55, v17
	s_and_saveexec_b64 s[48:49], vcc
	s_cbranch_execz .LBB54_14
; %bb.2:
	s_andn2_b64 vcc, exec, s[36:37]
	s_cbranch_vccnz .LBB54_21
; %bb.3:
	s_andn2_b64 vcc, exec, s[46:47]
	s_cbranch_vccnz .LBB54_129
; %bb.4:
	s_add_i32 s58, s56, 1
	s_cmp_eq_u32 s54, 2
	s_cbranch_scc1 .LBB54_131
; %bb.5:
	s_and_b32 s57, s58, 28
	v_mov_b32_e32 v2, 0
	s_mov_b32 s59, 0
	s_mov_b64 s[50:51], s[34:35]
	s_mov_b64 s[52:53], s[44:45]
	v_mov_b32_e32 v0, 0
	v_mov_b32_e32 v1, v17
.LBB54_6:                               ; =>This Inner Loop Header: Depth=1
	s_load_dwordx8 s[8:15], s[50:51], 0x4
	s_load_dwordx4 s[28:31], s[50:51], 0x24
	s_load_dwordx8 s[0:7], s[52:53], 0x0
	s_add_u32 s50, s50, 48
	s_addc_u32 s51, s51, 0
	s_waitcnt lgkmcnt(0)
	v_mul_hi_u32 v3, s9, v1
	s_add_i32 s59, s59, 4
	s_add_u32 s52, s52, 32
	s_addc_u32 s53, s53, 0
	v_add_u32_e32 v3, v1, v3
	v_lshrrev_b32_e32 v3, s10, v3
	v_mul_lo_u32 v4, v3, s8
	v_mul_hi_u32 v5, s12, v3
	s_cmp_lg_u32 s57, s59
	v_sub_u32_e32 v1, v1, v4
	v_add_u32_e32 v4, v3, v5
	v_mul_lo_u32 v5, v1, s0
	v_mul_lo_u32 v6, v1, s1
	v_lshrrev_b32_e32 v1, s13, v4
	v_mul_lo_u32 v4, v1, s11
	v_mul_hi_u32 v7, s15, v1
	v_sub_u32_e32 v3, v3, v4
	v_add_u32_e32 v4, v1, v7
	v_lshrrev_b32_e32 v4, s28, v4
	v_mul_hi_u32 v8, s30, v4
	v_mul_lo_u32 v9, v4, s14
	v_mul_lo_u32 v7, v3, s2
	;; [unrolled: 1-line block ×3, first 2 shown]
	v_sub_u32_e32 v9, v1, v9
	v_add_u32_e32 v1, v4, v8
	v_lshrrev_b32_e32 v1, s31, v1
	v_mul_lo_u32 v8, v1, s29
	v_mul_lo_u32 v10, v9, s4
	;; [unrolled: 1-line block ×3, first 2 shown]
	v_add3_u32 v0, v5, v0, v7
	v_sub_u32_e32 v4, v4, v8
	v_mul_lo_u32 v8, v4, s6
	v_mul_lo_u32 v4, v4, s7
	v_add3_u32 v2, v6, v2, v3
	v_add3_u32 v0, v10, v0, v8
	;; [unrolled: 1-line block ×3, first 2 shown]
	s_cbranch_scc1 .LBB54_6
	s_branch .LBB54_132
.LBB54_7:
	s_andn2_saveexec_b64 s[0:1], s[38:39]
	s_cbranch_execz .LBB54_221
.LBB54_8:
	v_cndmask_b32_e64 v0, 0, 1, s[36:37]
	v_cmp_ne_u32_e64 s[0:1], 1, v0
	s_andn2_b64 vcc, exec, s[36:37]
	s_cbranch_vccnz .LBB54_20
; %bb.9:
	s_cmp_lg_u32 s33, 0
	s_waitcnt lgkmcnt(0)
	s_mov_b32 s26, 0
	s_cbranch_scc0 .LBB54_23
; %bb.10:
	s_min_u32 s27, s54, 15
	s_add_i32 s27, s27, 1
	s_cmp_eq_u32 s54, 2
	s_cbranch_scc1 .LBB54_24
; %bb.11:
	s_and_b32 s26, s27, 28
	s_add_u32 s2, s34, 0xc4
	s_addc_u32 s3, s35, 0
	v_mov_b32_e32 v3, 0
	s_mov_b32 s28, 0
	s_mov_b64 s[24:25], s[34:35]
	v_mov_b32_e32 v0, 0
	v_mov_b32_e32 v1, v17
.LBB54_12:                              ; =>This Inner Loop Header: Depth=1
	s_load_dwordx8 s[12:19], s[24:25], 0x4
	s_load_dwordx4 s[20:23], s[24:25], 0x24
	s_load_dwordx8 s[4:11], s[2:3], 0x0
	s_add_u32 s24, s24, 48
	s_addc_u32 s25, s25, 0
	s_waitcnt lgkmcnt(0)
	v_mul_hi_u32 v2, s13, v1
	s_add_i32 s28, s28, 4
	s_add_u32 s2, s2, 32
	s_addc_u32 s3, s3, 0
	v_add_u32_e32 v2, v1, v2
	v_lshrrev_b32_e32 v2, s14, v2
	v_mul_lo_u32 v4, v2, s12
	v_mul_hi_u32 v5, s16, v2
	s_cmp_lg_u32 s26, s28
	v_sub_u32_e32 v1, v1, v4
	v_add_u32_e32 v4, v2, v5
	v_mul_lo_u32 v5, v1, s4
	v_mul_lo_u32 v6, v1, s5
	v_lshrrev_b32_e32 v1, s17, v4
	v_mul_lo_u32 v4, v1, s15
	v_mul_hi_u32 v7, s19, v1
	v_sub_u32_e32 v2, v2, v4
	v_add_u32_e32 v4, v1, v7
	v_lshrrev_b32_e32 v4, s20, v4
	v_mul_hi_u32 v8, s22, v4
	v_mul_lo_u32 v9, v4, s18
	v_mul_lo_u32 v7, v2, s6
	v_mul_lo_u32 v2, v2, s7
	v_sub_u32_e32 v9, v1, v9
	v_add_u32_e32 v1, v4, v8
	v_lshrrev_b32_e32 v1, s23, v1
	v_mul_lo_u32 v8, v1, s21
	v_mul_lo_u32 v10, v9, s8
	;; [unrolled: 1-line block ×3, first 2 shown]
	v_add3_u32 v0, v5, v0, v7
	v_sub_u32_e32 v4, v4, v8
	v_mul_lo_u32 v8, v4, s10
	v_mul_lo_u32 v4, v4, s11
	v_add3_u32 v2, v6, v3, v2
	v_add3_u32 v0, v10, v0, v8
	;; [unrolled: 1-line block ×3, first 2 shown]
	s_cbranch_scc1 .LBB54_12
; %bb.13:
	s_and_b32 s6, s27, 3
	s_cmp_eq_u32 s6, 0
	s_cbranch_scc0 .LBB54_25
	s_branch .LBB54_27
.LBB54_14:
	s_or_b64 exec, exec, s[48:49]
	v_cmp_gt_i32_e32 vcc, s55, v17
	s_and_saveexec_b64 s[48:49], vcc
	s_cbranch_execz .LBB54_139
.LBB54_15:
	s_andn2_b64 vcc, exec, s[36:37]
	s_cbranch_vccnz .LBB54_22
; %bb.16:
	s_andn2_b64 vcc, exec, s[46:47]
	s_cbranch_vccnz .LBB54_130
; %bb.17:
	s_add_i32 s58, s56, 1
	s_cmp_eq_u32 s54, 2
	s_cbranch_scc1 .LBB54_147
; %bb.18:
	s_and_b32 s57, s58, 28
	v_mov_b32_e32 v2, 0
	s_mov_b32 s59, 0
	s_mov_b64 s[50:51], s[34:35]
	s_mov_b64 s[52:53], s[44:45]
	v_mov_b32_e32 v0, 0
	v_mov_b32_e32 v1, v17
.LBB54_19:                              ; =>This Inner Loop Header: Depth=1
	s_load_dwordx8 s[8:15], s[50:51], 0x4
	s_load_dwordx4 s[28:31], s[50:51], 0x24
	s_load_dwordx8 s[0:7], s[52:53], 0x0
	s_add_u32 s50, s50, 48
	s_addc_u32 s51, s51, 0
	s_waitcnt lgkmcnt(0)
	v_mul_hi_u32 v3, s9, v1
	s_add_i32 s59, s59, 4
	s_add_u32 s52, s52, 32
	s_addc_u32 s53, s53, 0
	v_add_u32_e32 v3, v1, v3
	v_lshrrev_b32_e32 v3, s10, v3
	v_mul_lo_u32 v4, v3, s8
	v_mul_hi_u32 v5, s12, v3
	s_cmp_eq_u32 s57, s59
	v_sub_u32_e32 v1, v1, v4
	v_add_u32_e32 v4, v3, v5
	v_mul_lo_u32 v5, v1, s0
	v_mul_lo_u32 v6, v1, s1
	v_lshrrev_b32_e32 v1, s13, v4
	v_mul_lo_u32 v4, v1, s11
	v_mul_hi_u32 v7, s15, v1
	v_sub_u32_e32 v3, v3, v4
	v_add_u32_e32 v4, v1, v7
	v_lshrrev_b32_e32 v4, s28, v4
	v_mul_hi_u32 v8, s30, v4
	v_mul_lo_u32 v9, v4, s14
	v_mul_lo_u32 v7, v3, s2
	;; [unrolled: 1-line block ×3, first 2 shown]
	v_sub_u32_e32 v9, v1, v9
	v_add_u32_e32 v1, v4, v8
	v_lshrrev_b32_e32 v1, s31, v1
	v_mul_lo_u32 v8, v1, s29
	v_mul_lo_u32 v10, v9, s4
	;; [unrolled: 1-line block ×3, first 2 shown]
	v_add3_u32 v0, v5, v0, v7
	v_sub_u32_e32 v4, v4, v8
	v_mul_lo_u32 v8, v4, s6
	v_mul_lo_u32 v4, v4, s7
	v_add3_u32 v2, v6, v2, v3
	v_add3_u32 v0, v10, v0, v8
	;; [unrolled: 1-line block ×3, first 2 shown]
	s_cbranch_scc0 .LBB54_19
	s_branch .LBB54_148
.LBB54_20:
                                        ; implicit-def: $vgpr0
                                        ; implicit-def: $vgpr3
	s_branch .LBB54_28
.LBB54_21:
                                        ; implicit-def: $vgpr0
                                        ; implicit-def: $vgpr2
	s_branch .LBB54_136
.LBB54_22:
                                        ; implicit-def: $vgpr0
                                        ; implicit-def: $vgpr2
	s_branch .LBB54_152
.LBB54_23:
	v_mov_b32_e32 v0, 0
	v_mov_b32_e32 v3, 0
	s_branch .LBB54_27
.LBB54_24:
	v_mov_b32_e32 v0, 0
	v_mov_b32_e32 v3, 0
	;; [unrolled: 1-line block ×3, first 2 shown]
	s_and_b32 s6, s27, 3
	s_cmp_eq_u32 s6, 0
	s_cbranch_scc1 .LBB54_27
.LBB54_25:
	s_lshl_b32 s2, s26, 3
	s_add_u32 s2, s34, s2
	s_addc_u32 s3, s35, 0
	s_add_u32 s2, s2, 0xc4
	s_addc_u32 s3, s3, 0
	s_mul_i32 s4, s26, 12
	s_add_u32 s4, s34, s4
	s_addc_u32 s5, s35, 0
.LBB54_26:                              ; =>This Inner Loop Header: Depth=1
	s_load_dwordx2 s[8:9], s[4:5], 0x4
	s_load_dword s7, s[4:5], 0xc
	s_load_dwordx2 s[10:11], s[2:3], 0x0
	s_add_u32 s4, s4, 12
	s_addc_u32 s5, s5, 0
	s_waitcnt lgkmcnt(0)
	v_mul_hi_u32 v2, s9, v1
	s_add_u32 s2, s2, 8
	s_addc_u32 s3, s3, 0
	s_add_i32 s6, s6, -1
	v_add_u32_e32 v2, v1, v2
	v_lshrrev_b32_e32 v2, s7, v2
	v_mul_lo_u32 v5, v2, s8
	s_cmp_lg_u32 s6, 0
	v_sub_u32_e32 v5, v1, v5
	v_mad_u64_u32 v[0:1], s[8:9], v5, s10, v[0:1]
	v_mad_u64_u32 v[3:4], s[8:9], v5, s11, v[3:4]
	v_mov_b32_e32 v1, v2
	s_cbranch_scc1 .LBB54_26
.LBB54_27:
	s_cbranch_execnz .LBB54_30
.LBB54_28:
	s_load_dwordx4 s[4:7], s[34:35], 0x4
	s_load_dwordx2 s[2:3], s[34:35], 0xc4
	s_cmp_lt_u32 s33, 2
	s_waitcnt lgkmcnt(0)
	v_mul_hi_u32 v0, s5, v17
	v_add_u32_e32 v0, v17, v0
	v_lshrrev_b32_e32 v1, s6, v0
	v_mul_lo_u32 v0, v1, s4
	v_sub_u32_e32 v2, v17, v0
	v_mul_lo_u32 v0, v2, s2
	v_mul_lo_u32 v3, v2, s3
	s_cbranch_scc1 .LBB54_30
; %bb.29:
	s_load_dwordx4 s[4:7], s[34:35], 0x10
	s_load_dwordx2 s[2:3], s[34:35], 0xcc
	s_waitcnt lgkmcnt(0)
	v_mul_hi_u32 v2, s5, v1
	v_add_u32_e32 v2, v1, v2
	v_lshrrev_b32_e32 v2, s6, v2
	v_mul_lo_u32 v2, v2, s4
	v_sub_u32_e32 v2, v1, v2
	v_mad_u64_u32 v[0:1], s[4:5], v2, s2, v[0:1]
	v_mad_u64_u32 v[3:4], s[2:3], v2, s3, v[3:4]
.LBB54_30:
	s_and_b64 vcc, exec, s[0:1]
	v_add_u32_e32 v4, 0x80, v17
	s_cbranch_vccnz .LBB54_36
; %bb.31:
	s_cmp_lg_u32 s33, 0
	s_waitcnt lgkmcnt(0)
	s_mov_b32 s26, 0
	s_cbranch_scc0 .LBB54_37
; %bb.32:
	s_min_u32 s27, s54, 15
	s_add_i32 s27, s27, 1
	s_cmp_eq_u32 s54, 2
	s_cbranch_scc1 .LBB54_38
; %bb.33:
	s_and_b32 s26, s27, 28
	s_add_u32 s2, s34, 0xc4
	s_addc_u32 s3, s35, 0
	v_mov_b32_e32 v6, 0
	s_mov_b32 s28, 0
	s_mov_b64 s[24:25], s[34:35]
	v_mov_b32_e32 v1, 0
	v_mov_b32_e32 v2, v4
.LBB54_34:                              ; =>This Inner Loop Header: Depth=1
	s_load_dwordx8 s[12:19], s[24:25], 0x4
	s_load_dwordx4 s[20:23], s[24:25], 0x24
	s_load_dwordx8 s[4:11], s[2:3], 0x0
	s_add_u32 s24, s24, 48
	s_addc_u32 s25, s25, 0
	s_waitcnt lgkmcnt(0)
	v_mul_hi_u32 v5, s13, v2
	s_add_i32 s28, s28, 4
	s_add_u32 s2, s2, 32
	s_addc_u32 s3, s3, 0
	v_add_u32_e32 v5, v2, v5
	v_lshrrev_b32_e32 v5, s14, v5
	v_mul_lo_u32 v7, v5, s12
	v_mul_hi_u32 v8, s16, v5
	s_cmp_lg_u32 s26, s28
	v_sub_u32_e32 v2, v2, v7
	v_add_u32_e32 v7, v5, v8
	v_mul_lo_u32 v8, v2, s4
	v_mul_lo_u32 v9, v2, s5
	v_lshrrev_b32_e32 v2, s17, v7
	v_mul_lo_u32 v7, v2, s15
	v_mul_hi_u32 v10, s19, v2
	v_sub_u32_e32 v5, v5, v7
	v_add_u32_e32 v7, v2, v10
	v_lshrrev_b32_e32 v7, s20, v7
	v_mul_hi_u32 v11, s22, v7
	v_mul_lo_u32 v12, v7, s18
	v_mul_lo_u32 v10, v5, s6
	;; [unrolled: 1-line block ×3, first 2 shown]
	v_sub_u32_e32 v12, v2, v12
	v_add_u32_e32 v2, v7, v11
	v_lshrrev_b32_e32 v2, s23, v2
	v_mul_lo_u32 v11, v2, s21
	v_mul_lo_u32 v13, v12, s8
	;; [unrolled: 1-line block ×3, first 2 shown]
	v_add3_u32 v1, v8, v1, v10
	v_sub_u32_e32 v7, v7, v11
	v_mul_lo_u32 v11, v7, s10
	v_mul_lo_u32 v7, v7, s11
	v_add3_u32 v5, v9, v6, v5
	v_add3_u32 v1, v13, v1, v11
	;; [unrolled: 1-line block ×3, first 2 shown]
	s_cbranch_scc1 .LBB54_34
; %bb.35:
	s_and_b32 s6, s27, 3
	s_cmp_eq_u32 s6, 0
	s_cbranch_scc0 .LBB54_39
	s_branch .LBB54_41
.LBB54_36:
                                        ; implicit-def: $vgpr1
                                        ; implicit-def: $vgpr6
	s_branch .LBB54_42
.LBB54_37:
	v_mov_b32_e32 v1, 0
	v_mov_b32_e32 v6, 0
	s_branch .LBB54_41
.LBB54_38:
	v_mov_b32_e32 v1, 0
	v_mov_b32_e32 v6, 0
	v_mov_b32_e32 v2, v4
	s_and_b32 s6, s27, 3
	s_cmp_eq_u32 s6, 0
	s_cbranch_scc1 .LBB54_41
.LBB54_39:
	s_lshl_b32 s2, s26, 3
	s_add_u32 s2, s34, s2
	s_addc_u32 s3, s35, 0
	s_add_u32 s2, s2, 0xc4
	s_addc_u32 s3, s3, 0
	s_mul_i32 s4, s26, 12
	s_add_u32 s4, s34, s4
	s_addc_u32 s5, s35, 0
.LBB54_40:                              ; =>This Inner Loop Header: Depth=1
	s_load_dwordx2 s[8:9], s[4:5], 0x4
	s_load_dword s7, s[4:5], 0xc
	s_load_dwordx2 s[10:11], s[2:3], 0x0
	s_add_u32 s4, s4, 12
	s_addc_u32 s5, s5, 0
	s_waitcnt lgkmcnt(0)
	v_mul_hi_u32 v5, s9, v2
	s_add_u32 s2, s2, 8
	s_addc_u32 s3, s3, 0
	s_add_i32 s6, s6, -1
	v_add_u32_e32 v5, v2, v5
	v_lshrrev_b32_e32 v5, s7, v5
	v_mul_lo_u32 v8, v5, s8
	s_cmp_lg_u32 s6, 0
	v_sub_u32_e32 v8, v2, v8
	v_mad_u64_u32 v[1:2], s[8:9], v8, s10, v[1:2]
	v_mad_u64_u32 v[6:7], s[8:9], v8, s11, v[6:7]
	v_mov_b32_e32 v2, v5
	s_cbranch_scc1 .LBB54_40
.LBB54_41:
	s_cbranch_execnz .LBB54_44
.LBB54_42:
	s_load_dwordx4 s[4:7], s[34:35], 0x4
	s_load_dwordx2 s[2:3], s[34:35], 0xc4
	s_cmp_lt_u32 s33, 2
	s_waitcnt lgkmcnt(0)
	v_mul_hi_u32 v1, s5, v4
	v_add_u32_e32 v1, v4, v1
	v_lshrrev_b32_e32 v2, s6, v1
	v_mul_lo_u32 v1, v2, s4
	v_sub_u32_e32 v4, v4, v1
	v_mul_lo_u32 v1, v4, s2
	v_mul_lo_u32 v6, v4, s3
	s_cbranch_scc1 .LBB54_44
; %bb.43:
	s_load_dwordx4 s[4:7], s[34:35], 0x10
	s_load_dwordx2 s[2:3], s[34:35], 0xcc
	s_waitcnt lgkmcnt(0)
	v_mul_hi_u32 v4, s5, v2
	v_add_u32_e32 v4, v2, v4
	v_lshrrev_b32_e32 v4, s6, v4
	v_mul_lo_u32 v4, v4, s4
	v_sub_u32_e32 v4, v2, v4
	v_mad_u64_u32 v[1:2], s[4:5], v4, s2, v[1:2]
	v_mad_u64_u32 v[6:7], s[2:3], v4, s3, v[6:7]
.LBB54_44:
	s_and_b64 vcc, exec, s[0:1]
	v_add_u32_e32 v2, 0x100, v17
	s_cbranch_vccnz .LBB54_50
; %bb.45:
	s_cmp_lg_u32 s33, 0
	s_waitcnt lgkmcnt(0)
	s_mov_b32 s26, 0
	s_cbranch_scc0 .LBB54_51
; %bb.46:
	s_min_u32 s27, s54, 15
	s_add_i32 s27, s27, 1
	s_cmp_eq_u32 s54, 2
	s_cbranch_scc1 .LBB54_52
; %bb.47:
	s_and_b32 s26, s27, 28
	s_add_u32 s2, s34, 0xc4
	s_addc_u32 s3, s35, 0
	v_mov_b32_e32 v9, 0
	s_mov_b32 s28, 0
	s_mov_b64 s[24:25], s[34:35]
	v_mov_b32_e32 v4, 0
	v_mov_b32_e32 v5, v2
.LBB54_48:                              ; =>This Inner Loop Header: Depth=1
	s_load_dwordx8 s[12:19], s[24:25], 0x4
	s_load_dwordx4 s[20:23], s[24:25], 0x24
	s_load_dwordx8 s[4:11], s[2:3], 0x0
	s_add_u32 s24, s24, 48
	s_addc_u32 s25, s25, 0
	s_waitcnt lgkmcnt(0)
	v_mul_hi_u32 v7, s13, v5
	s_add_i32 s28, s28, 4
	s_add_u32 s2, s2, 32
	s_addc_u32 s3, s3, 0
	v_add_u32_e32 v7, v5, v7
	v_lshrrev_b32_e32 v7, s14, v7
	v_mul_lo_u32 v8, v7, s12
	v_mul_hi_u32 v10, s16, v7
	s_cmp_lg_u32 s26, s28
	v_sub_u32_e32 v5, v5, v8
	v_add_u32_e32 v8, v7, v10
	v_mul_lo_u32 v10, v5, s4
	v_mul_lo_u32 v11, v5, s5
	v_lshrrev_b32_e32 v5, s17, v8
	v_mul_lo_u32 v8, v5, s15
	v_mul_hi_u32 v12, s19, v5
	v_sub_u32_e32 v7, v7, v8
	v_add_u32_e32 v8, v5, v12
	v_lshrrev_b32_e32 v8, s20, v8
	v_mul_hi_u32 v13, s22, v8
	v_mul_lo_u32 v14, v8, s18
	v_mul_lo_u32 v12, v7, s6
	;; [unrolled: 1-line block ×3, first 2 shown]
	v_sub_u32_e32 v14, v5, v14
	v_add_u32_e32 v5, v8, v13
	v_lshrrev_b32_e32 v5, s23, v5
	v_mul_lo_u32 v13, v5, s21
	v_mul_lo_u32 v15, v14, s8
	;; [unrolled: 1-line block ×3, first 2 shown]
	v_add3_u32 v4, v10, v4, v12
	v_sub_u32_e32 v8, v8, v13
	v_mul_lo_u32 v13, v8, s10
	v_mul_lo_u32 v8, v8, s11
	v_add3_u32 v7, v11, v9, v7
	v_add3_u32 v4, v15, v4, v13
	;; [unrolled: 1-line block ×3, first 2 shown]
	s_cbranch_scc1 .LBB54_48
; %bb.49:
	s_and_b32 s6, s27, 3
	s_cmp_eq_u32 s6, 0
	s_cbranch_scc0 .LBB54_53
	s_branch .LBB54_55
.LBB54_50:
                                        ; implicit-def: $vgpr4
                                        ; implicit-def: $vgpr9
	s_branch .LBB54_56
.LBB54_51:
	v_mov_b32_e32 v4, 0
	v_mov_b32_e32 v9, 0
	s_branch .LBB54_55
.LBB54_52:
	v_mov_b32_e32 v4, 0
	v_mov_b32_e32 v9, 0
	;; [unrolled: 1-line block ×3, first 2 shown]
	s_and_b32 s6, s27, 3
	s_cmp_eq_u32 s6, 0
	s_cbranch_scc1 .LBB54_55
.LBB54_53:
	s_lshl_b32 s2, s26, 3
	s_add_u32 s2, s34, s2
	s_addc_u32 s3, s35, 0
	s_add_u32 s2, s2, 0xc4
	s_addc_u32 s3, s3, 0
	s_mul_i32 s4, s26, 12
	s_add_u32 s4, s34, s4
	s_addc_u32 s5, s35, 0
.LBB54_54:                              ; =>This Inner Loop Header: Depth=1
	s_load_dwordx2 s[8:9], s[4:5], 0x4
	s_load_dword s7, s[4:5], 0xc
	s_load_dwordx2 s[10:11], s[2:3], 0x0
	s_add_u32 s4, s4, 12
	s_addc_u32 s5, s5, 0
	s_waitcnt lgkmcnt(0)
	v_mul_hi_u32 v7, s9, v5
	s_add_u32 s2, s2, 8
	s_addc_u32 s3, s3, 0
	s_add_i32 s6, s6, -1
	v_add_u32_e32 v7, v5, v7
	v_lshrrev_b32_e32 v7, s7, v7
	v_mul_lo_u32 v8, v7, s8
	s_cmp_lg_u32 s6, 0
	v_sub_u32_e32 v8, v5, v8
	v_mad_u64_u32 v[4:5], s[8:9], v8, s10, v[4:5]
	v_mad_u64_u32 v[9:10], s[8:9], v8, s11, v[9:10]
	v_mov_b32_e32 v5, v7
	s_cbranch_scc1 .LBB54_54
.LBB54_55:
	s_cbranch_execnz .LBB54_58
.LBB54_56:
	s_load_dwordx4 s[4:7], s[34:35], 0x4
	s_load_dwordx2 s[2:3], s[34:35], 0xc4
	s_cmp_lt_u32 s33, 2
	s_waitcnt lgkmcnt(0)
	v_mul_hi_u32 v4, s5, v2
	v_add_u32_e32 v4, v2, v4
	v_lshrrev_b32_e32 v5, s6, v4
	v_mul_lo_u32 v4, v5, s4
	v_sub_u32_e32 v2, v2, v4
	v_mul_lo_u32 v4, v2, s2
	v_mul_lo_u32 v9, v2, s3
	s_cbranch_scc1 .LBB54_58
; %bb.57:
	s_load_dwordx4 s[4:7], s[34:35], 0x10
	s_load_dwordx2 s[2:3], s[34:35], 0xcc
	s_waitcnt lgkmcnt(0)
	v_mul_hi_u32 v2, s5, v5
	v_add_u32_e32 v2, v5, v2
	v_lshrrev_b32_e32 v2, s6, v2
	v_mul_lo_u32 v2, v2, s4
	v_sub_u32_e32 v2, v5, v2
	v_mad_u64_u32 v[4:5], s[4:5], v2, s2, v[4:5]
	v_mad_u64_u32 v[9:10], s[2:3], v2, s3, v[9:10]
.LBB54_58:
	s_and_b64 vcc, exec, s[0:1]
	v_add_u32_e32 v2, 0x180, v17
	s_cbranch_vccnz .LBB54_64
; %bb.59:
	s_cmp_lg_u32 s33, 0
	s_waitcnt lgkmcnt(0)
	s_mov_b32 s26, 0
	s_cbranch_scc0 .LBB54_65
; %bb.60:
	s_min_u32 s27, s54, 15
	s_add_i32 s27, s27, 1
	s_cmp_eq_u32 s54, 2
	s_cbranch_scc1 .LBB54_66
; %bb.61:
	s_and_b32 s26, s27, 28
	s_add_u32 s2, s34, 0xc4
	s_addc_u32 s3, s35, 0
	v_mov_b32_e32 v12, 0
	s_mov_b32 s28, 0
	s_mov_b64 s[24:25], s[34:35]
	v_mov_b32_e32 v7, 0
	v_mov_b32_e32 v5, v2
.LBB54_62:                              ; =>This Inner Loop Header: Depth=1
	s_load_dwordx8 s[12:19], s[24:25], 0x4
	s_load_dwordx4 s[20:23], s[24:25], 0x24
	s_load_dwordx8 s[4:11], s[2:3], 0x0
	s_add_u32 s24, s24, 48
	s_addc_u32 s25, s25, 0
	s_waitcnt lgkmcnt(0)
	v_mul_hi_u32 v8, s13, v5
	s_add_i32 s28, s28, 4
	s_add_u32 s2, s2, 32
	s_addc_u32 s3, s3, 0
	v_add_u32_e32 v8, v5, v8
	v_lshrrev_b32_e32 v8, s14, v8
	v_mul_lo_u32 v10, v8, s12
	v_mul_hi_u32 v11, s16, v8
	s_cmp_lg_u32 s26, s28
	v_sub_u32_e32 v5, v5, v10
	v_add_u32_e32 v10, v8, v11
	v_mul_lo_u32 v11, v5, s4
	v_mul_lo_u32 v13, v5, s5
	v_lshrrev_b32_e32 v5, s17, v10
	v_mul_lo_u32 v10, v5, s15
	v_mul_hi_u32 v14, s19, v5
	v_sub_u32_e32 v8, v8, v10
	v_add_u32_e32 v10, v5, v14
	v_lshrrev_b32_e32 v10, s20, v10
	v_mul_hi_u32 v15, s22, v10
	v_mul_lo_u32 v16, v10, s18
	v_mul_lo_u32 v14, v8, s6
	;; [unrolled: 1-line block ×3, first 2 shown]
	v_sub_u32_e32 v16, v5, v16
	v_add_u32_e32 v5, v10, v15
	v_lshrrev_b32_e32 v5, s23, v5
	v_mul_lo_u32 v15, v5, s21
	v_mul_lo_u32 v18, v16, s8
	;; [unrolled: 1-line block ×3, first 2 shown]
	v_add3_u32 v7, v11, v7, v14
	v_sub_u32_e32 v10, v10, v15
	v_mul_lo_u32 v15, v10, s10
	v_mul_lo_u32 v10, v10, s11
	v_add3_u32 v8, v13, v12, v8
	v_add3_u32 v7, v18, v7, v15
	;; [unrolled: 1-line block ×3, first 2 shown]
	s_cbranch_scc1 .LBB54_62
; %bb.63:
	s_and_b32 s6, s27, 3
	s_cmp_eq_u32 s6, 0
	s_cbranch_scc0 .LBB54_67
	s_branch .LBB54_69
.LBB54_64:
                                        ; implicit-def: $vgpr7
                                        ; implicit-def: $vgpr12
	s_branch .LBB54_70
.LBB54_65:
	v_mov_b32_e32 v7, 0
	v_mov_b32_e32 v12, 0
	s_branch .LBB54_69
.LBB54_66:
	v_mov_b32_e32 v7, 0
	v_mov_b32_e32 v12, 0
	;; [unrolled: 1-line block ×3, first 2 shown]
	s_and_b32 s6, s27, 3
	s_cmp_eq_u32 s6, 0
	s_cbranch_scc1 .LBB54_69
.LBB54_67:
	s_lshl_b32 s2, s26, 3
	s_add_u32 s2, s34, s2
	s_addc_u32 s3, s35, 0
	s_add_u32 s2, s2, 0xc4
	s_addc_u32 s3, s3, 0
	s_mul_i32 s4, s26, 12
	s_add_u32 s4, s34, s4
	s_addc_u32 s5, s35, 0
.LBB54_68:                              ; =>This Inner Loop Header: Depth=1
	s_load_dwordx2 s[8:9], s[4:5], 0x4
	s_load_dword s7, s[4:5], 0xc
	s_load_dwordx2 s[10:11], s[2:3], 0x0
	s_add_u32 s4, s4, 12
	s_addc_u32 s5, s5, 0
	s_waitcnt lgkmcnt(0)
	v_mul_hi_u32 v8, s9, v5
	s_add_u32 s2, s2, 8
	s_addc_u32 s3, s3, 0
	s_add_i32 s6, s6, -1
	v_add_u32_e32 v8, v5, v8
	v_lshrrev_b32_e32 v10, s7, v8
	v_mul_lo_u32 v8, v10, s8
	s_cmp_lg_u32 s6, 0
	v_sub_u32_e32 v5, v5, v8
	v_mad_u64_u32 v[7:8], s[8:9], v5, s10, v[7:8]
	v_mad_u64_u32 v[12:13], s[8:9], v5, s11, v[12:13]
	v_mov_b32_e32 v5, v10
	s_cbranch_scc1 .LBB54_68
.LBB54_69:
	s_cbranch_execnz .LBB54_72
.LBB54_70:
	s_load_dwordx4 s[4:7], s[34:35], 0x4
	s_load_dwordx2 s[2:3], s[34:35], 0xc4
	s_cmp_lt_u32 s33, 2
	s_waitcnt lgkmcnt(0)
	v_mul_hi_u32 v5, s5, v2
	v_add_u32_e32 v5, v2, v5
	v_lshrrev_b32_e32 v5, s6, v5
	v_mul_lo_u32 v7, v5, s4
	v_sub_u32_e32 v2, v2, v7
	v_mul_lo_u32 v7, v2, s2
	v_mul_lo_u32 v12, v2, s3
	s_cbranch_scc1 .LBB54_72
; %bb.71:
	s_load_dwordx4 s[4:7], s[34:35], 0x10
	s_load_dwordx2 s[2:3], s[34:35], 0xcc
	s_waitcnt lgkmcnt(0)
	v_mul_hi_u32 v2, s5, v5
	v_add_u32_e32 v2, v5, v2
	v_lshrrev_b32_e32 v2, s6, v2
	v_mul_lo_u32 v2, v2, s4
	v_sub_u32_e32 v2, v5, v2
	v_mad_u64_u32 v[7:8], s[4:5], v2, s2, v[7:8]
	v_mad_u64_u32 v[12:13], s[2:3], v2, s3, v[12:13]
.LBB54_72:
	s_and_b64 vcc, exec, s[0:1]
	v_add_u32_e32 v2, 0x200, v17
	s_cbranch_vccnz .LBB54_78
; %bb.73:
	s_cmp_lg_u32 s33, 0
	s_waitcnt lgkmcnt(0)
	s_mov_b32 s26, 0
	s_cbranch_scc0 .LBB54_79
; %bb.74:
	s_min_u32 s27, s54, 15
	s_add_i32 s27, s27, 1
	s_cmp_eq_u32 s54, 2
	s_cbranch_scc1 .LBB54_80
; %bb.75:
	s_and_b32 s26, s27, 28
	s_add_u32 s2, s34, 0xc4
	s_addc_u32 s3, s35, 0
	v_mov_b32_e32 v15, 0
	s_mov_b32 s28, 0
	s_mov_b64 s[24:25], s[34:35]
	v_mov_b32_e32 v10, 0
	v_mov_b32_e32 v5, v2
.LBB54_76:                              ; =>This Inner Loop Header: Depth=1
	s_load_dwordx8 s[12:19], s[24:25], 0x4
	s_load_dwordx4 s[20:23], s[24:25], 0x24
	s_load_dwordx8 s[4:11], s[2:3], 0x0
	s_add_u32 s24, s24, 48
	s_addc_u32 s25, s25, 0
	s_waitcnt lgkmcnt(0)
	v_mul_hi_u32 v8, s13, v5
	s_add_i32 s28, s28, 4
	s_add_u32 s2, s2, 32
	s_addc_u32 s3, s3, 0
	v_add_u32_e32 v8, v5, v8
	v_lshrrev_b32_e32 v8, s14, v8
	v_mul_lo_u32 v11, v8, s12
	v_mul_hi_u32 v13, s16, v8
	s_cmp_lg_u32 s26, s28
	v_sub_u32_e32 v5, v5, v11
	v_add_u32_e32 v11, v8, v13
	v_mul_lo_u32 v13, v5, s4
	v_mul_lo_u32 v14, v5, s5
	v_lshrrev_b32_e32 v5, s17, v11
	v_mul_lo_u32 v11, v5, s15
	v_mul_hi_u32 v16, s19, v5
	v_sub_u32_e32 v8, v8, v11
	v_add_u32_e32 v11, v5, v16
	v_lshrrev_b32_e32 v11, s20, v11
	v_mul_hi_u32 v18, s22, v11
	v_mul_lo_u32 v19, v11, s18
	v_mul_lo_u32 v16, v8, s6
	;; [unrolled: 1-line block ×3, first 2 shown]
	v_sub_u32_e32 v19, v5, v19
	v_add_u32_e32 v5, v11, v18
	v_lshrrev_b32_e32 v5, s23, v5
	v_mul_lo_u32 v18, v5, s21
	v_mul_lo_u32 v20, v19, s8
	;; [unrolled: 1-line block ×3, first 2 shown]
	v_add3_u32 v10, v13, v10, v16
	v_sub_u32_e32 v11, v11, v18
	v_mul_lo_u32 v18, v11, s10
	v_mul_lo_u32 v11, v11, s11
	v_add3_u32 v8, v14, v15, v8
	v_add3_u32 v10, v20, v10, v18
	;; [unrolled: 1-line block ×3, first 2 shown]
	s_cbranch_scc1 .LBB54_76
; %bb.77:
	s_and_b32 s6, s27, 3
	s_cmp_eq_u32 s6, 0
	s_cbranch_scc0 .LBB54_81
	s_branch .LBB54_83
.LBB54_78:
                                        ; implicit-def: $vgpr10
                                        ; implicit-def: $vgpr15
	s_branch .LBB54_84
.LBB54_79:
	v_mov_b32_e32 v10, 0
	v_mov_b32_e32 v15, 0
	s_branch .LBB54_83
.LBB54_80:
	v_mov_b32_e32 v10, 0
	v_mov_b32_e32 v15, 0
	;; [unrolled: 1-line block ×3, first 2 shown]
	s_and_b32 s6, s27, 3
	s_cmp_eq_u32 s6, 0
	s_cbranch_scc1 .LBB54_83
.LBB54_81:
	s_lshl_b32 s2, s26, 3
	s_add_u32 s2, s34, s2
	s_addc_u32 s3, s35, 0
	s_add_u32 s2, s2, 0xc4
	s_addc_u32 s3, s3, 0
	s_mul_i32 s4, s26, 12
	s_add_u32 s4, s34, s4
	s_addc_u32 s5, s35, 0
.LBB54_82:                              ; =>This Inner Loop Header: Depth=1
	s_load_dwordx2 s[8:9], s[4:5], 0x4
	s_load_dword s7, s[4:5], 0xc
	s_load_dwordx2 s[10:11], s[2:3], 0x0
	s_add_u32 s4, s4, 12
	s_addc_u32 s5, s5, 0
	s_waitcnt lgkmcnt(0)
	v_mul_hi_u32 v8, s9, v5
	s_add_u32 s2, s2, 8
	s_addc_u32 s3, s3, 0
	s_add_i32 s6, s6, -1
	v_add_u32_e32 v8, v5, v8
	v_lshrrev_b32_e32 v8, s7, v8
	v_mul_lo_u32 v11, v8, s8
	s_cmp_lg_u32 s6, 0
	v_sub_u32_e32 v5, v5, v11
	v_mad_u64_u32 v[10:11], s[8:9], v5, s10, v[10:11]
	v_mad_u64_u32 v[15:16], s[8:9], v5, s11, v[15:16]
	v_mov_b32_e32 v5, v8
	s_cbranch_scc1 .LBB54_82
.LBB54_83:
	s_cbranch_execnz .LBB54_86
.LBB54_84:
	s_load_dwordx4 s[4:7], s[34:35], 0x4
	s_load_dwordx2 s[2:3], s[34:35], 0xc4
	s_cmp_lt_u32 s33, 2
	s_waitcnt lgkmcnt(0)
	v_mul_hi_u32 v5, s5, v2
	v_add_u32_e32 v5, v2, v5
	v_lshrrev_b32_e32 v5, s6, v5
	v_mul_lo_u32 v8, v5, s4
	v_sub_u32_e32 v2, v2, v8
	v_mul_lo_u32 v10, v2, s2
	v_mul_lo_u32 v15, v2, s3
	s_cbranch_scc1 .LBB54_86
; %bb.85:
	s_load_dwordx4 s[4:7], s[34:35], 0x10
	s_load_dwordx2 s[2:3], s[34:35], 0xcc
	s_waitcnt lgkmcnt(0)
	v_mul_hi_u32 v2, s5, v5
	v_add_u32_e32 v2, v5, v2
	v_lshrrev_b32_e32 v2, s6, v2
	v_mul_lo_u32 v2, v2, s4
	v_sub_u32_e32 v2, v5, v2
	v_mad_u64_u32 v[10:11], s[4:5], v2, s2, v[10:11]
	v_mad_u64_u32 v[15:16], s[2:3], v2, s3, v[15:16]
.LBB54_86:
	s_and_b64 vcc, exec, s[0:1]
	v_add_u32_e32 v2, 0x280, v17
	s_cbranch_vccnz .LBB54_92
; %bb.87:
	s_cmp_lg_u32 s33, 0
	s_waitcnt lgkmcnt(0)
	s_mov_b32 s26, 0
	s_cbranch_scc0 .LBB54_93
; %bb.88:
	s_min_u32 s27, s54, 15
	s_add_i32 s27, s27, 1
	s_cmp_eq_u32 s54, 2
	s_cbranch_scc1 .LBB54_94
; %bb.89:
	s_and_b32 s26, s27, 28
	s_add_u32 s2, s34, 0xc4
	s_addc_u32 s3, s35, 0
	v_mov_b32_e32 v18, 0
	s_mov_b32 s28, 0
	s_mov_b64 s[24:25], s[34:35]
	v_mov_b32_e32 v13, 0
	v_mov_b32_e32 v5, v2
.LBB54_90:                              ; =>This Inner Loop Header: Depth=1
	s_load_dwordx8 s[12:19], s[24:25], 0x4
	s_load_dwordx4 s[20:23], s[24:25], 0x24
	s_load_dwordx8 s[4:11], s[2:3], 0x0
	s_add_u32 s24, s24, 48
	s_addc_u32 s25, s25, 0
	s_waitcnt lgkmcnt(0)
	v_mul_hi_u32 v8, s13, v5
	s_add_i32 s28, s28, 4
	s_add_u32 s2, s2, 32
	s_addc_u32 s3, s3, 0
	v_add_u32_e32 v8, v5, v8
	v_lshrrev_b32_e32 v8, s14, v8
	v_mul_lo_u32 v11, v8, s12
	v_mul_hi_u32 v14, s16, v8
	s_cmp_lg_u32 s26, s28
	v_sub_u32_e32 v5, v5, v11
	v_add_u32_e32 v11, v8, v14
	v_mul_lo_u32 v14, v5, s4
	v_mul_lo_u32 v16, v5, s5
	v_lshrrev_b32_e32 v5, s17, v11
	v_mul_lo_u32 v11, v5, s15
	v_mul_hi_u32 v19, s19, v5
	v_sub_u32_e32 v8, v8, v11
	v_add_u32_e32 v11, v5, v19
	v_lshrrev_b32_e32 v11, s20, v11
	v_mul_hi_u32 v20, s22, v11
	v_mul_lo_u32 v21, v11, s18
	v_mul_lo_u32 v19, v8, s6
	;; [unrolled: 1-line block ×3, first 2 shown]
	v_sub_u32_e32 v21, v5, v21
	v_add_u32_e32 v5, v11, v20
	v_lshrrev_b32_e32 v5, s23, v5
	v_mul_lo_u32 v20, v5, s21
	v_mul_lo_u32 v22, v21, s8
	;; [unrolled: 1-line block ×3, first 2 shown]
	v_add3_u32 v13, v14, v13, v19
	v_sub_u32_e32 v11, v11, v20
	v_mul_lo_u32 v20, v11, s10
	v_mul_lo_u32 v11, v11, s11
	v_add3_u32 v8, v16, v18, v8
	v_add3_u32 v13, v22, v13, v20
	;; [unrolled: 1-line block ×3, first 2 shown]
	s_cbranch_scc1 .LBB54_90
; %bb.91:
	s_and_b32 s6, s27, 3
	s_cmp_eq_u32 s6, 0
	s_cbranch_scc0 .LBB54_95
	s_branch .LBB54_97
.LBB54_92:
                                        ; implicit-def: $vgpr13
                                        ; implicit-def: $vgpr18
	s_branch .LBB54_98
.LBB54_93:
	v_mov_b32_e32 v13, 0
	v_mov_b32_e32 v18, 0
	s_branch .LBB54_97
.LBB54_94:
	v_mov_b32_e32 v13, 0
	v_mov_b32_e32 v18, 0
	;; [unrolled: 1-line block ×3, first 2 shown]
	s_and_b32 s6, s27, 3
	s_cmp_eq_u32 s6, 0
	s_cbranch_scc1 .LBB54_97
.LBB54_95:
	s_lshl_b32 s2, s26, 3
	s_add_u32 s2, s34, s2
	s_addc_u32 s3, s35, 0
	s_add_u32 s2, s2, 0xc4
	s_addc_u32 s3, s3, 0
	s_mul_i32 s4, s26, 12
	s_add_u32 s4, s34, s4
	s_addc_u32 s5, s35, 0
.LBB54_96:                              ; =>This Inner Loop Header: Depth=1
	s_load_dwordx2 s[8:9], s[4:5], 0x4
	s_load_dword s7, s[4:5], 0xc
	s_load_dwordx2 s[10:11], s[2:3], 0x0
	s_add_u32 s4, s4, 12
	s_addc_u32 s5, s5, 0
	s_waitcnt lgkmcnt(0)
	v_mul_hi_u32 v8, s9, v5
	s_add_u32 s2, s2, 8
	s_addc_u32 s3, s3, 0
	s_add_i32 s6, s6, -1
	v_add_u32_e32 v8, v5, v8
	v_lshrrev_b32_e32 v8, s7, v8
	v_mul_lo_u32 v11, v8, s8
	s_cmp_lg_u32 s6, 0
	v_sub_u32_e32 v5, v5, v11
	v_mad_u64_u32 v[13:14], s[8:9], v5, s10, v[13:14]
	v_mad_u64_u32 v[18:19], s[8:9], v5, s11, v[18:19]
	v_mov_b32_e32 v5, v8
	s_cbranch_scc1 .LBB54_96
.LBB54_97:
	s_cbranch_execnz .LBB54_100
.LBB54_98:
	s_load_dwordx4 s[4:7], s[34:35], 0x4
	s_load_dwordx2 s[2:3], s[34:35], 0xc4
	s_cmp_lt_u32 s33, 2
	s_waitcnt lgkmcnt(0)
	v_mul_hi_u32 v5, s5, v2
	v_add_u32_e32 v5, v2, v5
	v_lshrrev_b32_e32 v5, s6, v5
	v_mul_lo_u32 v8, v5, s4
	v_sub_u32_e32 v2, v2, v8
	v_mul_lo_u32 v13, v2, s2
	v_mul_lo_u32 v18, v2, s3
	s_cbranch_scc1 .LBB54_100
; %bb.99:
	s_load_dwordx4 s[4:7], s[34:35], 0x10
	s_load_dwordx2 s[2:3], s[34:35], 0xcc
	s_waitcnt lgkmcnt(0)
	v_mul_hi_u32 v2, s5, v5
	v_add_u32_e32 v2, v5, v2
	v_lshrrev_b32_e32 v2, s6, v2
	v_mul_lo_u32 v2, v2, s4
	v_sub_u32_e32 v2, v5, v2
	v_mad_u64_u32 v[13:14], s[4:5], v2, s2, v[13:14]
	v_mad_u64_u32 v[18:19], s[2:3], v2, s3, v[18:19]
.LBB54_100:
	s_and_b64 vcc, exec, s[0:1]
	v_add_u32_e32 v2, 0x300, v17
	s_cbranch_vccnz .LBB54_106
; %bb.101:
	s_cmp_lg_u32 s33, 0
	s_waitcnt lgkmcnt(0)
	s_mov_b32 s26, 0
	s_cbranch_scc0 .LBB54_107
; %bb.102:
	s_min_u32 s27, s54, 15
	s_add_i32 s27, s27, 1
	s_cmp_eq_u32 s54, 2
	s_cbranch_scc1 .LBB54_108
; %bb.103:
	s_and_b32 s26, s27, 28
	s_add_u32 s2, s34, 0xc4
	s_addc_u32 s3, s35, 0
	v_mov_b32_e32 v21, 0
	s_mov_b32 s28, 0
	s_mov_b64 s[24:25], s[34:35]
	v_mov_b32_e32 v16, 0
	v_mov_b32_e32 v5, v2
.LBB54_104:                             ; =>This Inner Loop Header: Depth=1
	s_load_dwordx8 s[12:19], s[24:25], 0x4
	s_load_dwordx4 s[20:23], s[24:25], 0x24
	s_load_dwordx8 s[4:11], s[2:3], 0x0
	s_add_u32 s24, s24, 48
	s_addc_u32 s25, s25, 0
	s_waitcnt lgkmcnt(0)
	v_mul_hi_u32 v8, s13, v5
	s_add_i32 s28, s28, 4
	s_add_u32 s2, s2, 32
	s_addc_u32 s3, s3, 0
	v_add_u32_e32 v8, v5, v8
	v_lshrrev_b32_e32 v8, s14, v8
	v_mul_lo_u32 v11, v8, s12
	v_mul_hi_u32 v14, s16, v8
	s_cmp_lg_u32 s26, s28
	v_sub_u32_e32 v5, v5, v11
	v_add_u32_e32 v11, v8, v14
	v_mul_lo_u32 v14, v5, s4
	v_mul_lo_u32 v17, v5, s5
	v_lshrrev_b32_e32 v5, s17, v11
	v_mul_lo_u32 v11, v5, s15
	v_mul_hi_u32 v19, s19, v5
	v_sub_u32_e32 v8, v8, v11
	v_add_u32_e32 v11, v5, v19
	v_lshrrev_b32_e32 v11, s20, v11
	v_mul_hi_u32 v20, s22, v11
	v_mul_lo_u32 v22, v11, s18
	v_mul_lo_u32 v19, v8, s6
	;; [unrolled: 1-line block ×3, first 2 shown]
	v_sub_u32_e32 v22, v5, v22
	v_add_u32_e32 v5, v11, v20
	v_lshrrev_b32_e32 v5, s23, v5
	v_mul_lo_u32 v20, v5, s21
	v_mul_lo_u32 v23, v22, s8
	;; [unrolled: 1-line block ×3, first 2 shown]
	v_add3_u32 v14, v14, v16, v19
	v_sub_u32_e32 v11, v11, v20
	v_mul_lo_u32 v20, v11, s10
	v_mul_lo_u32 v11, v11, s11
	v_add3_u32 v8, v17, v21, v8
	v_add3_u32 v16, v23, v14, v20
	;; [unrolled: 1-line block ×3, first 2 shown]
	s_cbranch_scc1 .LBB54_104
; %bb.105:
	s_and_b32 s6, s27, 3
	s_cmp_eq_u32 s6, 0
	s_cbranch_scc0 .LBB54_109
	s_branch .LBB54_111
.LBB54_106:
                                        ; implicit-def: $vgpr16
                                        ; implicit-def: $vgpr21
	s_branch .LBB54_112
.LBB54_107:
	v_mov_b32_e32 v16, 0
	v_mov_b32_e32 v21, 0
	s_branch .LBB54_111
.LBB54_108:
	v_mov_b32_e32 v16, 0
	v_mov_b32_e32 v21, 0
	;; [unrolled: 1-line block ×3, first 2 shown]
	s_and_b32 s6, s27, 3
	s_cmp_eq_u32 s6, 0
	s_cbranch_scc1 .LBB54_111
.LBB54_109:
	s_lshl_b32 s2, s26, 3
	s_add_u32 s2, s34, s2
	s_addc_u32 s3, s35, 0
	s_add_u32 s2, s2, 0xc4
	s_addc_u32 s3, s3, 0
	s_mul_i32 s4, s26, 12
	s_add_u32 s4, s34, s4
	s_addc_u32 s5, s35, 0
.LBB54_110:                             ; =>This Inner Loop Header: Depth=1
	s_load_dwordx2 s[8:9], s[4:5], 0x4
	s_load_dword s7, s[4:5], 0xc
	s_load_dwordx2 s[10:11], s[2:3], 0x0
	s_add_u32 s4, s4, 12
	s_addc_u32 s5, s5, 0
	s_waitcnt lgkmcnt(0)
	v_mul_hi_u32 v8, s9, v5
	s_add_u32 s2, s2, 8
	s_addc_u32 s3, s3, 0
	s_add_i32 s6, s6, -1
	v_add_u32_e32 v8, v5, v8
	v_lshrrev_b32_e32 v8, s7, v8
	v_mul_lo_u32 v11, v8, s8
	s_cmp_lg_u32 s6, 0
	v_sub_u32_e32 v5, v5, v11
	v_mad_u64_u32 v[16:17], s[8:9], v5, s10, v[16:17]
	v_mad_u64_u32 v[21:22], s[8:9], v5, s11, v[21:22]
	v_mov_b32_e32 v5, v8
	s_cbranch_scc1 .LBB54_110
.LBB54_111:
	s_cbranch_execnz .LBB54_114
.LBB54_112:
	s_load_dwordx4 s[4:7], s[34:35], 0x4
	s_load_dwordx2 s[2:3], s[34:35], 0xc4
	s_cmp_lt_u32 s33, 2
	s_waitcnt lgkmcnt(0)
	v_mul_hi_u32 v5, s5, v2
	v_add_u32_e32 v5, v2, v5
	v_lshrrev_b32_e32 v5, s6, v5
	v_mul_lo_u32 v8, v5, s4
	v_sub_u32_e32 v2, v2, v8
	v_mul_lo_u32 v16, v2, s2
	v_mul_lo_u32 v21, v2, s3
	s_cbranch_scc1 .LBB54_114
; %bb.113:
	s_load_dwordx4 s[4:7], s[34:35], 0x10
	s_load_dwordx2 s[2:3], s[34:35], 0xcc
	s_waitcnt lgkmcnt(0)
	v_mul_hi_u32 v2, s5, v5
	v_add_u32_e32 v2, v5, v2
	v_lshrrev_b32_e32 v2, s6, v2
	v_mul_lo_u32 v2, v2, s4
	v_sub_u32_e32 v2, v5, v2
	v_mad_u64_u32 v[16:17], s[4:5], v2, s2, v[16:17]
	v_mad_u64_u32 v[21:22], s[2:3], v2, s3, v[21:22]
.LBB54_114:
	s_and_b64 vcc, exec, s[0:1]
	s_cbranch_vccnz .LBB54_120
; %bb.115:
	s_cmp_lg_u32 s33, 0
	s_waitcnt lgkmcnt(0)
	s_mov_b32 s24, 0
	s_cbranch_scc0 .LBB54_121
; %bb.116:
	s_min_u32 s25, s54, 15
	s_add_i32 s25, s25, 1
	s_cmp_eq_u32 s54, 2
	s_cbranch_scc1 .LBB54_122
; %bb.117:
	s_and_b32 s24, s25, 28
	s_add_u32 s20, s34, 0xc4
	s_addc_u32 s21, s35, 0
	v_mov_b32_e32 v22, 0
	s_mov_b32 s26, 0
	s_mov_b64 s[22:23], s[34:35]
	v_mov_b32_e32 v19, 0
	v_mov_b32_e32 v2, v24
.LBB54_118:                             ; =>This Inner Loop Header: Depth=1
	s_load_dwordx8 s[8:15], s[22:23], 0x4
	s_load_dwordx4 s[16:19], s[22:23], 0x24
	s_load_dwordx8 s[0:7], s[20:21], 0x0
	s_add_u32 s22, s22, 48
	s_addc_u32 s23, s23, 0
	s_waitcnt lgkmcnt(0)
	v_mul_hi_u32 v5, s9, v2
	s_add_i32 s26, s26, 4
	s_add_u32 s20, s20, 32
	s_addc_u32 s21, s21, 0
	v_add_u32_e32 v5, v2, v5
	v_lshrrev_b32_e32 v5, s10, v5
	v_mul_lo_u32 v8, v5, s8
	v_mul_hi_u32 v11, s12, v5
	s_cmp_lg_u32 s24, s26
	v_sub_u32_e32 v2, v2, v8
	v_add_u32_e32 v8, v5, v11
	v_mul_lo_u32 v11, v2, s0
	v_mul_lo_u32 v14, v2, s1
	v_lshrrev_b32_e32 v2, s13, v8
	v_mul_lo_u32 v8, v2, s11
	v_mul_hi_u32 v17, s15, v2
	v_sub_u32_e32 v5, v5, v8
	v_add_u32_e32 v8, v2, v17
	v_lshrrev_b32_e32 v8, s16, v8
	v_mul_hi_u32 v20, s18, v8
	v_mul_lo_u32 v23, v8, s14
	v_mul_lo_u32 v17, v5, s2
	;; [unrolled: 1-line block ×3, first 2 shown]
	v_sub_u32_e32 v23, v2, v23
	v_add_u32_e32 v2, v8, v20
	v_lshrrev_b32_e32 v2, s19, v2
	v_mul_lo_u32 v20, v2, s17
	v_mul_lo_u32 v25, v23, s4
	;; [unrolled: 1-line block ×3, first 2 shown]
	v_add3_u32 v11, v11, v19, v17
	v_sub_u32_e32 v8, v8, v20
	v_mul_lo_u32 v20, v8, s6
	v_mul_lo_u32 v8, v8, s7
	v_add3_u32 v5, v14, v22, v5
	v_add3_u32 v19, v25, v11, v20
	;; [unrolled: 1-line block ×3, first 2 shown]
	s_cbranch_scc1 .LBB54_118
; %bb.119:
	s_and_b32 s4, s25, 3
	s_cmp_eq_u32 s4, 0
	s_cbranch_scc0 .LBB54_123
	s_branch .LBB54_125
.LBB54_120:
                                        ; implicit-def: $vgpr19
                                        ; implicit-def: $vgpr22
	s_branch .LBB54_126
.LBB54_121:
	v_mov_b32_e32 v19, 0
	v_mov_b32_e32 v22, 0
	s_branch .LBB54_125
.LBB54_122:
	v_mov_b32_e32 v19, 0
	v_mov_b32_e32 v22, 0
	;; [unrolled: 1-line block ×3, first 2 shown]
	s_and_b32 s4, s25, 3
	s_cmp_eq_u32 s4, 0
	s_cbranch_scc1 .LBB54_125
.LBB54_123:
	s_lshl_b32 s0, s24, 3
	s_add_u32 s0, s34, s0
	s_addc_u32 s1, s35, 0
	s_add_u32 s0, s0, 0xc4
	s_addc_u32 s1, s1, 0
	s_mul_i32 s2, s24, 12
	s_add_u32 s2, s34, s2
	s_addc_u32 s3, s35, 0
.LBB54_124:                             ; =>This Inner Loop Header: Depth=1
	s_load_dwordx2 s[6:7], s[2:3], 0x4
	s_load_dword s5, s[2:3], 0xc
	s_load_dwordx2 s[8:9], s[0:1], 0x0
	s_add_u32 s2, s2, 12
	s_addc_u32 s3, s3, 0
	s_waitcnt lgkmcnt(0)
	v_mul_hi_u32 v5, s7, v2
	s_add_u32 s0, s0, 8
	s_addc_u32 s1, s1, 0
	s_add_i32 s4, s4, -1
	v_add_u32_e32 v5, v2, v5
	v_lshrrev_b32_e32 v5, s5, v5
	v_mul_lo_u32 v8, v5, s6
	s_cmp_lg_u32 s4, 0
	v_sub_u32_e32 v2, v2, v8
	v_mad_u64_u32 v[19:20], s[6:7], v2, s8, v[19:20]
	v_mad_u64_u32 v[22:23], s[6:7], v2, s9, v[22:23]
	v_mov_b32_e32 v2, v5
	s_cbranch_scc1 .LBB54_124
.LBB54_125:
	s_cbranch_execnz .LBB54_128
.LBB54_126:
	s_load_dwordx4 s[0:3], s[34:35], 0x4
	s_load_dwordx2 s[4:5], s[34:35], 0xc4
	s_cmp_lt_u32 s33, 2
	s_waitcnt lgkmcnt(0)
	v_mul_hi_u32 v2, s1, v24
	v_add_u32_e32 v2, v24, v2
	v_lshrrev_b32_e32 v2, s2, v2
	v_mul_lo_u32 v5, v2, s0
	v_sub_u32_e32 v5, v24, v5
	v_mul_lo_u32 v19, v5, s4
	v_mul_lo_u32 v22, v5, s5
	s_cbranch_scc1 .LBB54_128
; %bb.127:
	s_load_dwordx4 s[0:3], s[34:35], 0x10
	s_load_dwordx2 s[4:5], s[34:35], 0xcc
	s_waitcnt lgkmcnt(0)
	v_mul_hi_u32 v5, s1, v2
	v_add_u32_e32 v5, v2, v5
	v_lshrrev_b32_e32 v5, s2, v5
	v_mul_lo_u32 v5, v5, s0
	v_sub_u32_e32 v2, v2, v5
	v_mad_u64_u32 v[19:20], s[0:1], v2, s4, v[19:20]
	v_mad_u64_u32 v[22:23], s[0:1], v2, s5, v[22:23]
.LBB54_128:
	s_load_dwordx4 s[0:3], s[34:35], 0x148
	s_mov_b32 s4, -0.5
	v_mov_b32_e32 v17, 0x3d3641b1
	s_waitcnt lgkmcnt(0)
	global_load_ushort v20, v3, s[2:3]
	global_load_ushort v5, v6, s[2:3]
	;; [unrolled: 1-line block ×5, first 2 shown]
	v_mov_b32_e32 v12, 0.5
	global_load_ushort v3, v18, s[2:3]
	global_load_ushort v6, v21, s[2:3]
	;; [unrolled: 1-line block ×3, first 2 shown]
	v_mov_b32_e32 v18, 0x3d999bc8
	s_movk_i32 s2, 0x7fff
	s_waitcnt vmcnt(7)
	v_cvt_f32_f16_e32 v23, v20
	v_fma_mix_f32 v14, |v20|, s4, v12 op_sel_hi:[1,0,0]
	s_waitcnt vmcnt(4)
	v_fma_mix_f32 v24, |v11|, s4, v12 op_sel_hi:[1,0,0]
	v_mul_f32_e32 v15, v23, v23
	v_cmp_ge_f32_e64 vcc, |v23|, 0.5
	v_cndmask_b32_e32 v21, v15, v14, vcc
	v_mov_b32_e32 v14, 0x3c5fc5da
	v_fmac_f32_e32 v14, 0x3d1c21a7, v21
	v_mov_b32_e32 v15, 0x3d034c3c
	v_fma_f32 v14, v21, v14, v15
	v_fma_f32 v14, v21, v14, v17
	;; [unrolled: 1-line block ×3, first 2 shown]
	v_mov_b32_e32 v14, 0x3e2aaaac
	v_fma_f32 v22, v21, v22, v14
	v_mul_f32_e32 v22, v21, v22
	v_sqrt_f32_e32 v21, v21
	v_cmp_lt_f32_e64 vcc, |v23|, 0.5
	s_waitcnt vmcnt(3)
	v_fma_mix_f32 v26, |v2|, s4, v12 op_sel_hi:[1,0,0]
	v_fmac_f32_e32 v21, v21, v22
	v_add_f32_e32 v21, v21, v21
	v_fma_mix_f32 v22, |v20|, v22, |v20| op_sel_hi:[1,0,1]
	v_sub_f32_e32 v21, 0x3fc90fdb, v21
	v_cndmask_b32_e32 v21, v21, v22, vcc
	v_cvt_f16_f32_e32 v21, v21
	v_fma_mix_f32 v22, |v8|, s4, v12 op_sel_hi:[1,0,0]
	v_bfi_b32 v20, s2, v21, v20
	global_store_short v0, v20, s[0:1]
	v_cvt_f32_f16_e32 v0, v5
	v_fma_mix_f32 v20, |v5|, s4, v12 op_sel_hi:[1,0,0]
	v_mul_f32_e32 v21, v0, v0
	v_cmp_ge_f32_e64 vcc, |v0|, 0.5
	v_cndmask_b32_e32 v20, v21, v20, vcc
	v_cvt_f32_f16_e32 v21, v8
	v_mul_f32_e32 v23, v21, v21
	v_cmp_ge_f32_e64 vcc, |v21|, 0.5
	v_cndmask_b32_e32 v22, v23, v22, vcc
	v_cvt_f32_f16_e32 v23, v11
	;; [unrolled: 4-line block ×3, first 2 shown]
	v_mul_f32_e32 v27, v25, v25
	v_cmp_ge_f32_e64 vcc, |v25|, 0.5
	v_cndmask_b32_e32 v26, v27, v26, vcc
	v_mov_b32_e32 v27, 0x3c5fc5da
	v_fmac_f32_e32 v27, 0x3d1c21a7, v20
	v_fma_f32 v27, v20, v27, v15
	v_fma_f32 v27, v20, v27, v17
	;; [unrolled: 1-line block ×4, first 2 shown]
	v_mul_f32_e32 v27, v20, v27
	v_sqrt_f32_e32 v20, v20
	v_cmp_lt_f32_e64 vcc, |v0|, 0.5
	v_fmac_f32_e32 v20, v20, v27
	v_add_f32_e32 v20, v20, v20
	v_fma_mix_f32 v27, |v5|, v27, |v5| op_sel_hi:[1,0,1]
	v_sub_f32_e32 v20, 0x3fc90fdb, v20
	v_cndmask_b32_e32 v0, v20, v27, vcc
	v_mov_b32_e32 v20, 0x3c5fc5da
	v_fmac_f32_e32 v20, 0x3d1c21a7, v22
	v_fma_f32 v20, v22, v20, v15
	v_fma_f32 v20, v22, v20, v17
	;; [unrolled: 1-line block ×4, first 2 shown]
	v_mul_f32_e32 v20, v22, v20
	v_sqrt_f32_e32 v22, v22
	v_cmp_lt_f32_e64 vcc, |v21|, 0.5
	v_mov_b32_e32 v21, 0x3c5fc5da
	v_fmac_f32_e32 v21, 0x3d1c21a7, v24
	v_fmac_f32_e32 v22, v22, v20
	v_add_f32_e32 v22, v22, v22
	v_fma_mix_f32 v20, |v8|, v20, |v8| op_sel_hi:[1,0,1]
	v_sub_f32_e32 v22, 0x3fc90fdb, v22
	v_fma_f32 v21, v24, v21, v15
	v_cndmask_b32_e32 v20, v22, v20, vcc
	v_fma_f32 v21, v24, v21, v17
	v_sqrt_f32_e32 v22, v24
	v_cvt_f16_f32_e32 v0, v0
	v_fma_f32 v21, v24, v21, v18
	v_fma_f32 v21, v24, v21, v14
	v_mul_f32_e32 v21, v24, v21
	v_fmac_f32_e32 v22, v22, v21
	v_bfi_b32 v0, s2, v0, v5
	v_cvt_f16_f32_e32 v5, v20
	v_add_f32_e32 v22, v22, v22
	v_fma_mix_f32 v21, |v11|, v21, |v11| op_sel_hi:[1,0,1]
	v_sub_f32_e32 v22, 0x3fc90fdb, v22
	v_cmp_lt_f32_e64 vcc, |v23|, 0.5
	v_cndmask_b32_e32 v21, v22, v21, vcc
	v_bfi_b32 v5, s2, v5, v8
	v_cvt_f16_f32_e32 v8, v21
	v_sqrt_f32_e32 v20, v26
	v_cmp_lt_f32_e64 vcc, |v25|, 0.5
	s_waitcnt vmcnt(3)
	v_fma_mix_f32 v21, |v3|, s4, v12 op_sel_hi:[1,0,0]
	v_bfi_b32 v8, s2, v8, v11
	v_mov_b32_e32 v11, 0x3c5fc5da
	v_fmac_f32_e32 v11, 0x3d1c21a7, v26
	v_fma_f32 v11, v26, v11, v15
	v_fma_f32 v11, v26, v11, v17
	;; [unrolled: 1-line block ×4, first 2 shown]
	v_mul_f32_e32 v11, v26, v11
	v_fmac_f32_e32 v20, v20, v11
	v_add_f32_e32 v20, v20, v20
	v_sub_f32_e32 v20, 0x3fc90fdb, v20
	v_fma_mix_f32 v11, |v2|, v11, |v2| op_sel_hi:[1,0,1]
	v_cndmask_b32_e32 v11, v20, v11, vcc
	v_cvt_f32_f16_e32 v20, v3
	v_cvt_f16_f32_e32 v11, v11
	v_mul_f32_e32 v22, v20, v20
	v_cmp_ge_f32_e64 vcc, |v20|, 0.5
	v_cndmask_b32_e32 v21, v22, v21, vcc
	v_mov_b32_e32 v22, 0x3c5fc5da
	v_fmac_f32_e32 v22, 0x3d1c21a7, v21
	v_fma_f32 v22, v21, v22, v15
	v_fma_f32 v22, v21, v22, v17
	;; [unrolled: 1-line block ×4, first 2 shown]
	v_mul_f32_e32 v22, v21, v22
	v_sqrt_f32_e32 v21, v21
	v_cmp_lt_f32_e64 vcc, |v20|, 0.5
	v_bfi_b32 v2, s2, v11, v2
	v_fmac_f32_e32 v21, v21, v22
	v_add_f32_e32 v21, v21, v21
	v_sub_f32_e32 v21, 0x3fc90fdb, v21
	v_fma_mix_f32 v22, |v3|, v22, |v3| op_sel_hi:[1,0,1]
	v_cndmask_b32_e32 v20, v21, v22, vcc
	s_waitcnt vmcnt(2)
	v_cvt_f32_f16_e32 v21, v6
	v_fma_mix_f32 v22, |v6|, s4, v12 op_sel_hi:[1,0,0]
	s_waitcnt vmcnt(1)
	v_fma_mix_f32 v12, |v9|, s4, v12 op_sel_hi:[1,0,0]
	v_mul_f32_e32 v23, v21, v21
	v_cmp_ge_f32_e64 vcc, |v21|, 0.5
	v_cndmask_b32_e32 v22, v23, v22, vcc
	v_mov_b32_e32 v23, 0x3c5fc5da
	v_fmac_f32_e32 v23, 0x3d1c21a7, v22
	v_fma_f32 v23, v22, v23, v15
	v_fma_f32 v23, v22, v23, v17
	;; [unrolled: 1-line block ×4, first 2 shown]
	v_mul_f32_e32 v23, v22, v23
	v_sqrt_f32_e32 v22, v22
	v_cmp_lt_f32_e64 vcc, |v21|, 0.5
	v_fmac_f32_e32 v22, v22, v23
	v_add_f32_e32 v22, v22, v22
	v_sub_f32_e32 v22, 0x3fc90fdb, v22
	v_fma_mix_f32 v23, |v6|, v23, |v6| op_sel_hi:[1,0,1]
	v_cndmask_b32_e32 v21, v22, v23, vcc
	v_cvt_f32_f16_e32 v22, v9
	v_mul_f32_e32 v23, v22, v22
	v_cmp_ge_f32_e64 vcc, |v22|, 0.5
	v_cndmask_b32_e32 v12, v23, v12, vcc
	v_mov_b32_e32 v23, 0x3c5fc5da
	v_fmac_f32_e32 v23, 0x3d1c21a7, v12
	v_fmac_f32_e32 v15, v12, v23
	;; [unrolled: 1-line block ×3, first 2 shown]
	v_sqrt_f32_e32 v15, v12
	v_fmac_f32_e32 v18, v12, v17
	v_fmac_f32_e32 v14, v12, v18
	v_mul_f32_e32 v12, v12, v14
	v_fmac_f32_e32 v15, v15, v12
	v_add_f32_e32 v14, v15, v15
	v_sub_f32_e32 v14, 0x3fc90fdb, v14
	v_fma_mix_f32 v12, |v9|, v12, |v9| op_sel_hi:[1,0,1]
	v_cmp_lt_f32_e64 vcc, |v22|, 0.5
	v_cndmask_b32_e32 v12, v14, v12, vcc
	v_cvt_f16_f32_e32 v17, v20
	v_cvt_f16_f32_e32 v18, v21
	;; [unrolled: 1-line block ×3, first 2 shown]
	v_bfi_b32 v3, s2, v17, v3
	v_bfi_b32 v6, s2, v18, v6
	;; [unrolled: 1-line block ×3, first 2 shown]
	global_store_short v1, v0, s[0:1]
	global_store_short v4, v5, s[0:1]
	;; [unrolled: 1-line block ×7, first 2 shown]
	s_endpgm
.LBB54_129:
	v_mov_b32_e32 v0, 0
	v_mov_b32_e32 v2, 0
	s_branch .LBB54_135
.LBB54_130:
	v_mov_b32_e32 v0, 0
	v_mov_b32_e32 v2, 0
	s_branch .LBB54_151
.LBB54_131:
	s_mov_b32 s57, 0
	v_mov_b32_e32 v0, 0
	v_mov_b32_e32 v2, 0
	;; [unrolled: 1-line block ×3, first 2 shown]
.LBB54_132:
	s_and_b32 s4, s58, 3
	s_cmp_eq_u32 s4, 0
	s_cbranch_scc1 .LBB54_135
; %bb.133:
	s_lshl_b32 s0, s57, 3
	s_add_u32 s0, s34, s0
	s_addc_u32 s1, s35, 0
	s_add_u32 s0, s0, 0xc4
	s_addc_u32 s1, s1, 0
	s_mul_i32 s2, s57, 12
	s_add_u32 s2, s34, s2
	s_addc_u32 s3, s35, 0
.LBB54_134:                             ; =>This Inner Loop Header: Depth=1
	s_load_dwordx2 s[6:7], s[2:3], 0x4
	s_load_dword s5, s[2:3], 0xc
	s_load_dwordx2 s[8:9], s[0:1], 0x0
	s_add_u32 s2, s2, 12
	s_addc_u32 s3, s3, 0
	s_waitcnt lgkmcnt(0)
	v_mul_hi_u32 v3, s7, v1
	s_add_u32 s0, s0, 8
	s_addc_u32 s1, s1, 0
	s_add_i32 s4, s4, -1
	v_add_u32_e32 v3, v1, v3
	v_lshrrev_b32_e32 v4, s5, v3
	v_mul_lo_u32 v3, v4, s6
	s_cmp_lg_u32 s4, 0
	v_sub_u32_e32 v3, v1, v3
	v_mad_u64_u32 v[0:1], s[6:7], v3, s8, v[0:1]
	v_mad_u64_u32 v[2:3], s[6:7], v3, s9, v[2:3]
	v_mov_b32_e32 v1, v4
	s_cbranch_scc1 .LBB54_134
.LBB54_135:
	s_cbranch_execnz .LBB54_138
.LBB54_136:
	s_waitcnt lgkmcnt(0)
	v_mul_hi_u32 v0, s25, v17
	s_andn2_b64 vcc, exec, s[42:43]
	v_add_u32_e32 v0, v17, v0
	v_lshrrev_b32_e32 v1, s26, v0
	v_mul_lo_u32 v0, v1, s24
	v_sub_u32_e32 v2, v17, v0
	v_mul_lo_u32 v0, v2, s20
	v_mul_lo_u32 v2, v2, s21
	s_cbranch_vccnz .LBB54_138
; %bb.137:
	v_mul_hi_u32 v3, s40, v1
	v_add_u32_e32 v3, v1, v3
	v_lshrrev_b32_e32 v3, s41, v3
	v_mul_lo_u32 v3, v3, s27
	v_sub_u32_e32 v3, v1, v3
	v_mad_u64_u32 v[0:1], s[0:1], v3, s22, v[0:1]
	v_mad_u64_u32 v[2:3], s[0:1], v3, s23, v[2:3]
.LBB54_138:
	s_waitcnt lgkmcnt(0)
	global_load_ushort v1, v2, s[18:19]
	s_mov_b32 s0, -0.5
	v_mov_b32_e32 v2, 0.5
	v_mov_b32_e32 v3, 0x3c5fc5da
	v_mov_b32_e32 v4, 0x3d034c3c
	;; [unrolled: 1-line block ×5, first 2 shown]
	v_add_u32_e32 v17, 0x80, v17
	s_waitcnt vmcnt(0)
	v_cvt_f32_f16_e32 v6, v1
	v_fma_mix_f32 v2, |v1|, s0, v2 op_sel_hi:[1,0,0]
	s_movk_i32 s0, 0x7fff
	v_mul_f32_e32 v9, v6, v6
	v_cmp_ge_f32_e64 vcc, |v6|, 0.5
	v_cndmask_b32_e32 v2, v9, v2, vcc
	v_fmac_f32_e32 v3, 0x3d1c21a7, v2
	v_fmac_f32_e32 v4, v2, v3
	v_sqrt_f32_e32 v9, v2
	v_fmac_f32_e32 v5, v2, v4
	v_fmac_f32_e32 v7, v2, v5
	;; [unrolled: 1-line block ×3, first 2 shown]
	v_mul_f32_e32 v2, v2, v8
	v_fmac_f32_e32 v9, v9, v2
	v_add_f32_e32 v3, v9, v9
	v_fma_mix_f32 v2, |v1|, v2, |v1| op_sel_hi:[1,0,1]
	v_sub_f32_e32 v3, 0x3fc90fdb, v3
	v_cmp_lt_f32_e64 vcc, |v6|, 0.5
	v_cndmask_b32_e32 v2, v3, v2, vcc
	v_cvt_f16_f32_e32 v2, v2
	v_bfi_b32 v1, s0, v2, v1
	global_store_short v0, v1, s[16:17]
	s_or_b64 exec, exec, s[48:49]
	v_cmp_gt_i32_e32 vcc, s55, v17
	s_and_saveexec_b64 s[48:49], vcc
	s_cbranch_execnz .LBB54_15
.LBB54_139:
	s_or_b64 exec, exec, s[48:49]
	v_cmp_gt_i32_e32 vcc, s55, v17
	s_and_saveexec_b64 s[48:49], vcc
	s_cbranch_execz .LBB54_155
.LBB54_140:
	s_andn2_b64 vcc, exec, s[36:37]
	s_cbranch_vccnz .LBB54_145
; %bb.141:
	s_andn2_b64 vcc, exec, s[46:47]
	s_cbranch_vccnz .LBB54_146
; %bb.142:
	s_add_i32 s58, s56, 1
	s_cmp_eq_u32 s54, 2
	s_cbranch_scc1 .LBB54_163
; %bb.143:
	s_and_b32 s57, s58, 28
	v_mov_b32_e32 v2, 0
	s_mov_b32 s59, 0
	s_mov_b64 s[50:51], s[34:35]
	s_mov_b64 s[52:53], s[44:45]
	v_mov_b32_e32 v0, 0
	v_mov_b32_e32 v1, v17
.LBB54_144:                             ; =>This Inner Loop Header: Depth=1
	s_load_dwordx8 s[8:15], s[50:51], 0x4
	s_load_dwordx4 s[28:31], s[50:51], 0x24
	s_load_dwordx8 s[0:7], s[52:53], 0x0
	s_add_u32 s50, s50, 48
	s_addc_u32 s51, s51, 0
	s_waitcnt lgkmcnt(0)
	v_mul_hi_u32 v3, s9, v1
	s_add_i32 s59, s59, 4
	s_add_u32 s52, s52, 32
	s_addc_u32 s53, s53, 0
	v_add_u32_e32 v3, v1, v3
	v_lshrrev_b32_e32 v3, s10, v3
	v_mul_lo_u32 v4, v3, s8
	v_mul_hi_u32 v5, s12, v3
	s_cmp_eq_u32 s57, s59
	v_sub_u32_e32 v1, v1, v4
	v_add_u32_e32 v4, v3, v5
	v_mul_lo_u32 v5, v1, s0
	v_mul_lo_u32 v6, v1, s1
	v_lshrrev_b32_e32 v1, s13, v4
	v_mul_lo_u32 v4, v1, s11
	v_mul_hi_u32 v7, s15, v1
	v_sub_u32_e32 v3, v3, v4
	v_add_u32_e32 v4, v1, v7
	v_lshrrev_b32_e32 v4, s28, v4
	v_mul_hi_u32 v8, s30, v4
	v_mul_lo_u32 v9, v4, s14
	v_mul_lo_u32 v7, v3, s2
	;; [unrolled: 1-line block ×3, first 2 shown]
	v_sub_u32_e32 v9, v1, v9
	v_add_u32_e32 v1, v4, v8
	v_lshrrev_b32_e32 v1, s31, v1
	v_mul_lo_u32 v8, v1, s29
	v_mul_lo_u32 v10, v9, s4
	;; [unrolled: 1-line block ×3, first 2 shown]
	v_add3_u32 v0, v5, v0, v7
	v_sub_u32_e32 v4, v4, v8
	v_mul_lo_u32 v8, v4, s6
	v_mul_lo_u32 v4, v4, s7
	v_add3_u32 v2, v6, v2, v3
	v_add3_u32 v0, v10, v0, v8
	v_add3_u32 v2, v9, v2, v4
	s_cbranch_scc0 .LBB54_144
	s_branch .LBB54_164
.LBB54_145:
                                        ; implicit-def: $vgpr0
                                        ; implicit-def: $vgpr2
	s_branch .LBB54_168
.LBB54_146:
	v_mov_b32_e32 v0, 0
	v_mov_b32_e32 v2, 0
	s_branch .LBB54_167
.LBB54_147:
	s_mov_b32 s57, 0
	v_mov_b32_e32 v0, 0
	v_mov_b32_e32 v2, 0
	v_mov_b32_e32 v1, v17
.LBB54_148:
	s_and_b32 s4, s58, 3
	s_cmp_eq_u32 s4, 0
	s_cbranch_scc1 .LBB54_151
; %bb.149:
	s_lshl_b32 s0, s57, 3
	s_add_u32 s0, s34, s0
	s_addc_u32 s1, s35, 0
	s_add_u32 s0, s0, 0xc4
	s_addc_u32 s1, s1, 0
	s_mul_i32 s2, s57, 12
	s_add_u32 s2, s34, s2
	s_addc_u32 s3, s35, 0
.LBB54_150:                             ; =>This Inner Loop Header: Depth=1
	s_load_dwordx2 s[6:7], s[2:3], 0x4
	s_load_dword s5, s[2:3], 0xc
	s_load_dwordx2 s[8:9], s[0:1], 0x0
	s_add_u32 s2, s2, 12
	s_addc_u32 s3, s3, 0
	s_waitcnt lgkmcnt(0)
	v_mul_hi_u32 v3, s7, v1
	s_add_u32 s0, s0, 8
	s_addc_u32 s1, s1, 0
	s_add_i32 s4, s4, -1
	v_add_u32_e32 v3, v1, v3
	v_lshrrev_b32_e32 v4, s5, v3
	v_mul_lo_u32 v3, v4, s6
	s_cmp_lg_u32 s4, 0
	v_sub_u32_e32 v3, v1, v3
	v_mad_u64_u32 v[0:1], s[6:7], v3, s8, v[0:1]
	v_mad_u64_u32 v[2:3], s[6:7], v3, s9, v[2:3]
	v_mov_b32_e32 v1, v4
	s_cbranch_scc1 .LBB54_150
.LBB54_151:
	s_cbranch_execnz .LBB54_154
.LBB54_152:
	s_waitcnt lgkmcnt(0)
	v_mul_hi_u32 v0, s25, v17
	s_andn2_b64 vcc, exec, s[42:43]
	v_add_u32_e32 v0, v17, v0
	v_lshrrev_b32_e32 v1, s26, v0
	v_mul_lo_u32 v0, v1, s24
	v_sub_u32_e32 v2, v17, v0
	v_mul_lo_u32 v0, v2, s20
	v_mul_lo_u32 v2, v2, s21
	s_cbranch_vccnz .LBB54_154
; %bb.153:
	v_mul_hi_u32 v3, s40, v1
	v_add_u32_e32 v3, v1, v3
	v_lshrrev_b32_e32 v3, s41, v3
	v_mul_lo_u32 v3, v3, s27
	v_sub_u32_e32 v3, v1, v3
	v_mad_u64_u32 v[0:1], s[0:1], v3, s22, v[0:1]
	v_mad_u64_u32 v[2:3], s[0:1], v3, s23, v[2:3]
.LBB54_154:
	s_waitcnt lgkmcnt(0)
	global_load_ushort v1, v2, s[18:19]
	s_mov_b32 s0, -0.5
	v_mov_b32_e32 v2, 0.5
	v_mov_b32_e32 v3, 0x3c5fc5da
	v_mov_b32_e32 v4, 0x3d034c3c
	v_mov_b32_e32 v5, 0x3d3641b1
	v_mov_b32_e32 v7, 0x3d999bc8
	v_mov_b32_e32 v8, 0x3e2aaaac
	v_add_u32_e32 v17, 0x80, v17
	s_waitcnt vmcnt(0)
	v_cvt_f32_f16_e32 v6, v1
	v_fma_mix_f32 v2, |v1|, s0, v2 op_sel_hi:[1,0,0]
	s_movk_i32 s0, 0x7fff
	v_mul_f32_e32 v9, v6, v6
	v_cmp_ge_f32_e64 vcc, |v6|, 0.5
	v_cndmask_b32_e32 v2, v9, v2, vcc
	v_fmac_f32_e32 v3, 0x3d1c21a7, v2
	v_fmac_f32_e32 v4, v2, v3
	v_sqrt_f32_e32 v9, v2
	v_fmac_f32_e32 v5, v2, v4
	v_fmac_f32_e32 v7, v2, v5
	;; [unrolled: 1-line block ×3, first 2 shown]
	v_mul_f32_e32 v2, v2, v8
	v_fmac_f32_e32 v9, v9, v2
	v_add_f32_e32 v3, v9, v9
	v_fma_mix_f32 v2, |v1|, v2, |v1| op_sel_hi:[1,0,1]
	v_sub_f32_e32 v3, 0x3fc90fdb, v3
	v_cmp_lt_f32_e64 vcc, |v6|, 0.5
	v_cndmask_b32_e32 v2, v3, v2, vcc
	v_cvt_f16_f32_e32 v2, v2
	v_bfi_b32 v1, s0, v2, v1
	global_store_short v0, v1, s[16:17]
	s_or_b64 exec, exec, s[48:49]
	v_cmp_gt_i32_e32 vcc, s55, v17
	s_and_saveexec_b64 s[48:49], vcc
	s_cbranch_execnz .LBB54_140
.LBB54_155:
	s_or_b64 exec, exec, s[48:49]
	v_cmp_gt_i32_e32 vcc, s55, v17
	s_and_saveexec_b64 s[48:49], vcc
	s_cbranch_execz .LBB54_171
.LBB54_156:
	s_andn2_b64 vcc, exec, s[36:37]
	s_cbranch_vccnz .LBB54_161
; %bb.157:
	s_andn2_b64 vcc, exec, s[46:47]
	s_cbranch_vccnz .LBB54_162
; %bb.158:
	s_add_i32 s58, s56, 1
	s_cmp_eq_u32 s54, 2
	s_cbranch_scc1 .LBB54_179
; %bb.159:
	s_and_b32 s57, s58, 28
	v_mov_b32_e32 v2, 0
	s_mov_b32 s59, 0
	s_mov_b64 s[50:51], s[34:35]
	s_mov_b64 s[52:53], s[44:45]
	v_mov_b32_e32 v0, 0
	v_mov_b32_e32 v1, v17
.LBB54_160:                             ; =>This Inner Loop Header: Depth=1
	s_load_dwordx8 s[8:15], s[50:51], 0x4
	s_load_dwordx4 s[28:31], s[50:51], 0x24
	s_load_dwordx8 s[0:7], s[52:53], 0x0
	s_add_u32 s50, s50, 48
	s_addc_u32 s51, s51, 0
	s_waitcnt lgkmcnt(0)
	v_mul_hi_u32 v3, s9, v1
	s_add_i32 s59, s59, 4
	s_add_u32 s52, s52, 32
	s_addc_u32 s53, s53, 0
	v_add_u32_e32 v3, v1, v3
	v_lshrrev_b32_e32 v3, s10, v3
	v_mul_lo_u32 v4, v3, s8
	v_mul_hi_u32 v5, s12, v3
	s_cmp_eq_u32 s57, s59
	v_sub_u32_e32 v1, v1, v4
	v_add_u32_e32 v4, v3, v5
	v_mul_lo_u32 v5, v1, s0
	v_mul_lo_u32 v6, v1, s1
	v_lshrrev_b32_e32 v1, s13, v4
	v_mul_lo_u32 v4, v1, s11
	v_mul_hi_u32 v7, s15, v1
	v_sub_u32_e32 v3, v3, v4
	v_add_u32_e32 v4, v1, v7
	v_lshrrev_b32_e32 v4, s28, v4
	v_mul_hi_u32 v8, s30, v4
	v_mul_lo_u32 v9, v4, s14
	v_mul_lo_u32 v7, v3, s2
	;; [unrolled: 1-line block ×3, first 2 shown]
	v_sub_u32_e32 v9, v1, v9
	v_add_u32_e32 v1, v4, v8
	v_lshrrev_b32_e32 v1, s31, v1
	v_mul_lo_u32 v8, v1, s29
	v_mul_lo_u32 v10, v9, s4
	;; [unrolled: 1-line block ×3, first 2 shown]
	v_add3_u32 v0, v5, v0, v7
	v_sub_u32_e32 v4, v4, v8
	v_mul_lo_u32 v8, v4, s6
	v_mul_lo_u32 v4, v4, s7
	v_add3_u32 v2, v6, v2, v3
	v_add3_u32 v0, v10, v0, v8
	;; [unrolled: 1-line block ×3, first 2 shown]
	s_cbranch_scc0 .LBB54_160
	s_branch .LBB54_180
.LBB54_161:
                                        ; implicit-def: $vgpr0
                                        ; implicit-def: $vgpr2
	s_branch .LBB54_184
.LBB54_162:
	v_mov_b32_e32 v0, 0
	v_mov_b32_e32 v2, 0
	s_branch .LBB54_183
.LBB54_163:
	s_mov_b32 s57, 0
	v_mov_b32_e32 v0, 0
	v_mov_b32_e32 v2, 0
	;; [unrolled: 1-line block ×3, first 2 shown]
.LBB54_164:
	s_and_b32 s4, s58, 3
	s_cmp_eq_u32 s4, 0
	s_cbranch_scc1 .LBB54_167
; %bb.165:
	s_lshl_b32 s0, s57, 3
	s_add_u32 s0, s34, s0
	s_addc_u32 s1, s35, 0
	s_add_u32 s0, s0, 0xc4
	s_addc_u32 s1, s1, 0
	s_mul_i32 s2, s57, 12
	s_add_u32 s2, s34, s2
	s_addc_u32 s3, s35, 0
.LBB54_166:                             ; =>This Inner Loop Header: Depth=1
	s_load_dwordx2 s[6:7], s[2:3], 0x4
	s_load_dword s5, s[2:3], 0xc
	s_load_dwordx2 s[8:9], s[0:1], 0x0
	s_add_u32 s2, s2, 12
	s_addc_u32 s3, s3, 0
	s_waitcnt lgkmcnt(0)
	v_mul_hi_u32 v3, s7, v1
	s_add_u32 s0, s0, 8
	s_addc_u32 s1, s1, 0
	s_add_i32 s4, s4, -1
	v_add_u32_e32 v3, v1, v3
	v_lshrrev_b32_e32 v4, s5, v3
	v_mul_lo_u32 v3, v4, s6
	s_cmp_lg_u32 s4, 0
	v_sub_u32_e32 v3, v1, v3
	v_mad_u64_u32 v[0:1], s[6:7], v3, s8, v[0:1]
	v_mad_u64_u32 v[2:3], s[6:7], v3, s9, v[2:3]
	v_mov_b32_e32 v1, v4
	s_cbranch_scc1 .LBB54_166
.LBB54_167:
	s_cbranch_execnz .LBB54_170
.LBB54_168:
	s_waitcnt lgkmcnt(0)
	v_mul_hi_u32 v0, s25, v17
	s_andn2_b64 vcc, exec, s[42:43]
	v_add_u32_e32 v0, v17, v0
	v_lshrrev_b32_e32 v1, s26, v0
	v_mul_lo_u32 v0, v1, s24
	v_sub_u32_e32 v2, v17, v0
	v_mul_lo_u32 v0, v2, s20
	v_mul_lo_u32 v2, v2, s21
	s_cbranch_vccnz .LBB54_170
; %bb.169:
	v_mul_hi_u32 v3, s40, v1
	v_add_u32_e32 v3, v1, v3
	v_lshrrev_b32_e32 v3, s41, v3
	v_mul_lo_u32 v3, v3, s27
	v_sub_u32_e32 v3, v1, v3
	v_mad_u64_u32 v[0:1], s[0:1], v3, s22, v[0:1]
	v_mad_u64_u32 v[2:3], s[0:1], v3, s23, v[2:3]
.LBB54_170:
	s_waitcnt lgkmcnt(0)
	global_load_ushort v1, v2, s[18:19]
	s_mov_b32 s0, -0.5
	v_mov_b32_e32 v2, 0.5
	v_mov_b32_e32 v3, 0x3c5fc5da
	v_mov_b32_e32 v4, 0x3d034c3c
	;; [unrolled: 1-line block ×5, first 2 shown]
	v_add_u32_e32 v17, 0x80, v17
	s_waitcnt vmcnt(0)
	v_cvt_f32_f16_e32 v6, v1
	v_fma_mix_f32 v2, |v1|, s0, v2 op_sel_hi:[1,0,0]
	s_movk_i32 s0, 0x7fff
	v_mul_f32_e32 v9, v6, v6
	v_cmp_ge_f32_e64 vcc, |v6|, 0.5
	v_cndmask_b32_e32 v2, v9, v2, vcc
	v_fmac_f32_e32 v3, 0x3d1c21a7, v2
	v_fmac_f32_e32 v4, v2, v3
	v_sqrt_f32_e32 v9, v2
	v_fmac_f32_e32 v5, v2, v4
	v_fmac_f32_e32 v7, v2, v5
	;; [unrolled: 1-line block ×3, first 2 shown]
	v_mul_f32_e32 v2, v2, v8
	v_fmac_f32_e32 v9, v9, v2
	v_add_f32_e32 v3, v9, v9
	v_fma_mix_f32 v2, |v1|, v2, |v1| op_sel_hi:[1,0,1]
	v_sub_f32_e32 v3, 0x3fc90fdb, v3
	v_cmp_lt_f32_e64 vcc, |v6|, 0.5
	v_cndmask_b32_e32 v2, v3, v2, vcc
	v_cvt_f16_f32_e32 v2, v2
	v_bfi_b32 v1, s0, v2, v1
	global_store_short v0, v1, s[16:17]
	s_or_b64 exec, exec, s[48:49]
	v_cmp_gt_i32_e32 vcc, s55, v17
	s_and_saveexec_b64 s[48:49], vcc
	s_cbranch_execnz .LBB54_156
.LBB54_171:
	s_or_b64 exec, exec, s[48:49]
	v_cmp_gt_i32_e32 vcc, s55, v17
	s_and_saveexec_b64 s[48:49], vcc
	s_cbranch_execz .LBB54_187
.LBB54_172:
	s_andn2_b64 vcc, exec, s[36:37]
	s_cbranch_vccnz .LBB54_177
; %bb.173:
	s_andn2_b64 vcc, exec, s[46:47]
	s_cbranch_vccnz .LBB54_178
; %bb.174:
	s_add_i32 s58, s56, 1
	s_cmp_eq_u32 s54, 2
	s_cbranch_scc1 .LBB54_195
; %bb.175:
	s_and_b32 s57, s58, 28
	v_mov_b32_e32 v2, 0
	s_mov_b32 s59, 0
	s_mov_b64 s[50:51], s[34:35]
	s_mov_b64 s[52:53], s[44:45]
	v_mov_b32_e32 v0, 0
	v_mov_b32_e32 v1, v17
.LBB54_176:                             ; =>This Inner Loop Header: Depth=1
	s_load_dwordx8 s[8:15], s[50:51], 0x4
	s_load_dwordx4 s[28:31], s[50:51], 0x24
	s_load_dwordx8 s[0:7], s[52:53], 0x0
	s_add_u32 s50, s50, 48
	s_addc_u32 s51, s51, 0
	s_waitcnt lgkmcnt(0)
	v_mul_hi_u32 v3, s9, v1
	s_add_i32 s59, s59, 4
	s_add_u32 s52, s52, 32
	s_addc_u32 s53, s53, 0
	v_add_u32_e32 v3, v1, v3
	v_lshrrev_b32_e32 v3, s10, v3
	v_mul_lo_u32 v4, v3, s8
	v_mul_hi_u32 v5, s12, v3
	s_cmp_eq_u32 s57, s59
	v_sub_u32_e32 v1, v1, v4
	v_add_u32_e32 v4, v3, v5
	v_mul_lo_u32 v5, v1, s0
	v_mul_lo_u32 v6, v1, s1
	v_lshrrev_b32_e32 v1, s13, v4
	v_mul_lo_u32 v4, v1, s11
	v_mul_hi_u32 v7, s15, v1
	v_sub_u32_e32 v3, v3, v4
	v_add_u32_e32 v4, v1, v7
	v_lshrrev_b32_e32 v4, s28, v4
	v_mul_hi_u32 v8, s30, v4
	v_mul_lo_u32 v9, v4, s14
	v_mul_lo_u32 v7, v3, s2
	v_mul_lo_u32 v3, v3, s3
	v_sub_u32_e32 v9, v1, v9
	v_add_u32_e32 v1, v4, v8
	v_lshrrev_b32_e32 v1, s31, v1
	v_mul_lo_u32 v8, v1, s29
	v_mul_lo_u32 v10, v9, s4
	;; [unrolled: 1-line block ×3, first 2 shown]
	v_add3_u32 v0, v5, v0, v7
	v_sub_u32_e32 v4, v4, v8
	v_mul_lo_u32 v8, v4, s6
	v_mul_lo_u32 v4, v4, s7
	v_add3_u32 v2, v6, v2, v3
	v_add3_u32 v0, v10, v0, v8
	;; [unrolled: 1-line block ×3, first 2 shown]
	s_cbranch_scc0 .LBB54_176
	s_branch .LBB54_196
.LBB54_177:
                                        ; implicit-def: $vgpr0
                                        ; implicit-def: $vgpr2
	s_branch .LBB54_200
.LBB54_178:
	v_mov_b32_e32 v0, 0
	v_mov_b32_e32 v2, 0
	s_branch .LBB54_199
.LBB54_179:
	s_mov_b32 s57, 0
	v_mov_b32_e32 v0, 0
	v_mov_b32_e32 v2, 0
	;; [unrolled: 1-line block ×3, first 2 shown]
.LBB54_180:
	s_and_b32 s4, s58, 3
	s_cmp_eq_u32 s4, 0
	s_cbranch_scc1 .LBB54_183
; %bb.181:
	s_lshl_b32 s0, s57, 3
	s_add_u32 s0, s34, s0
	s_addc_u32 s1, s35, 0
	s_add_u32 s0, s0, 0xc4
	s_addc_u32 s1, s1, 0
	s_mul_i32 s2, s57, 12
	s_add_u32 s2, s34, s2
	s_addc_u32 s3, s35, 0
.LBB54_182:                             ; =>This Inner Loop Header: Depth=1
	s_load_dwordx2 s[6:7], s[2:3], 0x4
	s_load_dword s5, s[2:3], 0xc
	s_load_dwordx2 s[8:9], s[0:1], 0x0
	s_add_u32 s2, s2, 12
	s_addc_u32 s3, s3, 0
	s_waitcnt lgkmcnt(0)
	v_mul_hi_u32 v3, s7, v1
	s_add_u32 s0, s0, 8
	s_addc_u32 s1, s1, 0
	s_add_i32 s4, s4, -1
	v_add_u32_e32 v3, v1, v3
	v_lshrrev_b32_e32 v4, s5, v3
	v_mul_lo_u32 v3, v4, s6
	s_cmp_lg_u32 s4, 0
	v_sub_u32_e32 v3, v1, v3
	v_mad_u64_u32 v[0:1], s[6:7], v3, s8, v[0:1]
	v_mad_u64_u32 v[2:3], s[6:7], v3, s9, v[2:3]
	v_mov_b32_e32 v1, v4
	s_cbranch_scc1 .LBB54_182
.LBB54_183:
	s_cbranch_execnz .LBB54_186
.LBB54_184:
	s_waitcnt lgkmcnt(0)
	v_mul_hi_u32 v0, s25, v17
	s_andn2_b64 vcc, exec, s[42:43]
	v_add_u32_e32 v0, v17, v0
	v_lshrrev_b32_e32 v1, s26, v0
	v_mul_lo_u32 v0, v1, s24
	v_sub_u32_e32 v2, v17, v0
	v_mul_lo_u32 v0, v2, s20
	v_mul_lo_u32 v2, v2, s21
	s_cbranch_vccnz .LBB54_186
; %bb.185:
	v_mul_hi_u32 v3, s40, v1
	v_add_u32_e32 v3, v1, v3
	v_lshrrev_b32_e32 v3, s41, v3
	v_mul_lo_u32 v3, v3, s27
	v_sub_u32_e32 v3, v1, v3
	v_mad_u64_u32 v[0:1], s[0:1], v3, s22, v[0:1]
	v_mad_u64_u32 v[2:3], s[0:1], v3, s23, v[2:3]
.LBB54_186:
	s_waitcnt lgkmcnt(0)
	global_load_ushort v1, v2, s[18:19]
	s_mov_b32 s0, -0.5
	v_mov_b32_e32 v2, 0.5
	v_mov_b32_e32 v3, 0x3c5fc5da
	v_mov_b32_e32 v4, 0x3d034c3c
	;; [unrolled: 1-line block ×5, first 2 shown]
	v_add_u32_e32 v17, 0x80, v17
	s_waitcnt vmcnt(0)
	v_cvt_f32_f16_e32 v6, v1
	v_fma_mix_f32 v2, |v1|, s0, v2 op_sel_hi:[1,0,0]
	s_movk_i32 s0, 0x7fff
	v_mul_f32_e32 v9, v6, v6
	v_cmp_ge_f32_e64 vcc, |v6|, 0.5
	v_cndmask_b32_e32 v2, v9, v2, vcc
	v_fmac_f32_e32 v3, 0x3d1c21a7, v2
	v_fmac_f32_e32 v4, v2, v3
	v_sqrt_f32_e32 v9, v2
	v_fmac_f32_e32 v5, v2, v4
	v_fmac_f32_e32 v7, v2, v5
	;; [unrolled: 1-line block ×3, first 2 shown]
	v_mul_f32_e32 v2, v2, v8
	v_fmac_f32_e32 v9, v9, v2
	v_add_f32_e32 v3, v9, v9
	v_fma_mix_f32 v2, |v1|, v2, |v1| op_sel_hi:[1,0,1]
	v_sub_f32_e32 v3, 0x3fc90fdb, v3
	v_cmp_lt_f32_e64 vcc, |v6|, 0.5
	v_cndmask_b32_e32 v2, v3, v2, vcc
	v_cvt_f16_f32_e32 v2, v2
	v_bfi_b32 v1, s0, v2, v1
	global_store_short v0, v1, s[16:17]
	s_or_b64 exec, exec, s[48:49]
	v_cmp_gt_i32_e32 vcc, s55, v17
	s_and_saveexec_b64 s[48:49], vcc
	s_cbranch_execnz .LBB54_172
.LBB54_187:
	s_or_b64 exec, exec, s[48:49]
	v_cmp_gt_i32_e32 vcc, s55, v17
	s_and_saveexec_b64 s[48:49], vcc
	s_cbranch_execz .LBB54_203
.LBB54_188:
	s_andn2_b64 vcc, exec, s[36:37]
	s_cbranch_vccnz .LBB54_193
; %bb.189:
	s_andn2_b64 vcc, exec, s[46:47]
	s_cbranch_vccnz .LBB54_194
; %bb.190:
	s_add_i32 s58, s56, 1
	s_cmp_eq_u32 s54, 2
	s_cbranch_scc1 .LBB54_211
; %bb.191:
	s_and_b32 s57, s58, 28
	v_mov_b32_e32 v2, 0
	s_mov_b32 s59, 0
	s_mov_b64 s[50:51], s[34:35]
	s_mov_b64 s[52:53], s[44:45]
	v_mov_b32_e32 v0, 0
	v_mov_b32_e32 v1, v17
.LBB54_192:                             ; =>This Inner Loop Header: Depth=1
	s_load_dwordx8 s[8:15], s[50:51], 0x4
	s_load_dwordx4 s[28:31], s[50:51], 0x24
	s_load_dwordx8 s[0:7], s[52:53], 0x0
	s_add_u32 s50, s50, 48
	s_addc_u32 s51, s51, 0
	s_waitcnt lgkmcnt(0)
	v_mul_hi_u32 v3, s9, v1
	s_add_i32 s59, s59, 4
	s_add_u32 s52, s52, 32
	s_addc_u32 s53, s53, 0
	v_add_u32_e32 v3, v1, v3
	v_lshrrev_b32_e32 v3, s10, v3
	v_mul_lo_u32 v4, v3, s8
	v_mul_hi_u32 v5, s12, v3
	s_cmp_eq_u32 s57, s59
	v_sub_u32_e32 v1, v1, v4
	v_add_u32_e32 v4, v3, v5
	v_mul_lo_u32 v5, v1, s0
	v_mul_lo_u32 v6, v1, s1
	v_lshrrev_b32_e32 v1, s13, v4
	v_mul_lo_u32 v4, v1, s11
	v_mul_hi_u32 v7, s15, v1
	v_sub_u32_e32 v3, v3, v4
	v_add_u32_e32 v4, v1, v7
	v_lshrrev_b32_e32 v4, s28, v4
	v_mul_hi_u32 v8, s30, v4
	v_mul_lo_u32 v9, v4, s14
	v_mul_lo_u32 v7, v3, s2
	;; [unrolled: 1-line block ×3, first 2 shown]
	v_sub_u32_e32 v9, v1, v9
	v_add_u32_e32 v1, v4, v8
	v_lshrrev_b32_e32 v1, s31, v1
	v_mul_lo_u32 v8, v1, s29
	v_mul_lo_u32 v10, v9, s4
	;; [unrolled: 1-line block ×3, first 2 shown]
	v_add3_u32 v0, v5, v0, v7
	v_sub_u32_e32 v4, v4, v8
	v_mul_lo_u32 v8, v4, s6
	v_mul_lo_u32 v4, v4, s7
	v_add3_u32 v2, v6, v2, v3
	v_add3_u32 v0, v10, v0, v8
	;; [unrolled: 1-line block ×3, first 2 shown]
	s_cbranch_scc0 .LBB54_192
	s_branch .LBB54_212
.LBB54_193:
                                        ; implicit-def: $vgpr0
                                        ; implicit-def: $vgpr2
	s_branch .LBB54_216
.LBB54_194:
	v_mov_b32_e32 v0, 0
	v_mov_b32_e32 v2, 0
	s_branch .LBB54_215
.LBB54_195:
	s_mov_b32 s57, 0
	v_mov_b32_e32 v0, 0
	v_mov_b32_e32 v2, 0
	;; [unrolled: 1-line block ×3, first 2 shown]
.LBB54_196:
	s_and_b32 s4, s58, 3
	s_cmp_eq_u32 s4, 0
	s_cbranch_scc1 .LBB54_199
; %bb.197:
	s_lshl_b32 s0, s57, 3
	s_add_u32 s0, s34, s0
	s_addc_u32 s1, s35, 0
	s_add_u32 s0, s0, 0xc4
	s_addc_u32 s1, s1, 0
	s_mul_i32 s2, s57, 12
	s_add_u32 s2, s34, s2
	s_addc_u32 s3, s35, 0
.LBB54_198:                             ; =>This Inner Loop Header: Depth=1
	s_load_dwordx2 s[6:7], s[2:3], 0x4
	s_load_dword s5, s[2:3], 0xc
	s_load_dwordx2 s[8:9], s[0:1], 0x0
	s_add_u32 s2, s2, 12
	s_addc_u32 s3, s3, 0
	s_waitcnt lgkmcnt(0)
	v_mul_hi_u32 v3, s7, v1
	s_add_u32 s0, s0, 8
	s_addc_u32 s1, s1, 0
	s_add_i32 s4, s4, -1
	v_add_u32_e32 v3, v1, v3
	v_lshrrev_b32_e32 v4, s5, v3
	v_mul_lo_u32 v3, v4, s6
	s_cmp_lg_u32 s4, 0
	v_sub_u32_e32 v3, v1, v3
	v_mad_u64_u32 v[0:1], s[6:7], v3, s8, v[0:1]
	v_mad_u64_u32 v[2:3], s[6:7], v3, s9, v[2:3]
	v_mov_b32_e32 v1, v4
	s_cbranch_scc1 .LBB54_198
.LBB54_199:
	s_cbranch_execnz .LBB54_202
.LBB54_200:
	s_waitcnt lgkmcnt(0)
	v_mul_hi_u32 v0, s25, v17
	s_andn2_b64 vcc, exec, s[42:43]
	v_add_u32_e32 v0, v17, v0
	v_lshrrev_b32_e32 v1, s26, v0
	v_mul_lo_u32 v0, v1, s24
	v_sub_u32_e32 v2, v17, v0
	v_mul_lo_u32 v0, v2, s20
	v_mul_lo_u32 v2, v2, s21
	s_cbranch_vccnz .LBB54_202
; %bb.201:
	v_mul_hi_u32 v3, s40, v1
	v_add_u32_e32 v3, v1, v3
	v_lshrrev_b32_e32 v3, s41, v3
	v_mul_lo_u32 v3, v3, s27
	v_sub_u32_e32 v3, v1, v3
	v_mad_u64_u32 v[0:1], s[0:1], v3, s22, v[0:1]
	v_mad_u64_u32 v[2:3], s[0:1], v3, s23, v[2:3]
.LBB54_202:
	s_waitcnt lgkmcnt(0)
	global_load_ushort v1, v2, s[18:19]
	s_mov_b32 s0, -0.5
	v_mov_b32_e32 v2, 0.5
	v_mov_b32_e32 v3, 0x3c5fc5da
	v_mov_b32_e32 v4, 0x3d034c3c
	;; [unrolled: 1-line block ×5, first 2 shown]
	v_add_u32_e32 v17, 0x80, v17
	s_waitcnt vmcnt(0)
	v_cvt_f32_f16_e32 v6, v1
	v_fma_mix_f32 v2, |v1|, s0, v2 op_sel_hi:[1,0,0]
	s_movk_i32 s0, 0x7fff
	v_mul_f32_e32 v9, v6, v6
	v_cmp_ge_f32_e64 vcc, |v6|, 0.5
	v_cndmask_b32_e32 v2, v9, v2, vcc
	v_fmac_f32_e32 v3, 0x3d1c21a7, v2
	v_fmac_f32_e32 v4, v2, v3
	v_sqrt_f32_e32 v9, v2
	v_fmac_f32_e32 v5, v2, v4
	v_fmac_f32_e32 v7, v2, v5
	;; [unrolled: 1-line block ×3, first 2 shown]
	v_mul_f32_e32 v2, v2, v8
	v_fmac_f32_e32 v9, v9, v2
	v_add_f32_e32 v3, v9, v9
	v_fma_mix_f32 v2, |v1|, v2, |v1| op_sel_hi:[1,0,1]
	v_sub_f32_e32 v3, 0x3fc90fdb, v3
	v_cmp_lt_f32_e64 vcc, |v6|, 0.5
	v_cndmask_b32_e32 v2, v3, v2, vcc
	v_cvt_f16_f32_e32 v2, v2
	v_bfi_b32 v1, s0, v2, v1
	global_store_short v0, v1, s[16:17]
	s_or_b64 exec, exec, s[48:49]
	v_cmp_gt_i32_e32 vcc, s55, v17
	s_and_saveexec_b64 s[48:49], vcc
	s_cbranch_execnz .LBB54_188
.LBB54_203:
	s_or_b64 exec, exec, s[48:49]
	v_cmp_gt_i32_e32 vcc, s55, v17
	s_and_saveexec_b64 s[48:49], vcc
	s_cbranch_execz .LBB54_219
.LBB54_204:
	s_andn2_b64 vcc, exec, s[36:37]
	s_cbranch_vccnz .LBB54_209
; %bb.205:
	s_andn2_b64 vcc, exec, s[46:47]
	s_cbranch_vccnz .LBB54_210
; %bb.206:
	s_add_i32 s58, s56, 1
	s_cmp_eq_u32 s54, 2
	s_cbranch_scc1 .LBB54_222
; %bb.207:
	s_and_b32 s57, s58, 28
	v_mov_b32_e32 v2, 0
	s_mov_b32 s59, 0
	s_mov_b64 s[50:51], s[34:35]
	s_mov_b64 s[52:53], s[44:45]
	v_mov_b32_e32 v0, 0
	v_mov_b32_e32 v1, v17
.LBB54_208:                             ; =>This Inner Loop Header: Depth=1
	s_load_dwordx8 s[8:15], s[50:51], 0x4
	s_load_dwordx4 s[28:31], s[50:51], 0x24
	s_load_dwordx8 s[0:7], s[52:53], 0x0
	s_add_u32 s50, s50, 48
	s_addc_u32 s51, s51, 0
	s_waitcnt lgkmcnt(0)
	v_mul_hi_u32 v3, s9, v1
	s_add_i32 s59, s59, 4
	s_add_u32 s52, s52, 32
	s_addc_u32 s53, s53, 0
	v_add_u32_e32 v3, v1, v3
	v_lshrrev_b32_e32 v3, s10, v3
	v_mul_lo_u32 v4, v3, s8
	v_mul_hi_u32 v5, s12, v3
	s_cmp_eq_u32 s57, s59
	v_sub_u32_e32 v1, v1, v4
	v_add_u32_e32 v4, v3, v5
	v_mul_lo_u32 v5, v1, s0
	v_mul_lo_u32 v6, v1, s1
	v_lshrrev_b32_e32 v1, s13, v4
	v_mul_lo_u32 v4, v1, s11
	v_mul_hi_u32 v7, s15, v1
	v_sub_u32_e32 v3, v3, v4
	v_add_u32_e32 v4, v1, v7
	v_lshrrev_b32_e32 v4, s28, v4
	v_mul_hi_u32 v8, s30, v4
	v_mul_lo_u32 v9, v4, s14
	v_mul_lo_u32 v7, v3, s2
	;; [unrolled: 1-line block ×3, first 2 shown]
	v_sub_u32_e32 v9, v1, v9
	v_add_u32_e32 v1, v4, v8
	v_lshrrev_b32_e32 v1, s31, v1
	v_mul_lo_u32 v8, v1, s29
	v_mul_lo_u32 v10, v9, s4
	;; [unrolled: 1-line block ×3, first 2 shown]
	v_add3_u32 v0, v5, v0, v7
	v_sub_u32_e32 v4, v4, v8
	v_mul_lo_u32 v8, v4, s6
	v_mul_lo_u32 v4, v4, s7
	v_add3_u32 v2, v6, v2, v3
	v_add3_u32 v0, v10, v0, v8
	;; [unrolled: 1-line block ×3, first 2 shown]
	s_cbranch_scc0 .LBB54_208
	s_branch .LBB54_223
.LBB54_209:
                                        ; implicit-def: $vgpr0
                                        ; implicit-def: $vgpr2
	s_branch .LBB54_227
.LBB54_210:
	v_mov_b32_e32 v0, 0
	v_mov_b32_e32 v2, 0
	s_branch .LBB54_226
.LBB54_211:
	s_mov_b32 s57, 0
	v_mov_b32_e32 v0, 0
	v_mov_b32_e32 v2, 0
	;; [unrolled: 1-line block ×3, first 2 shown]
.LBB54_212:
	s_and_b32 s4, s58, 3
	s_cmp_eq_u32 s4, 0
	s_cbranch_scc1 .LBB54_215
; %bb.213:
	s_lshl_b32 s0, s57, 3
	s_add_u32 s0, s34, s0
	s_addc_u32 s1, s35, 0
	s_add_u32 s0, s0, 0xc4
	s_addc_u32 s1, s1, 0
	s_mul_i32 s2, s57, 12
	s_add_u32 s2, s34, s2
	s_addc_u32 s3, s35, 0
.LBB54_214:                             ; =>This Inner Loop Header: Depth=1
	s_load_dwordx2 s[6:7], s[2:3], 0x4
	s_load_dword s5, s[2:3], 0xc
	s_load_dwordx2 s[8:9], s[0:1], 0x0
	s_add_u32 s2, s2, 12
	s_addc_u32 s3, s3, 0
	s_waitcnt lgkmcnt(0)
	v_mul_hi_u32 v3, s7, v1
	s_add_u32 s0, s0, 8
	s_addc_u32 s1, s1, 0
	s_add_i32 s4, s4, -1
	v_add_u32_e32 v3, v1, v3
	v_lshrrev_b32_e32 v4, s5, v3
	v_mul_lo_u32 v3, v4, s6
	s_cmp_lg_u32 s4, 0
	v_sub_u32_e32 v3, v1, v3
	v_mad_u64_u32 v[0:1], s[6:7], v3, s8, v[0:1]
	v_mad_u64_u32 v[2:3], s[6:7], v3, s9, v[2:3]
	v_mov_b32_e32 v1, v4
	s_cbranch_scc1 .LBB54_214
.LBB54_215:
	s_cbranch_execnz .LBB54_218
.LBB54_216:
	s_waitcnt lgkmcnt(0)
	v_mul_hi_u32 v0, s25, v17
	s_andn2_b64 vcc, exec, s[42:43]
	v_add_u32_e32 v0, v17, v0
	v_lshrrev_b32_e32 v1, s26, v0
	v_mul_lo_u32 v0, v1, s24
	v_sub_u32_e32 v2, v17, v0
	v_mul_lo_u32 v0, v2, s20
	v_mul_lo_u32 v2, v2, s21
	s_cbranch_vccnz .LBB54_218
; %bb.217:
	v_mul_hi_u32 v3, s40, v1
	v_add_u32_e32 v3, v1, v3
	v_lshrrev_b32_e32 v3, s41, v3
	v_mul_lo_u32 v3, v3, s27
	v_sub_u32_e32 v3, v1, v3
	v_mad_u64_u32 v[0:1], s[0:1], v3, s22, v[0:1]
	v_mad_u64_u32 v[2:3], s[0:1], v3, s23, v[2:3]
.LBB54_218:
	s_waitcnt lgkmcnt(0)
	global_load_ushort v1, v2, s[18:19]
	s_mov_b32 s0, -0.5
	v_mov_b32_e32 v2, 0.5
	v_mov_b32_e32 v3, 0x3c5fc5da
	v_mov_b32_e32 v4, 0x3d034c3c
	;; [unrolled: 1-line block ×5, first 2 shown]
	v_add_u32_e32 v17, 0x80, v17
	s_waitcnt vmcnt(0)
	v_cvt_f32_f16_e32 v6, v1
	v_fma_mix_f32 v2, |v1|, s0, v2 op_sel_hi:[1,0,0]
	s_movk_i32 s0, 0x7fff
	v_mul_f32_e32 v9, v6, v6
	v_cmp_ge_f32_e64 vcc, |v6|, 0.5
	v_cndmask_b32_e32 v2, v9, v2, vcc
	v_fmac_f32_e32 v3, 0x3d1c21a7, v2
	v_fmac_f32_e32 v4, v2, v3
	v_sqrt_f32_e32 v9, v2
	v_fmac_f32_e32 v5, v2, v4
	v_fmac_f32_e32 v7, v2, v5
	;; [unrolled: 1-line block ×3, first 2 shown]
	v_mul_f32_e32 v2, v2, v8
	v_fmac_f32_e32 v9, v9, v2
	v_add_f32_e32 v3, v9, v9
	v_fma_mix_f32 v2, |v1|, v2, |v1| op_sel_hi:[1,0,1]
	v_sub_f32_e32 v3, 0x3fc90fdb, v3
	v_cmp_lt_f32_e64 vcc, |v6|, 0.5
	v_cndmask_b32_e32 v2, v3, v2, vcc
	v_cvt_f16_f32_e32 v2, v2
	v_bfi_b32 v1, s0, v2, v1
	global_store_short v0, v1, s[16:17]
	s_or_b64 exec, exec, s[48:49]
	v_cmp_gt_i32_e32 vcc, s55, v17
	s_and_saveexec_b64 s[48:49], vcc
	s_cbranch_execnz .LBB54_204
.LBB54_219:
	s_or_b64 exec, exec, s[48:49]
	v_cmp_gt_i32_e32 vcc, s55, v17
	s_and_saveexec_b64 s[48:49], vcc
	s_cbranch_execnz .LBB54_230
.LBB54_220:
	s_or_b64 exec, exec, s[48:49]
                                        ; implicit-def: $vgpr24
                                        ; implicit-def: $vgpr17
	s_andn2_saveexec_b64 s[0:1], s[38:39]
	s_cbranch_execnz .LBB54_8
.LBB54_221:
	s_endpgm
.LBB54_222:
	s_mov_b32 s57, 0
	v_mov_b32_e32 v0, 0
	v_mov_b32_e32 v2, 0
	;; [unrolled: 1-line block ×3, first 2 shown]
.LBB54_223:
	s_and_b32 s4, s58, 3
	s_cmp_eq_u32 s4, 0
	s_cbranch_scc1 .LBB54_226
; %bb.224:
	s_lshl_b32 s0, s57, 3
	s_add_u32 s0, s34, s0
	s_addc_u32 s1, s35, 0
	s_add_u32 s0, s0, 0xc4
	s_addc_u32 s1, s1, 0
	s_mul_i32 s2, s57, 12
	s_add_u32 s2, s34, s2
	s_addc_u32 s3, s35, 0
.LBB54_225:                             ; =>This Inner Loop Header: Depth=1
	s_load_dwordx2 s[6:7], s[2:3], 0x4
	s_load_dword s5, s[2:3], 0xc
	s_load_dwordx2 s[8:9], s[0:1], 0x0
	s_add_u32 s2, s2, 12
	s_addc_u32 s3, s3, 0
	s_waitcnt lgkmcnt(0)
	v_mul_hi_u32 v3, s7, v1
	s_add_u32 s0, s0, 8
	s_addc_u32 s1, s1, 0
	s_add_i32 s4, s4, -1
	v_add_u32_e32 v3, v1, v3
	v_lshrrev_b32_e32 v4, s5, v3
	v_mul_lo_u32 v3, v4, s6
	s_cmp_lg_u32 s4, 0
	v_sub_u32_e32 v3, v1, v3
	v_mad_u64_u32 v[0:1], s[6:7], v3, s8, v[0:1]
	v_mad_u64_u32 v[2:3], s[6:7], v3, s9, v[2:3]
	v_mov_b32_e32 v1, v4
	s_cbranch_scc1 .LBB54_225
.LBB54_226:
	s_cbranch_execnz .LBB54_229
.LBB54_227:
	s_waitcnt lgkmcnt(0)
	v_mul_hi_u32 v0, s25, v17
	s_andn2_b64 vcc, exec, s[42:43]
	v_add_u32_e32 v0, v17, v0
	v_lshrrev_b32_e32 v1, s26, v0
	v_mul_lo_u32 v0, v1, s24
	v_sub_u32_e32 v2, v17, v0
	v_mul_lo_u32 v0, v2, s20
	v_mul_lo_u32 v2, v2, s21
	s_cbranch_vccnz .LBB54_229
; %bb.228:
	v_mul_hi_u32 v3, s40, v1
	v_add_u32_e32 v3, v1, v3
	v_lshrrev_b32_e32 v3, s41, v3
	v_mul_lo_u32 v3, v3, s27
	v_sub_u32_e32 v3, v1, v3
	v_mad_u64_u32 v[0:1], s[0:1], v3, s22, v[0:1]
	v_mad_u64_u32 v[2:3], s[0:1], v3, s23, v[2:3]
.LBB54_229:
	s_waitcnt lgkmcnt(0)
	global_load_ushort v1, v2, s[18:19]
	s_mov_b32 s0, -0.5
	v_mov_b32_e32 v2, 0.5
	v_mov_b32_e32 v3, 0x3c5fc5da
	v_mov_b32_e32 v4, 0x3d034c3c
	;; [unrolled: 1-line block ×5, first 2 shown]
	v_add_u32_e32 v17, 0x80, v17
	s_waitcnt vmcnt(0)
	v_cvt_f32_f16_e32 v6, v1
	v_fma_mix_f32 v2, |v1|, s0, v2 op_sel_hi:[1,0,0]
	s_movk_i32 s0, 0x7fff
	v_mul_f32_e32 v9, v6, v6
	v_cmp_ge_f32_e64 vcc, |v6|, 0.5
	v_cndmask_b32_e32 v2, v9, v2, vcc
	v_fmac_f32_e32 v3, 0x3d1c21a7, v2
	v_fmac_f32_e32 v4, v2, v3
	v_sqrt_f32_e32 v9, v2
	v_fmac_f32_e32 v5, v2, v4
	v_fmac_f32_e32 v7, v2, v5
	;; [unrolled: 1-line block ×3, first 2 shown]
	v_mul_f32_e32 v2, v2, v8
	v_fmac_f32_e32 v9, v9, v2
	v_add_f32_e32 v3, v9, v9
	v_fma_mix_f32 v2, |v1|, v2, |v1| op_sel_hi:[1,0,1]
	v_sub_f32_e32 v3, 0x3fc90fdb, v3
	v_cmp_lt_f32_e64 vcc, |v6|, 0.5
	v_cndmask_b32_e32 v2, v3, v2, vcc
	v_cvt_f16_f32_e32 v2, v2
	v_bfi_b32 v1, s0, v2, v1
	global_store_short v0, v1, s[16:17]
	s_or_b64 exec, exec, s[48:49]
	v_cmp_gt_i32_e32 vcc, s55, v17
	s_and_saveexec_b64 s[48:49], vcc
	s_cbranch_execz .LBB54_220
.LBB54_230:
	s_andn2_b64 vcc, exec, s[36:37]
	s_cbranch_vccnz .LBB54_235
; %bb.231:
	s_andn2_b64 vcc, exec, s[46:47]
	s_cbranch_vccnz .LBB54_236
; %bb.232:
	s_add_i32 s56, s56, 1
	s_cmp_eq_u32 s54, 2
	s_cbranch_scc1 .LBB54_237
; %bb.233:
	s_and_b32 s50, s56, 28
	v_mov_b32_e32 v2, 0
	s_mov_b32 s51, 0
	s_mov_b64 s[46:47], s[34:35]
	v_mov_b32_e32 v0, 0
	v_mov_b32_e32 v1, v17
.LBB54_234:                             ; =>This Inner Loop Header: Depth=1
	s_load_dwordx8 s[8:15], s[46:47], 0x4
	s_load_dwordx4 s[28:31], s[46:47], 0x24
	s_load_dwordx8 s[0:7], s[44:45], 0x0
	s_add_u32 s46, s46, 48
	s_addc_u32 s47, s47, 0
	s_waitcnt lgkmcnt(0)
	v_mul_hi_u32 v3, s9, v1
	s_add_i32 s51, s51, 4
	s_add_u32 s44, s44, 32
	s_addc_u32 s45, s45, 0
	v_add_u32_e32 v3, v1, v3
	v_lshrrev_b32_e32 v3, s10, v3
	v_mul_lo_u32 v4, v3, s8
	v_mul_hi_u32 v5, s12, v3
	s_cmp_eq_u32 s50, s51
	v_sub_u32_e32 v1, v1, v4
	v_add_u32_e32 v4, v3, v5
	v_mul_lo_u32 v5, v1, s0
	v_mul_lo_u32 v6, v1, s1
	v_lshrrev_b32_e32 v1, s13, v4
	v_mul_lo_u32 v4, v1, s11
	v_mul_hi_u32 v7, s15, v1
	v_sub_u32_e32 v3, v3, v4
	v_add_u32_e32 v4, v1, v7
	v_lshrrev_b32_e32 v4, s28, v4
	v_mul_hi_u32 v8, s30, v4
	v_mul_lo_u32 v9, v4, s14
	v_mul_lo_u32 v7, v3, s2
	;; [unrolled: 1-line block ×3, first 2 shown]
	v_sub_u32_e32 v9, v1, v9
	v_add_u32_e32 v1, v4, v8
	v_lshrrev_b32_e32 v1, s31, v1
	v_mul_lo_u32 v8, v1, s29
	v_mul_lo_u32 v10, v9, s4
	;; [unrolled: 1-line block ×3, first 2 shown]
	v_add3_u32 v0, v5, v0, v7
	v_sub_u32_e32 v4, v4, v8
	v_mul_lo_u32 v8, v4, s6
	v_mul_lo_u32 v4, v4, s7
	v_add3_u32 v2, v6, v2, v3
	v_add3_u32 v0, v10, v0, v8
	;; [unrolled: 1-line block ×3, first 2 shown]
	s_cbranch_scc0 .LBB54_234
	s_branch .LBB54_238
.LBB54_235:
                                        ; implicit-def: $vgpr0
                                        ; implicit-def: $vgpr2
	s_branch .LBB54_242
.LBB54_236:
	v_mov_b32_e32 v0, 0
	v_mov_b32_e32 v2, 0
	s_branch .LBB54_241
.LBB54_237:
	s_mov_b32 s50, 0
	v_mov_b32_e32 v0, 0
	v_mov_b32_e32 v2, 0
	;; [unrolled: 1-line block ×3, first 2 shown]
.LBB54_238:
	s_and_b32 s4, s56, 3
	s_cmp_eq_u32 s4, 0
	s_cbranch_scc1 .LBB54_241
; %bb.239:
	s_lshl_b32 s0, s50, 3
	s_add_u32 s0, s34, s0
	s_addc_u32 s1, s35, 0
	s_add_u32 s0, s0, 0xc4
	s_addc_u32 s1, s1, 0
	s_mul_i32 s2, s50, 12
	s_add_u32 s2, s34, s2
	s_addc_u32 s3, s35, 0
.LBB54_240:                             ; =>This Inner Loop Header: Depth=1
	s_load_dwordx2 s[6:7], s[2:3], 0x4
	s_load_dword s5, s[2:3], 0xc
	s_load_dwordx2 s[8:9], s[0:1], 0x0
	s_add_u32 s2, s2, 12
	s_addc_u32 s3, s3, 0
	s_waitcnt lgkmcnt(0)
	v_mul_hi_u32 v3, s7, v1
	s_add_u32 s0, s0, 8
	s_addc_u32 s1, s1, 0
	s_add_i32 s4, s4, -1
	v_add_u32_e32 v3, v1, v3
	v_lshrrev_b32_e32 v4, s5, v3
	v_mul_lo_u32 v3, v4, s6
	s_cmp_lg_u32 s4, 0
	v_sub_u32_e32 v3, v1, v3
	v_mad_u64_u32 v[0:1], s[6:7], v3, s8, v[0:1]
	v_mad_u64_u32 v[2:3], s[6:7], v3, s9, v[2:3]
	v_mov_b32_e32 v1, v4
	s_cbranch_scc1 .LBB54_240
.LBB54_241:
	s_cbranch_execnz .LBB54_244
.LBB54_242:
	s_waitcnt lgkmcnt(0)
	v_mul_hi_u32 v0, s25, v17
	s_andn2_b64 vcc, exec, s[42:43]
	v_add_u32_e32 v0, v17, v0
	v_lshrrev_b32_e32 v1, s26, v0
	v_mul_lo_u32 v0, v1, s24
	v_sub_u32_e32 v2, v17, v0
	v_mul_lo_u32 v0, v2, s20
	v_mul_lo_u32 v2, v2, s21
	s_cbranch_vccnz .LBB54_244
; %bb.243:
	v_mul_hi_u32 v3, s40, v1
	v_add_u32_e32 v3, v1, v3
	v_lshrrev_b32_e32 v3, s41, v3
	v_mul_lo_u32 v3, v3, s27
	v_sub_u32_e32 v3, v1, v3
	v_mad_u64_u32 v[0:1], s[0:1], v3, s22, v[0:1]
	v_mad_u64_u32 v[2:3], s[0:1], v3, s23, v[2:3]
.LBB54_244:
	s_waitcnt lgkmcnt(0)
	global_load_ushort v1, v2, s[18:19]
	s_mov_b32 s0, -0.5
	v_mov_b32_e32 v2, 0.5
	v_mov_b32_e32 v3, 0x3c5fc5da
	v_mov_b32_e32 v4, 0x3d034c3c
	;; [unrolled: 1-line block ×5, first 2 shown]
	s_waitcnt vmcnt(0)
	v_cvt_f32_f16_e32 v6, v1
	v_fma_mix_f32 v2, |v1|, s0, v2 op_sel_hi:[1,0,0]
	s_movk_i32 s0, 0x7fff
	v_mul_f32_e32 v9, v6, v6
	v_cmp_ge_f32_e64 vcc, |v6|, 0.5
	v_cndmask_b32_e32 v2, v9, v2, vcc
	v_fmac_f32_e32 v3, 0x3d1c21a7, v2
	v_fmac_f32_e32 v4, v2, v3
	v_sqrt_f32_e32 v9, v2
	v_fmac_f32_e32 v5, v2, v4
	v_fmac_f32_e32 v7, v2, v5
	;; [unrolled: 1-line block ×3, first 2 shown]
	v_mul_f32_e32 v2, v2, v8
	v_fmac_f32_e32 v9, v9, v2
	v_add_f32_e32 v3, v9, v9
	v_fma_mix_f32 v2, |v1|, v2, |v1| op_sel_hi:[1,0,1]
	v_sub_f32_e32 v3, 0x3fc90fdb, v3
	v_cmp_lt_f32_e64 vcc, |v6|, 0.5
	v_cndmask_b32_e32 v2, v3, v2, vcc
	v_cvt_f16_f32_e32 v2, v2
	v_bfi_b32 v1, s0, v2, v1
	global_store_short v0, v1, s[16:17]
	s_or_b64 exec, exec, s[48:49]
                                        ; implicit-def: $vgpr24
                                        ; implicit-def: $vgpr17
	s_andn2_saveexec_b64 s[0:1], s[38:39]
	s_cbranch_execz .LBB54_221
	s_branch .LBB54_8
	.section	.rodata,"a",@progbits
	.p2align	6, 0x0
	.amdhsa_kernel _ZN2at6native32elementwise_kernel_manual_unrollILi128ELi8EZNS0_22gpu_kernel_impl_nocastIZZZNS0_16asin_kernel_cudaERNS_18TensorIteratorBaseEENKUlvE0_clEvENKUlvE1_clEvEUlN3c104HalfEE_EEvS4_RKT_EUlibE_EEviT1_
		.amdhsa_group_segment_fixed_size 0
		.amdhsa_private_segment_fixed_size 0
		.amdhsa_kernarg_size 360
		.amdhsa_user_sgpr_count 6
		.amdhsa_user_sgpr_private_segment_buffer 1
		.amdhsa_user_sgpr_dispatch_ptr 0
		.amdhsa_user_sgpr_queue_ptr 0
		.amdhsa_user_sgpr_kernarg_segment_ptr 1
		.amdhsa_user_sgpr_dispatch_id 0
		.amdhsa_user_sgpr_flat_scratch_init 0
		.amdhsa_user_sgpr_private_segment_size 0
		.amdhsa_uses_dynamic_stack 0
		.amdhsa_system_sgpr_private_segment_wavefront_offset 0
		.amdhsa_system_sgpr_workgroup_id_x 1
		.amdhsa_system_sgpr_workgroup_id_y 0
		.amdhsa_system_sgpr_workgroup_id_z 0
		.amdhsa_system_sgpr_workgroup_info 0
		.amdhsa_system_vgpr_workitem_id 0
		.amdhsa_next_free_vgpr 28
		.amdhsa_next_free_sgpr 60
		.amdhsa_reserve_vcc 1
		.amdhsa_reserve_flat_scratch 0
		.amdhsa_float_round_mode_32 0
		.amdhsa_float_round_mode_16_64 0
		.amdhsa_float_denorm_mode_32 3
		.amdhsa_float_denorm_mode_16_64 3
		.amdhsa_dx10_clamp 1
		.amdhsa_ieee_mode 1
		.amdhsa_fp16_overflow 0
		.amdhsa_exception_fp_ieee_invalid_op 0
		.amdhsa_exception_fp_denorm_src 0
		.amdhsa_exception_fp_ieee_div_zero 0
		.amdhsa_exception_fp_ieee_overflow 0
		.amdhsa_exception_fp_ieee_underflow 0
		.amdhsa_exception_fp_ieee_inexact 0
		.amdhsa_exception_int_div_zero 0
	.end_amdhsa_kernel
	.section	.text._ZN2at6native32elementwise_kernel_manual_unrollILi128ELi8EZNS0_22gpu_kernel_impl_nocastIZZZNS0_16asin_kernel_cudaERNS_18TensorIteratorBaseEENKUlvE0_clEvENKUlvE1_clEvEUlN3c104HalfEE_EEvS4_RKT_EUlibE_EEviT1_,"axG",@progbits,_ZN2at6native32elementwise_kernel_manual_unrollILi128ELi8EZNS0_22gpu_kernel_impl_nocastIZZZNS0_16asin_kernel_cudaERNS_18TensorIteratorBaseEENKUlvE0_clEvENKUlvE1_clEvEUlN3c104HalfEE_EEvS4_RKT_EUlibE_EEviT1_,comdat
.Lfunc_end54:
	.size	_ZN2at6native32elementwise_kernel_manual_unrollILi128ELi8EZNS0_22gpu_kernel_impl_nocastIZZZNS0_16asin_kernel_cudaERNS_18TensorIteratorBaseEENKUlvE0_clEvENKUlvE1_clEvEUlN3c104HalfEE_EEvS4_RKT_EUlibE_EEviT1_, .Lfunc_end54-_ZN2at6native32elementwise_kernel_manual_unrollILi128ELi8EZNS0_22gpu_kernel_impl_nocastIZZZNS0_16asin_kernel_cudaERNS_18TensorIteratorBaseEENKUlvE0_clEvENKUlvE1_clEvEUlN3c104HalfEE_EEvS4_RKT_EUlibE_EEviT1_
                                        ; -- End function
	.set _ZN2at6native32elementwise_kernel_manual_unrollILi128ELi8EZNS0_22gpu_kernel_impl_nocastIZZZNS0_16asin_kernel_cudaERNS_18TensorIteratorBaseEENKUlvE0_clEvENKUlvE1_clEvEUlN3c104HalfEE_EEvS4_RKT_EUlibE_EEviT1_.num_vgpr, 28
	.set _ZN2at6native32elementwise_kernel_manual_unrollILi128ELi8EZNS0_22gpu_kernel_impl_nocastIZZZNS0_16asin_kernel_cudaERNS_18TensorIteratorBaseEENKUlvE0_clEvENKUlvE1_clEvEUlN3c104HalfEE_EEvS4_RKT_EUlibE_EEviT1_.num_agpr, 0
	.set _ZN2at6native32elementwise_kernel_manual_unrollILi128ELi8EZNS0_22gpu_kernel_impl_nocastIZZZNS0_16asin_kernel_cudaERNS_18TensorIteratorBaseEENKUlvE0_clEvENKUlvE1_clEvEUlN3c104HalfEE_EEvS4_RKT_EUlibE_EEviT1_.numbered_sgpr, 60
	.set _ZN2at6native32elementwise_kernel_manual_unrollILi128ELi8EZNS0_22gpu_kernel_impl_nocastIZZZNS0_16asin_kernel_cudaERNS_18TensorIteratorBaseEENKUlvE0_clEvENKUlvE1_clEvEUlN3c104HalfEE_EEvS4_RKT_EUlibE_EEviT1_.num_named_barrier, 0
	.set _ZN2at6native32elementwise_kernel_manual_unrollILi128ELi8EZNS0_22gpu_kernel_impl_nocastIZZZNS0_16asin_kernel_cudaERNS_18TensorIteratorBaseEENKUlvE0_clEvENKUlvE1_clEvEUlN3c104HalfEE_EEvS4_RKT_EUlibE_EEviT1_.private_seg_size, 0
	.set _ZN2at6native32elementwise_kernel_manual_unrollILi128ELi8EZNS0_22gpu_kernel_impl_nocastIZZZNS0_16asin_kernel_cudaERNS_18TensorIteratorBaseEENKUlvE0_clEvENKUlvE1_clEvEUlN3c104HalfEE_EEvS4_RKT_EUlibE_EEviT1_.uses_vcc, 1
	.set _ZN2at6native32elementwise_kernel_manual_unrollILi128ELi8EZNS0_22gpu_kernel_impl_nocastIZZZNS0_16asin_kernel_cudaERNS_18TensorIteratorBaseEENKUlvE0_clEvENKUlvE1_clEvEUlN3c104HalfEE_EEvS4_RKT_EUlibE_EEviT1_.uses_flat_scratch, 0
	.set _ZN2at6native32elementwise_kernel_manual_unrollILi128ELi8EZNS0_22gpu_kernel_impl_nocastIZZZNS0_16asin_kernel_cudaERNS_18TensorIteratorBaseEENKUlvE0_clEvENKUlvE1_clEvEUlN3c104HalfEE_EEvS4_RKT_EUlibE_EEviT1_.has_dyn_sized_stack, 0
	.set _ZN2at6native32elementwise_kernel_manual_unrollILi128ELi8EZNS0_22gpu_kernel_impl_nocastIZZZNS0_16asin_kernel_cudaERNS_18TensorIteratorBaseEENKUlvE0_clEvENKUlvE1_clEvEUlN3c104HalfEE_EEvS4_RKT_EUlibE_EEviT1_.has_recursion, 0
	.set _ZN2at6native32elementwise_kernel_manual_unrollILi128ELi8EZNS0_22gpu_kernel_impl_nocastIZZZNS0_16asin_kernel_cudaERNS_18TensorIteratorBaseEENKUlvE0_clEvENKUlvE1_clEvEUlN3c104HalfEE_EEvS4_RKT_EUlibE_EEviT1_.has_indirect_call, 0
	.section	.AMDGPU.csdata,"",@progbits
; Kernel info:
; codeLenInByte = 13556
; TotalNumSgprs: 64
; NumVgprs: 28
; ScratchSize: 0
; MemoryBound: 0
; FloatMode: 240
; IeeeMode: 1
; LDSByteSize: 0 bytes/workgroup (compile time only)
; SGPRBlocks: 7
; VGPRBlocks: 6
; NumSGPRsForWavesPerEU: 64
; NumVGPRsForWavesPerEU: 28
; Occupancy: 9
; WaveLimiterHint : 1
; COMPUTE_PGM_RSRC2:SCRATCH_EN: 0
; COMPUTE_PGM_RSRC2:USER_SGPR: 6
; COMPUTE_PGM_RSRC2:TRAP_HANDLER: 0
; COMPUTE_PGM_RSRC2:TGID_X_EN: 1
; COMPUTE_PGM_RSRC2:TGID_Y_EN: 0
; COMPUTE_PGM_RSRC2:TGID_Z_EN: 0
; COMPUTE_PGM_RSRC2:TIDIG_COMP_CNT: 0
	.section	.text._ZN2at6native32elementwise_kernel_manual_unrollILi128ELi4EZNS0_15gpu_kernel_implIZZZNS0_16asin_kernel_cudaERNS_18TensorIteratorBaseEENKUlvE0_clEvENKUlvE1_clEvEUlN3c104HalfEE_EEvS4_RKT_EUlibE_EEviT1_,"axG",@progbits,_ZN2at6native32elementwise_kernel_manual_unrollILi128ELi4EZNS0_15gpu_kernel_implIZZZNS0_16asin_kernel_cudaERNS_18TensorIteratorBaseEENKUlvE0_clEvENKUlvE1_clEvEUlN3c104HalfEE_EEvS4_RKT_EUlibE_EEviT1_,comdat
	.globl	_ZN2at6native32elementwise_kernel_manual_unrollILi128ELi4EZNS0_15gpu_kernel_implIZZZNS0_16asin_kernel_cudaERNS_18TensorIteratorBaseEENKUlvE0_clEvENKUlvE1_clEvEUlN3c104HalfEE_EEvS4_RKT_EUlibE_EEviT1_ ; -- Begin function _ZN2at6native32elementwise_kernel_manual_unrollILi128ELi4EZNS0_15gpu_kernel_implIZZZNS0_16asin_kernel_cudaERNS_18TensorIteratorBaseEENKUlvE0_clEvENKUlvE1_clEvEUlN3c104HalfEE_EEvS4_RKT_EUlibE_EEviT1_
	.p2align	8
	.type	_ZN2at6native32elementwise_kernel_manual_unrollILi128ELi4EZNS0_15gpu_kernel_implIZZZNS0_16asin_kernel_cudaERNS_18TensorIteratorBaseEENKUlvE0_clEvENKUlvE1_clEvEUlN3c104HalfEE_EEvS4_RKT_EUlibE_EEviT1_,@function
_ZN2at6native32elementwise_kernel_manual_unrollILi128ELi4EZNS0_15gpu_kernel_implIZZZNS0_16asin_kernel_cudaERNS_18TensorIteratorBaseEENKUlvE0_clEvENKUlvE1_clEvEUlN3c104HalfEE_EEvS4_RKT_EUlibE_EEviT1_: ; @_ZN2at6native32elementwise_kernel_manual_unrollILi128ELi4EZNS0_15gpu_kernel_implIZZZNS0_16asin_kernel_cudaERNS_18TensorIteratorBaseEENKUlvE0_clEvENKUlvE1_clEvEUlN3c104HalfEE_EEvS4_RKT_EUlibE_EEviT1_
; %bb.0:
	v_mov_b32_e32 v1, 0
	global_load_ushort v1, v1, s[4:5] offset:33
	s_load_dwordx4 s[8:11], s[4:5], 0x8
	s_load_dwordx2 s[2:3], s[4:5], 0x18
	s_load_dword s38, s[4:5], 0x0
	v_lshl_or_b32 v2, s6, 9, v0
	v_or_b32_e32 v0, 0x180, v2
	s_mov_b64 s[12:13], 0
	s_mov_b64 s[6:7], 0
	s_waitcnt lgkmcnt(0)
	v_cmp_le_i32_e32 vcc, s38, v0
	s_waitcnt vmcnt(0)
	v_readfirstlane_b32 s33, v1
	s_and_b32 s0, 0xffff, s33
	s_lshr_b32 s42, s0, 8
	s_and_saveexec_b64 s[0:1], vcc
	s_xor_b64 s[4:5], exec, s[0:1]
	s_cbranch_execz .LBB55_1027
; %bb.1:
	v_cmp_gt_i32_e32 vcc, s38, v2
	s_mov_b64 s[18:19], -1
	s_mov_b64 s[20:21], 0
	s_mov_b64 s[14:15], 0
	s_and_saveexec_b64 s[16:17], vcc
	s_cbranch_execz .LBB55_252
; %bb.2:
	v_mul_lo_u32 v0, v2, s3
	v_mov_b32_e32 v1, s11
	s_and_b32 s22, 0xffff, s42
	s_cmp_lt_i32 s22, 11
	v_ashrrev_i32_e32 v3, 31, v0
	v_add_co_u32_e32 v0, vcc, s10, v0
	v_addc_co_u32_e32 v1, vcc, v1, v3, vcc
	s_cbranch_scc1 .LBB55_9
; %bb.3:
	s_cmp_gt_i32 s22, 25
	s_cbranch_scc0 .LBB55_18
; %bb.4:
	s_cmp_gt_i32 s22, 28
	s_cbranch_scc0 .LBB55_22
	;; [unrolled: 3-line block ×4, first 2 shown]
; %bb.7:
	s_cmp_eq_u32 s22, 46
	s_cbranch_scc0 .LBB55_28
; %bb.8:
	global_load_dword v3, v[0:1], off
	s_mov_b64 s[0:1], -1
	s_waitcnt vmcnt(0)
	v_lshlrev_b32_e32 v3, 16, v3
	v_cvt_f16_f32_e32 v3, v3
	s_branch .LBB55_30
.LBB55_9:
                                        ; implicit-def: $vgpr3
	s_mov_b64 s[0:1], 0
	s_cbranch_execnz .LBB55_203
.LBB55_10:
	s_andn2_b64 vcc, exec, s[0:1]
	s_cbranch_vccnz .LBB55_250
.LBB55_11:
	s_waitcnt vmcnt(0)
	v_cvt_f32_f16_e32 v0, v3
	s_mov_b32 s0, -0.5
	v_mov_b32_e32 v1, 0.5
	v_fma_mix_f32 v1, |v3|, s0, v1 op_sel_hi:[1,0,0]
	v_mul_f32_e32 v4, v0, v0
	v_cmp_ge_f32_e64 vcc, |v0|, 0.5
	v_cndmask_b32_e32 v1, v4, v1, vcc
	v_mov_b32_e32 v4, 0x3c5fc5da
	v_fmac_f32_e32 v4, 0x3d1c21a7, v1
	v_mov_b32_e32 v5, 0x3d034c3c
	v_fmac_f32_e32 v5, v1, v4
	;; [unrolled: 2-line block ×4, first 2 shown]
	v_sqrt_f32_e32 v4, v1
	v_mov_b32_e32 v6, 0x3e2aaaac
	v_fmac_f32_e32 v6, v1, v5
	v_mul_f32_e32 v1, v1, v6
	v_fmac_f32_e32 v4, v4, v1
	v_add_f32_e32 v4, v4, v4
	v_sub_f32_e32 v4, 0x3fc90fdb, v4
	v_fma_mix_f32 v1, |v3|, v1, |v3| op_sel_hi:[1,0,1]
	v_cmp_lt_f32_e64 vcc, |v0|, 0.5
	v_cndmask_b32_e32 v0, v4, v1, vcc
	v_cvt_f16_f32_e32 v0, v0
	v_mul_lo_u32 v1, v2, s2
	s_movk_i32 s0, 0x7fff
	v_mov_b32_e32 v5, s9
	v_bfi_b32 v3, s0, v0, v3
	v_ashrrev_i32_e32 v4, 31, v1
	s_and_b32 s24, s33, 0xff
	v_add_co_u32_e32 v0, vcc, s8, v1
	s_cmp_lt_i32 s24, 11
	v_addc_co_u32_e32 v1, vcc, v5, v4, vcc
	s_cbranch_scc1 .LBB55_19
; %bb.12:
	s_and_b32 s25, 0xffff, s24
	s_cmp_gt_i32 s25, 25
	s_cbranch_scc0 .LBB55_23
; %bb.13:
	s_cmp_gt_i32 s25, 28
	s_cbranch_scc0 .LBB55_25
; %bb.14:
	;; [unrolled: 3-line block ×4, first 2 shown]
	s_mov_b64 s[18:19], 0
	s_mov_b64 s[0:1], -1
	s_cmp_eq_u32 s25, 46
	s_mov_b64 s[6:7], 0
	s_cbranch_scc0 .LBB55_34
; %bb.17:
	v_cvt_f32_f16_e32 v4, v3
	s_movk_i32 s0, 0x7fff
	v_cmp_o_f16_e32 vcc, v3, v3
	v_mov_b32_e32 v5, 0x7fc0
	v_bfe_u32 v6, v4, 16, 1
	v_add3_u32 v4, v4, v6, s0
	v_cndmask_b32_sdwa v4, v5, v4, vcc dst_sel:DWORD dst_unused:UNUSED_PAD src0_sel:DWORD src1_sel:WORD_1
	global_store_dword v[0:1], v4, off
	s_mov_b64 s[6:7], -1
	s_mov_b64 s[0:1], 0
	s_branch .LBB55_34
.LBB55_18:
	s_mov_b64 s[0:1], 0
                                        ; implicit-def: $vgpr3
	s_cbranch_execnz .LBB55_168
	s_branch .LBB55_202
.LBB55_19:
	s_mov_b64 s[0:1], 0
	s_mov_b64 s[6:7], 0
	s_cbranch_execnz .LBB55_103
.LBB55_20:
	s_andn2_b64 vcc, exec, s[6:7]
	s_cbranch_vccnz .LBB55_141
.LBB55_21:
	v_add_u32_e32 v2, 0x80, v2
	s_mov_b64 s[18:19], -1
	s_branch .LBB55_251
.LBB55_22:
	s_mov_b64 s[6:7], -1
	s_mov_b64 s[0:1], 0
                                        ; implicit-def: $vgpr3
	s_branch .LBB55_149
.LBB55_23:
	s_mov_b64 s[18:19], -1
	s_mov_b64 s[0:1], 0
	s_mov_b64 s[6:7], 0
	s_branch .LBB55_61
.LBB55_24:
	s_mov_b64 s[6:7], -1
	s_mov_b64 s[0:1], 0
                                        ; implicit-def: $vgpr3
	s_branch .LBB55_144
.LBB55_25:
	s_mov_b64 s[18:19], -1
	s_mov_b64 s[0:1], 0
	s_mov_b64 s[6:7], 0
	s_branch .LBB55_44
.LBB55_26:
	s_mov_b64 s[6:7], -1
	s_branch .LBB55_29
.LBB55_27:
	s_mov_b64 s[18:19], -1
	s_mov_b64 s[0:1], 0
	s_mov_b64 s[6:7], 0
	s_branch .LBB55_40
.LBB55_28:
	s_mov_b64 s[14:15], -1
.LBB55_29:
	s_mov_b64 s[0:1], 0
                                        ; implicit-def: $vgpr3
.LBB55_30:
	s_and_b64 vcc, exec, s[6:7]
	s_cbranch_vccz .LBB55_143
; %bb.31:
	s_cmp_eq_u32 s22, 44
	s_cbranch_scc0 .LBB55_142
; %bb.32:
	global_load_ubyte v3, v[0:1], off
	s_movk_i32 s6, 0xff
	v_mov_b32_e32 v5, 0x7e00
	s_mov_b64 s[0:1], -1
	s_mov_b64 s[14:15], 0
	s_waitcnt vmcnt(0)
	v_lshlrev_b32_e32 v4, 23, v3
	v_cvt_f16_f32_e32 v4, v4
	v_cmp_ne_u32_e32 vcc, s6, v3
	v_cndmask_b32_e32 v4, v5, v4, vcc
	v_cmp_ne_u32_e32 vcc, 0, v3
	v_cndmask_b32_e32 v3, 0, v4, vcc
	s_branch .LBB55_143
.LBB55_33:
	s_mov_b64 s[18:19], -1
	s_mov_b64 s[0:1], 0
	s_mov_b64 s[6:7], 0
.LBB55_34:
	s_and_b64 vcc, exec, s[18:19]
	s_cbranch_vccz .LBB55_39
; %bb.35:
	s_cmp_eq_u32 s25, 44
	s_mov_b64 s[0:1], -1
	s_cbranch_scc0 .LBB55_39
; %bb.36:
	v_cvt_f32_f16_e32 v4, v3
	s_movk_i32 s0, 0xff
	v_mov_b32_e32 v6, 0xff
	v_bfe_u32 v5, v4, 23, 8
	v_cmp_ne_u32_e32 vcc, s0, v5
	s_and_saveexec_b64 s[6:7], vcc
; %bb.37:
	s_mov_b32 s0, 0x3fffff
	v_lshrrev_b32_e32 v6, 23, v4
	v_and_b32_e32 v7, 0x400000, v4
	v_and_or_b32 v4, v4, s0, v5
	v_cmp_ne_u32_e32 vcc, 0, v7
	v_cmp_ne_u32_e64 s[0:1], 0, v4
	s_and_b64 s[0:1], vcc, s[0:1]
	v_cndmask_b32_e64 v4, 0, 1, s[0:1]
	v_add_u32_e32 v6, v6, v4
; %bb.38:
	s_or_b64 exec, exec, s[6:7]
	s_mov_b64 s[6:7], -1
	s_mov_b64 s[0:1], 0
	global_store_byte v[0:1], v6, off
.LBB55_39:
	s_mov_b64 s[18:19], 0
.LBB55_40:
	s_and_b64 vcc, exec, s[18:19]
	s_cbranch_vccz .LBB55_43
; %bb.41:
	s_cmp_eq_u32 s25, 29
	s_mov_b64 s[0:1], -1
	s_cbranch_scc0 .LBB55_43
; %bb.42:
	v_cvt_f32_f16_e32 v4, v3
	v_mov_b32_e32 v5, 0
	s_mov_b64 s[6:7], -1
	s_mov_b64 s[0:1], 0
	v_cvt_u32_f32_e32 v4, v4
	s_mov_b64 s[18:19], 0
	global_store_dwordx2 v[0:1], v[4:5], off
	s_branch .LBB55_44
.LBB55_43:
	s_mov_b64 s[18:19], 0
.LBB55_44:
	s_and_b64 vcc, exec, s[18:19]
	s_cbranch_vccz .LBB55_60
; %bb.45:
	s_cmp_lt_i32 s25, 27
	s_mov_b64 s[6:7], -1
	s_cbranch_scc1 .LBB55_51
; %bb.46:
	s_cmp_gt_i32 s25, 27
	s_cbranch_scc0 .LBB55_48
; %bb.47:
	v_cvt_f32_f16_e32 v4, v3
	s_mov_b64 s[6:7], 0
	v_cvt_u32_f32_e32 v4, v4
	global_store_dword v[0:1], v4, off
.LBB55_48:
	s_andn2_b64 vcc, exec, s[6:7]
	s_cbranch_vccnz .LBB55_50
; %bb.49:
	v_cvt_u16_f16_e32 v4, v3
	global_store_short v[0:1], v4, off
.LBB55_50:
	s_mov_b64 s[6:7], 0
.LBB55_51:
	s_andn2_b64 vcc, exec, s[6:7]
	s_cbranch_vccnz .LBB55_59
; %bb.52:
	v_cvt_f32_f16_e32 v4, v3
	s_mov_b32 s6, 0x43800000
	v_mov_b32_e32 v6, 0x80
	v_and_b32_e32 v5, 0x7fffffff, v4
	v_cmp_gt_u32_e32 vcc, s6, v5
	s_and_saveexec_b64 s[6:7], vcc
	s_cbranch_execz .LBB55_58
; %bb.53:
	s_mov_b32 s18, 0x3bffffff
	v_cmp_lt_u32_e32 vcc, s18, v5
	s_mov_b64 s[18:19], 0
                                        ; implicit-def: $vgpr5
	s_and_saveexec_b64 s[22:23], vcc
	s_xor_b64 s[22:23], exec, s[22:23]
	s_cbranch_execz .LBB55_279
; %bb.54:
	v_bfe_u32 v5, v4, 20, 1
	s_mov_b32 s26, 0x487ffff
	v_add3_u32 v5, v4, v5, s26
	s_mov_b64 s[18:19], exec
	v_lshrrev_b32_e32 v5, 20, v5
	s_andn2_saveexec_b64 s[22:23], s[22:23]
	s_cbranch_execnz .LBB55_280
.LBB55_55:
	s_or_b64 exec, exec, s[22:23]
	v_mov_b32_e32 v6, 0
	s_and_saveexec_b64 s[22:23], s[18:19]
.LBB55_56:
	v_lshrrev_b32_e32 v4, 24, v4
	s_movk_i32 s18, 0x80
	v_and_or_b32 v6, v4, s18, v5
.LBB55_57:
	s_or_b64 exec, exec, s[22:23]
.LBB55_58:
	s_or_b64 exec, exec, s[6:7]
	global_store_byte v[0:1], v6, off
.LBB55_59:
	s_mov_b64 s[6:7], -1
.LBB55_60:
	s_mov_b64 s[18:19], 0
.LBB55_61:
	s_and_b64 vcc, exec, s[18:19]
	s_cbranch_vccz .LBB55_102
; %bb.62:
	s_cmp_gt_i32 s25, 22
	s_mov_b64 s[18:19], -1
	s_cbranch_scc0 .LBB55_94
; %bb.63:
	s_cmp_lt_i32 s25, 24
	s_mov_b64 s[6:7], -1
	s_cbranch_scc1 .LBB55_83
; %bb.64:
	s_cmp_gt_i32 s25, 24
	s_cbranch_scc0 .LBB55_72
; %bb.65:
	v_cvt_f32_f16_e32 v4, v3
	s_mov_b32 s6, 0x47800000
	v_mov_b32_e32 v6, 0x80
	v_and_b32_e32 v5, 0x7fffffff, v4
	v_cmp_gt_u32_e32 vcc, s6, v5
	s_and_saveexec_b64 s[6:7], vcc
	s_cbranch_execz .LBB55_71
; %bb.66:
	s_mov_b32 s18, 0x37ffffff
	v_cmp_lt_u32_e32 vcc, s18, v5
	s_mov_b64 s[18:19], 0
                                        ; implicit-def: $vgpr5
	s_and_saveexec_b64 s[22:23], vcc
	s_xor_b64 s[22:23], exec, s[22:23]
	s_cbranch_execz .LBB55_283
; %bb.67:
	v_bfe_u32 v5, v4, 21, 1
	s_mov_b32 s26, 0x88fffff
	v_add3_u32 v5, v4, v5, s26
	s_mov_b64 s[18:19], exec
	v_lshrrev_b32_e32 v5, 21, v5
	s_andn2_saveexec_b64 s[22:23], s[22:23]
	s_cbranch_execnz .LBB55_284
.LBB55_68:
	s_or_b64 exec, exec, s[22:23]
	v_mov_b32_e32 v6, 0
	s_and_saveexec_b64 s[22:23], s[18:19]
.LBB55_69:
	v_lshrrev_b32_e32 v4, 24, v4
	s_movk_i32 s18, 0x80
	v_and_or_b32 v6, v4, s18, v5
.LBB55_70:
	s_or_b64 exec, exec, s[22:23]
.LBB55_71:
	s_or_b64 exec, exec, s[6:7]
	s_mov_b64 s[6:7], 0
	global_store_byte v[0:1], v6, off
.LBB55_72:
	s_and_b64 vcc, exec, s[6:7]
	s_cbranch_vccz .LBB55_82
; %bb.73:
	v_cvt_f32_f16_e32 v4, v3
	s_mov_b32 s6, 0x43f00000
                                        ; implicit-def: $vgpr5
	v_and_b32_e32 v6, 0x7fffffff, v4
	v_cmp_gt_u32_e32 vcc, s6, v6
	s_and_saveexec_b64 s[6:7], vcc
	s_xor_b64 s[6:7], exec, s[6:7]
	s_cbranch_execz .LBB55_79
; %bb.74:
	s_mov_b32 s18, 0x3c7fffff
	v_cmp_lt_u32_e32 vcc, s18, v6
                                        ; implicit-def: $vgpr5
	s_and_saveexec_b64 s[18:19], vcc
	s_xor_b64 s[18:19], exec, s[18:19]
; %bb.75:
	v_bfe_u32 v5, v4, 20, 1
	s_mov_b32 s22, 0x407ffff
	v_add3_u32 v5, v4, v5, s22
	v_lshrrev_b32_e32 v6, 20, v5
	v_and_b32_e32 v5, 0xff00000, v5
	s_mov_b32 s22, 0x7f00000
	v_mov_b32_e32 v7, 0x7e
	v_cmp_ne_u32_e32 vcc, s22, v5
	v_cndmask_b32_e32 v5, v7, v6, vcc
; %bb.76:
	s_andn2_saveexec_b64 s[18:19], s[18:19]
; %bb.77:
	s_mov_b32 s22, 0x46800000
	v_add_f32_e64 v5, |v4|, s22
; %bb.78:
	s_or_b64 exec, exec, s[18:19]
                                        ; implicit-def: $vgpr6
.LBB55_79:
	s_andn2_saveexec_b64 s[6:7], s[6:7]
; %bb.80:
	s_mov_b32 s18, 0x7f800000
	v_mov_b32_e32 v5, 0x7e
	v_mov_b32_e32 v7, 0x7f
	v_cmp_lt_u32_e32 vcc, s18, v6
	v_cndmask_b32_e32 v5, v5, v7, vcc
; %bb.81:
	s_or_b64 exec, exec, s[6:7]
	v_lshrrev_b32_e32 v4, 24, v4
	s_movk_i32 s6, 0x80
	v_and_or_b32 v4, v4, s6, v5
	global_store_byte v[0:1], v4, off
.LBB55_82:
	s_mov_b64 s[6:7], 0
.LBB55_83:
	s_andn2_b64 vcc, exec, s[6:7]
	s_cbranch_vccnz .LBB55_93
; %bb.84:
	v_cvt_f32_f16_e32 v4, v3
	s_mov_b32 s6, 0x47800000
                                        ; implicit-def: $vgpr5
	v_and_b32_e32 v6, 0x7fffffff, v4
	v_cmp_gt_u32_e32 vcc, s6, v6
	s_and_saveexec_b64 s[6:7], vcc
	s_xor_b64 s[6:7], exec, s[6:7]
	s_cbranch_execz .LBB55_90
; %bb.85:
	s_mov_b32 s18, 0x387fffff
	v_cmp_lt_u32_e32 vcc, s18, v6
                                        ; implicit-def: $vgpr5
	s_and_saveexec_b64 s[18:19], vcc
	s_xor_b64 s[18:19], exec, s[18:19]
; %bb.86:
	v_bfe_u32 v5, v4, 21, 1
	s_mov_b32 s22, 0x80fffff
	v_add3_u32 v5, v4, v5, s22
	v_lshrrev_b32_e32 v5, 21, v5
; %bb.87:
	s_andn2_saveexec_b64 s[18:19], s[18:19]
; %bb.88:
	s_mov_b32 s22, 0x43000000
	v_add_f32_e64 v5, |v4|, s22
; %bb.89:
	s_or_b64 exec, exec, s[18:19]
                                        ; implicit-def: $vgpr6
.LBB55_90:
	s_andn2_saveexec_b64 s[6:7], s[6:7]
; %bb.91:
	s_mov_b32 s18, 0x7f800000
	v_mov_b32_e32 v5, 0x7c
	v_mov_b32_e32 v7, 0x7f
	v_cmp_lt_u32_e32 vcc, s18, v6
	v_cndmask_b32_e32 v5, v5, v7, vcc
; %bb.92:
	s_or_b64 exec, exec, s[6:7]
	v_lshrrev_b32_e32 v4, 24, v4
	s_movk_i32 s6, 0x80
	v_and_or_b32 v4, v4, s6, v5
	global_store_byte v[0:1], v4, off
.LBB55_93:
	s_mov_b64 s[18:19], 0
	s_mov_b64 s[6:7], -1
.LBB55_94:
	s_andn2_b64 vcc, exec, s[18:19]
	s_cbranch_vccnz .LBB55_102
; %bb.95:
	s_cmp_gt_i32 s25, 14
	s_mov_b64 s[18:19], -1
	s_cbranch_scc0 .LBB55_99
; %bb.96:
	s_cmp_eq_u32 s25, 15
	s_mov_b64 s[0:1], -1
	s_cbranch_scc0 .LBB55_98
; %bb.97:
	v_cvt_f32_f16_e32 v4, v3
	s_movk_i32 s0, 0x7fff
	v_cmp_o_f16_e32 vcc, v3, v3
	v_mov_b32_e32 v5, 0x7fc0
	v_bfe_u32 v6, v4, 16, 1
	v_add3_u32 v4, v4, v6, s0
	v_cndmask_b32_sdwa v4, v5, v4, vcc dst_sel:DWORD dst_unused:UNUSED_PAD src0_sel:DWORD src1_sel:WORD_1
	global_store_short v[0:1], v4, off
	s_mov_b64 s[6:7], -1
	s_mov_b64 s[0:1], 0
.LBB55_98:
	s_mov_b64 s[18:19], 0
.LBB55_99:
	s_and_b64 vcc, exec, s[18:19]
	s_cbranch_vccz .LBB55_102
; %bb.100:
	s_cmp_eq_u32 s25, 11
	s_mov_b64 s[0:1], -1
	s_cbranch_scc0 .LBB55_102
; %bb.101:
	v_cmp_neq_f16_e32 vcc, 0, v3
	v_cndmask_b32_e64 v4, 0, 1, vcc
	s_mov_b64 s[6:7], -1
	s_mov_b64 s[0:1], 0
	global_store_byte v[0:1], v4, off
.LBB55_102:
	s_branch .LBB55_20
.LBB55_103:
	s_and_b32 s18, 0xffff, s24
	s_cmp_lt_i32 s18, 5
	s_mov_b64 s[6:7], -1
	s_cbranch_scc1 .LBB55_124
; %bb.104:
	s_cmp_lt_i32 s18, 8
	s_cbranch_scc1 .LBB55_114
; %bb.105:
	s_cmp_lt_i32 s18, 9
	s_cbranch_scc1 .LBB55_111
; %bb.106:
	s_cmp_gt_i32 s18, 9
	s_cbranch_scc0 .LBB55_108
; %bb.107:
	v_cvt_f32_f16_e32 v4, v3
	v_mov_b32_e32 v6, 0
	v_mov_b32_e32 v7, v6
	s_mov_b64 s[6:7], 0
	v_cvt_f64_f32_e32 v[4:5], v4
	global_store_dwordx4 v[0:1], v[4:7], off
.LBB55_108:
	s_andn2_b64 vcc, exec, s[6:7]
	s_cbranch_vccnz .LBB55_110
; %bb.109:
	v_cvt_f32_f16_e32 v4, v3
	v_mov_b32_e32 v5, 0
	global_store_dwordx2 v[0:1], v[4:5], off
.LBB55_110:
	s_mov_b64 s[6:7], 0
.LBB55_111:
	s_andn2_b64 vcc, exec, s[6:7]
	s_cbranch_vccnz .LBB55_113
; %bb.112:
	v_and_b32_e32 v4, 0xffff, v3
	global_store_dword v[0:1], v4, off
.LBB55_113:
	s_mov_b64 s[6:7], 0
.LBB55_114:
	s_andn2_b64 vcc, exec, s[6:7]
	s_cbranch_vccnz .LBB55_123
; %bb.115:
	s_cmp_lt_i32 s18, 6
	s_mov_b64 s[6:7], -1
	s_cbranch_scc1 .LBB55_121
; %bb.116:
	s_cmp_gt_i32 s18, 6
	s_cbranch_scc0 .LBB55_118
; %bb.117:
	v_cvt_f32_f16_e32 v4, v3
	s_mov_b64 s[6:7], 0
	v_cvt_f64_f32_e32 v[4:5], v4
	global_store_dwordx2 v[0:1], v[4:5], off
.LBB55_118:
	s_andn2_b64 vcc, exec, s[6:7]
	s_cbranch_vccnz .LBB55_120
; %bb.119:
	v_cvt_f32_f16_e32 v4, v3
	global_store_dword v[0:1], v4, off
.LBB55_120:
	s_mov_b64 s[6:7], 0
.LBB55_121:
	s_andn2_b64 vcc, exec, s[6:7]
	s_cbranch_vccnz .LBB55_123
; %bb.122:
	global_store_short v[0:1], v3, off
.LBB55_123:
	s_mov_b64 s[6:7], 0
.LBB55_124:
	s_andn2_b64 vcc, exec, s[6:7]
	s_cbranch_vccnz .LBB55_140
; %bb.125:
	s_cmp_lt_i32 s18, 2
	s_mov_b64 s[6:7], -1
	s_cbranch_scc1 .LBB55_135
; %bb.126:
	s_cmp_lt_i32 s18, 3
	s_cbranch_scc1 .LBB55_132
; %bb.127:
	s_cmp_gt_i32 s18, 3
	s_cbranch_scc0 .LBB55_129
; %bb.128:
	v_cvt_f32_f16_e32 v4, v3
	s_mov_b64 s[6:7], 0
	v_cvt_i32_f32_e32 v4, v4
	v_ashrrev_i32_e32 v5, 31, v4
	global_store_dwordx2 v[0:1], v[4:5], off
.LBB55_129:
	s_andn2_b64 vcc, exec, s[6:7]
	s_cbranch_vccnz .LBB55_131
; %bb.130:
	v_cvt_f32_f16_e32 v4, v3
	v_cvt_i32_f32_e32 v4, v4
	global_store_dword v[0:1], v4, off
.LBB55_131:
	s_mov_b64 s[6:7], 0
.LBB55_132:
	s_andn2_b64 vcc, exec, s[6:7]
	s_cbranch_vccnz .LBB55_134
; %bb.133:
	v_cvt_i16_f16_e32 v4, v3
	global_store_short v[0:1], v4, off
.LBB55_134:
	s_mov_b64 s[6:7], 0
.LBB55_135:
	s_andn2_b64 vcc, exec, s[6:7]
	s_cbranch_vccnz .LBB55_140
; %bb.136:
	s_cmp_gt_i32 s18, 0
	s_mov_b64 s[6:7], -1
	s_cbranch_scc0 .LBB55_138
; %bb.137:
	v_cvt_i16_f16_e32 v4, v3
	global_store_byte v[0:1], v4, off
	s_mov_b64 s[6:7], 0
.LBB55_138:
	s_andn2_b64 vcc, exec, s[6:7]
	s_cbranch_vccnz .LBB55_140
; %bb.139:
	v_cvt_f32_f16_e32 v3, v3
	v_cvt_i32_f32_e32 v3, v3
	global_store_byte v[0:1], v3, off
.LBB55_140:
	s_branch .LBB55_21
.LBB55_141:
	s_mov_b64 s[18:19], 0
                                        ; implicit-def: $vgpr2
	s_branch .LBB55_251
.LBB55_142:
	s_mov_b64 s[14:15], -1
                                        ; implicit-def: $vgpr3
.LBB55_143:
	s_mov_b64 s[6:7], 0
.LBB55_144:
	s_and_b64 vcc, exec, s[6:7]
	s_cbranch_vccz .LBB55_148
; %bb.145:
	s_cmp_eq_u32 s22, 29
	s_cbranch_scc0 .LBB55_147
; %bb.146:
	global_load_dwordx2 v[3:4], v[0:1], off
	s_mov_b64 s[0:1], -1
	s_mov_b64 s[14:15], 0
	s_mov_b64 s[6:7], 0
	s_waitcnt vmcnt(0)
	v_ffbh_u32_e32 v5, v4
	v_min_u32_e32 v5, 32, v5
	v_lshlrev_b64 v[3:4], v5, v[3:4]
	v_min_u32_e32 v3, 1, v3
	v_or_b32_e32 v3, v4, v3
	v_cvt_f32_u32_e32 v3, v3
	v_sub_u32_e32 v4, 32, v5
	v_ldexp_f32 v3, v3, v4
	v_cvt_f16_f32_e32 v3, v3
	s_branch .LBB55_149
.LBB55_147:
	s_mov_b64 s[14:15], -1
                                        ; implicit-def: $vgpr3
.LBB55_148:
	s_mov_b64 s[6:7], 0
.LBB55_149:
	s_and_b64 vcc, exec, s[6:7]
	s_cbranch_vccz .LBB55_167
; %bb.150:
	s_cmp_lt_i32 s22, 27
	s_cbranch_scc1 .LBB55_153
; %bb.151:
	s_cmp_gt_i32 s22, 27
	s_cbranch_scc0 .LBB55_154
; %bb.152:
	global_load_dword v3, v[0:1], off
	s_mov_b64 s[0:1], 0
	s_waitcnt vmcnt(0)
	v_cvt_f32_u32_e32 v3, v3
	v_cvt_f16_f32_e32 v3, v3
	s_branch .LBB55_155
.LBB55_153:
	s_mov_b64 s[0:1], -1
                                        ; implicit-def: $vgpr3
	s_branch .LBB55_158
.LBB55_154:
	s_mov_b64 s[0:1], -1
                                        ; implicit-def: $vgpr3
.LBB55_155:
	s_andn2_b64 vcc, exec, s[0:1]
	s_cbranch_vccnz .LBB55_157
; %bb.156:
	global_load_ushort v3, v[0:1], off
	s_waitcnt vmcnt(0)
	v_cvt_f16_u16_e32 v3, v3
.LBB55_157:
	s_mov_b64 s[0:1], 0
.LBB55_158:
	s_andn2_b64 vcc, exec, s[0:1]
	s_cbranch_vccnz .LBB55_166
; %bb.159:
	global_load_ubyte v4, v[0:1], off
	s_movk_i32 s0, 0x7f
	s_waitcnt vmcnt(0)
	v_cmp_lt_i16_e32 vcc, s0, v4
	s_mov_b64 s[0:1], 0
	s_and_saveexec_b64 s[6:7], vcc
	s_xor_b64 s[6:7], exec, s[6:7]
	s_cbranch_execz .LBB55_179
; %bb.160:
	s_movk_i32 s0, 0x80
	v_cmp_eq_u16_e32 vcc, s0, v4
	s_mov_b64 s[0:1], -1
	s_and_saveexec_b64 s[18:19], vcc
; %bb.161:
	s_xor_b64 s[0:1], exec, -1
; %bb.162:
	s_or_b64 exec, exec, s[18:19]
	s_and_b64 s[0:1], s[0:1], exec
	s_or_saveexec_b64 s[6:7], s[6:7]
	v_mov_b32_e32 v3, 0x7e00
	s_xor_b64 exec, exec, s[6:7]
	s_cbranch_execnz .LBB55_180
.LBB55_163:
	s_or_b64 exec, exec, s[6:7]
	s_and_saveexec_b64 s[6:7], s[0:1]
	s_cbranch_execz .LBB55_165
.LBB55_164:
	v_lshlrev_b32_e32 v3, 24, v4
	v_and_b32_e32 v4, 0xffff, v4
	v_and_b32_e32 v5, 7, v4
	v_ffbh_u32_e32 v7, v5
	v_min_u32_e32 v7, 32, v7
	v_subrev_u32_e32 v8, 28, v7
	v_bfe_u32 v6, v4, 3, 4
	v_lshlrev_b32_e32 v4, v8, v4
	v_sub_u32_e32 v7, 29, v7
	v_and_b32_e32 v4, 7, v4
	v_cmp_eq_u32_e32 vcc, 0, v6
	v_cndmask_b32_e32 v6, v6, v7, vcc
	v_cndmask_b32_e32 v4, v5, v4, vcc
	v_mov_b32_e32 v5, 0x3b800000
	v_lshlrev_b32_e32 v4, 20, v4
	v_and_b32_e32 v3, 0x80000000, v3
	v_lshl_add_u32 v5, v6, 23, v5
	v_or3_b32 v3, v3, v5, v4
	v_cvt_f16_f32_e32 v3, v3
.LBB55_165:
	s_or_b64 exec, exec, s[6:7]
.LBB55_166:
	s_mov_b64 s[0:1], -1
.LBB55_167:
	s_branch .LBB55_202
.LBB55_168:
	s_cmp_gt_i32 s22, 22
	s_cbranch_scc0 .LBB55_178
; %bb.169:
	s_cmp_lt_i32 s22, 24
	s_cbranch_scc1 .LBB55_181
; %bb.170:
	s_cmp_gt_i32 s22, 24
	s_cbranch_scc0 .LBB55_182
; %bb.171:
	global_load_ubyte v4, v[0:1], off
	s_movk_i32 s0, 0x7f
	s_waitcnt vmcnt(0)
	v_cmp_lt_i16_e32 vcc, s0, v4
	s_mov_b64 s[0:1], 0
	s_and_saveexec_b64 s[6:7], vcc
	s_xor_b64 s[6:7], exec, s[6:7]
	s_cbranch_execz .LBB55_194
; %bb.172:
	s_movk_i32 s0, 0x80
	v_cmp_eq_u16_e32 vcc, s0, v4
	s_mov_b64 s[0:1], -1
	s_and_saveexec_b64 s[18:19], vcc
; %bb.173:
	s_xor_b64 s[0:1], exec, -1
; %bb.174:
	s_or_b64 exec, exec, s[18:19]
	s_and_b64 s[0:1], s[0:1], exec
	s_or_saveexec_b64 s[6:7], s[6:7]
	v_mov_b32_e32 v3, 0x7e00
	s_xor_b64 exec, exec, s[6:7]
	s_cbranch_execnz .LBB55_195
.LBB55_175:
	s_or_b64 exec, exec, s[6:7]
	s_and_saveexec_b64 s[6:7], s[0:1]
	s_cbranch_execz .LBB55_177
.LBB55_176:
	v_lshlrev_b32_e32 v3, 24, v4
	v_and_b32_e32 v4, 0xffff, v4
	v_and_b32_e32 v5, 3, v4
	v_ffbh_u32_e32 v7, v5
	v_min_u32_e32 v7, 32, v7
	v_subrev_u32_e32 v8, 29, v7
	v_bfe_u32 v6, v4, 2, 5
	v_lshlrev_b32_e32 v4, v8, v4
	v_sub_u32_e32 v7, 30, v7
	v_and_b32_e32 v4, 3, v4
	v_cmp_eq_u32_e32 vcc, 0, v6
	v_cndmask_b32_e32 v6, v6, v7, vcc
	v_cndmask_b32_e32 v4, v5, v4, vcc
	v_mov_b32_e32 v5, 0x37800000
	v_lshlrev_b32_e32 v4, 21, v4
	v_and_b32_e32 v3, 0x80000000, v3
	v_lshl_add_u32 v5, v6, 23, v5
	v_or3_b32 v3, v3, v5, v4
	v_cvt_f16_f32_e32 v3, v3
.LBB55_177:
	s_or_b64 exec, exec, s[6:7]
	s_mov_b64 s[0:1], 0
	s_branch .LBB55_183
.LBB55_178:
	s_mov_b64 s[6:7], -1
                                        ; implicit-def: $vgpr3
	s_branch .LBB55_189
.LBB55_179:
	s_or_saveexec_b64 s[6:7], s[6:7]
	v_mov_b32_e32 v3, 0x7e00
	s_xor_b64 exec, exec, s[6:7]
	s_cbranch_execz .LBB55_163
.LBB55_180:
	v_cmp_ne_u16_e32 vcc, 0, v4
	s_andn2_b64 s[0:1], s[0:1], exec
	s_and_b64 s[18:19], vcc, exec
	s_or_b64 s[0:1], s[0:1], s[18:19]
	v_mov_b32_e32 v3, v4
	s_or_b64 exec, exec, s[6:7]
	s_and_saveexec_b64 s[6:7], s[0:1]
	s_cbranch_execnz .LBB55_164
	s_branch .LBB55_165
.LBB55_181:
	s_mov_b64 s[0:1], -1
                                        ; implicit-def: $vgpr3
	s_branch .LBB55_186
.LBB55_182:
	s_mov_b64 s[0:1], -1
                                        ; implicit-def: $vgpr3
.LBB55_183:
	s_and_b64 vcc, exec, s[0:1]
	s_cbranch_vccz .LBB55_185
; %bb.184:
	global_load_ubyte v3, v[0:1], off
	s_mov_b32 s0, 0x7f800000
	s_waitcnt vmcnt(0)
	v_lshlrev_b32_e32 v3, 24, v3
	v_and_b32_e32 v4, 0x7f000000, v3
	v_ffbh_u32_e32 v5, v4
	v_min_u32_e32 v5, 32, v5
	v_sub_u32_e64 v5, v5, 4 clamp
	v_lshlrev_b32_e32 v7, v5, v4
	v_lshlrev_b32_e32 v5, 23, v5
	v_lshrrev_b32_e32 v7, 4, v7
	v_add_u32_e32 v6, 0x1000000, v4
	v_sub_u32_e32 v5, v7, v5
	v_ashrrev_i32_e32 v6, 8, v6
	v_add_u32_e32 v5, 0x3c000000, v5
	v_and_or_b32 v5, v6, s0, v5
	v_cmp_ne_u32_e32 vcc, 0, v4
	v_cndmask_b32_e32 v4, 0, v5, vcc
	s_brev_b32 s0, 1
	v_and_or_b32 v3, v3, s0, v4
	v_cvt_f16_f32_e32 v3, v3
.LBB55_185:
	s_mov_b64 s[0:1], 0
.LBB55_186:
	s_andn2_b64 vcc, exec, s[0:1]
	s_cbranch_vccnz .LBB55_188
; %bb.187:
	global_load_ubyte v3, v[0:1], off
	s_movk_i32 s0, 0x7f00
	s_brev_b32 s1, 16
	s_waitcnt vmcnt(0)
	v_lshlrev_b16_e32 v4, 8, v3
	v_lshlrev_b32_e32 v3, 25, v3
	v_lshrrev_b32_e32 v5, 4, v3
	v_and_or_b32 v6, v4, s0, 0.5
	v_or_b32_e32 v5, 0x70000000, v5
	v_add_f32_e32 v6, -0.5, v6
	v_mul_f32_e32 v5, 0x7800000, v5
	v_cmp_gt_u32_e32 vcc, s1, v3
	v_bfe_i32 v4, v4, 0, 16
	v_cndmask_b32_e32 v3, v5, v6, vcc
	s_brev_b32 s0, 1
	v_and_or_b32 v3, v4, s0, v3
	v_cvt_f16_f32_e32 v3, v3
.LBB55_188:
	s_mov_b64 s[6:7], 0
	s_mov_b64 s[0:1], -1
.LBB55_189:
	s_andn2_b64 vcc, exec, s[6:7]
	s_cbranch_vccnz .LBB55_202
; %bb.190:
	s_cmp_gt_i32 s22, 14
	s_cbranch_scc0 .LBB55_193
; %bb.191:
	s_cmp_eq_u32 s22, 15
	s_cbranch_scc0 .LBB55_196
; %bb.192:
	global_load_ushort v3, v[0:1], off
	s_mov_b64 s[0:1], -1
	s_mov_b64 s[14:15], 0
	s_waitcnt vmcnt(0)
	v_lshlrev_b32_e32 v3, 16, v3
	v_cvt_f16_f32_e32 v3, v3
	s_branch .LBB55_197
.LBB55_193:
	s_mov_b64 s[6:7], -1
                                        ; implicit-def: $vgpr3
	s_branch .LBB55_198
.LBB55_194:
	s_or_saveexec_b64 s[6:7], s[6:7]
	v_mov_b32_e32 v3, 0x7e00
	s_xor_b64 exec, exec, s[6:7]
	s_cbranch_execz .LBB55_175
.LBB55_195:
	v_cmp_ne_u16_e32 vcc, 0, v4
	s_andn2_b64 s[0:1], s[0:1], exec
	s_and_b64 s[18:19], vcc, exec
	s_or_b64 s[0:1], s[0:1], s[18:19]
	v_mov_b32_e32 v3, v4
	s_or_b64 exec, exec, s[6:7]
	s_and_saveexec_b64 s[6:7], s[0:1]
	s_cbranch_execnz .LBB55_176
	s_branch .LBB55_177
.LBB55_196:
	s_mov_b64 s[14:15], -1
                                        ; implicit-def: $vgpr3
.LBB55_197:
	s_mov_b64 s[6:7], 0
.LBB55_198:
	s_and_b64 vcc, exec, s[6:7]
	s_cbranch_vccz .LBB55_202
; %bb.199:
	s_cmp_eq_u32 s22, 11
	s_cbranch_scc0 .LBB55_201
; %bb.200:
	global_load_ubyte v3, v[0:1], off
	v_mov_b32_e32 v4, 0x3c00
	s_mov_b64 s[0:1], -1
	s_mov_b64 s[14:15], 0
	s_waitcnt vmcnt(0)
	v_cmp_ne_u16_e32 vcc, 0, v3
	v_cndmask_b32_e32 v3, 0, v4, vcc
	s_branch .LBB55_202
.LBB55_201:
	s_mov_b64 s[14:15], -1
                                        ; implicit-def: $vgpr3
.LBB55_202:
	s_branch .LBB55_10
.LBB55_203:
	s_cmp_lt_i32 s22, 5
	s_cbranch_scc1 .LBB55_208
; %bb.204:
	s_cmp_lt_i32 s22, 8
	s_cbranch_scc1 .LBB55_209
; %bb.205:
	;; [unrolled: 3-line block ×3, first 2 shown]
	s_cmp_gt_i32 s22, 9
	s_cbranch_scc0 .LBB55_211
; %bb.207:
	global_load_dwordx2 v[3:4], v[0:1], off
	s_movk_i32 s0, 0x1ff
	s_movk_i32 s1, 0xffe
	v_mov_b32_e32 v5, 0x7c00
	v_mov_b32_e32 v6, 0x7e00
	s_movk_i32 s6, 0x40f
	s_mov_b32 s7, 0x8000
	s_waitcnt vmcnt(0)
	v_and_or_b32 v3, v4, s0, v3
	v_cmp_ne_u32_e32 vcc, 0, v3
	v_lshrrev_b32_e32 v7, 8, v4
	v_bfe_u32 v8, v4, 20, 11
	v_cndmask_b32_e64 v3, 0, 1, vcc
	v_sub_u32_e32 v9, 0x3f1, v8
	v_and_or_b32 v3, v7, s1, v3
	v_add_u32_e32 v8, 0xfffffc10, v8
	v_med3_i32 v7, v9, 0, 13
	v_or_b32_e32 v9, 0x1000, v3
	v_cmp_ne_u32_e32 vcc, 0, v3
	v_lshl_or_b32 v10, v8, 12, v3
	v_cndmask_b32_e32 v3, v5, v6, vcc
	v_lshrrev_b32_e32 v6, v7, v9
	v_lshlrev_b32_e32 v7, v7, v6
	v_cmp_ne_u32_e32 vcc, v7, v9
	v_cndmask_b32_e64 v7, 0, 1, vcc
	v_or_b32_e32 v6, v6, v7
	v_cmp_gt_i32_e32 vcc, 1, v8
	v_cndmask_b32_e32 v6, v10, v6, vcc
	v_and_b32_e32 v7, 7, v6
	v_cmp_lt_i32_e32 vcc, 5, v7
	v_cndmask_b32_e64 v9, 0, 1, vcc
	v_cmp_eq_u32_e32 vcc, 3, v7
	v_cndmask_b32_e64 v7, 0, 1, vcc
	v_lshrrev_b32_e32 v6, 2, v6
	v_or_b32_e32 v7, v7, v9
	v_add_u32_e32 v6, v6, v7
	v_cmp_gt_i32_e32 vcc, 31, v8
	v_cndmask_b32_e32 v5, v5, v6, vcc
	v_cmp_eq_u32_e32 vcc, s6, v8
	v_lshrrev_b32_e32 v4, 16, v4
	v_cndmask_b32_e32 v3, v5, v3, vcc
	v_and_or_b32 v3, v4, s7, v3
	s_mov_b64 s[0:1], 0
	s_branch .LBB55_212
.LBB55_208:
                                        ; implicit-def: $vgpr3
	s_branch .LBB55_230
.LBB55_209:
	s_mov_b64 s[0:1], -1
                                        ; implicit-def: $vgpr3
	s_branch .LBB55_218
.LBB55_210:
	s_mov_b64 s[0:1], -1
                                        ; implicit-def: $vgpr3
	s_branch .LBB55_215
.LBB55_211:
	s_mov_b64 s[0:1], -1
                                        ; implicit-def: $vgpr3
.LBB55_212:
	s_andn2_b64 vcc, exec, s[0:1]
	s_cbranch_vccnz .LBB55_214
; %bb.213:
	global_load_dword v3, v[0:1], off
	s_waitcnt vmcnt(0)
	v_cvt_f16_f32_e32 v3, v3
.LBB55_214:
	s_mov_b64 s[0:1], 0
.LBB55_215:
	s_andn2_b64 vcc, exec, s[0:1]
	s_cbranch_vccnz .LBB55_217
; %bb.216:
	global_load_dword v3, v[0:1], off
.LBB55_217:
	s_mov_b64 s[0:1], 0
.LBB55_218:
	s_andn2_b64 vcc, exec, s[0:1]
	s_cbranch_vccnz .LBB55_229
; %bb.219:
	s_cmp_lt_i32 s22, 6
	s_cbranch_scc1 .LBB55_222
; %bb.220:
	s_cmp_gt_i32 s22, 6
	s_cbranch_scc0 .LBB55_223
; %bb.221:
	global_load_dwordx2 v[3:4], v[0:1], off
	s_movk_i32 s0, 0x1ff
	s_movk_i32 s1, 0xffe
	v_mov_b32_e32 v5, 0x7c00
	v_mov_b32_e32 v6, 0x7e00
	s_movk_i32 s6, 0x40f
	s_mov_b32 s7, 0x8000
	s_waitcnt vmcnt(0)
	v_and_or_b32 v3, v4, s0, v3
	v_cmp_ne_u32_e32 vcc, 0, v3
	v_lshrrev_b32_e32 v7, 8, v4
	v_bfe_u32 v8, v4, 20, 11
	v_cndmask_b32_e64 v3, 0, 1, vcc
	v_sub_u32_e32 v9, 0x3f1, v8
	v_and_or_b32 v3, v7, s1, v3
	v_add_u32_e32 v8, 0xfffffc10, v8
	v_med3_i32 v7, v9, 0, 13
	v_or_b32_e32 v9, 0x1000, v3
	v_cmp_ne_u32_e32 vcc, 0, v3
	v_lshl_or_b32 v10, v8, 12, v3
	v_cndmask_b32_e32 v3, v5, v6, vcc
	v_lshrrev_b32_e32 v6, v7, v9
	v_lshlrev_b32_e32 v7, v7, v6
	v_cmp_ne_u32_e32 vcc, v7, v9
	v_cndmask_b32_e64 v7, 0, 1, vcc
	v_or_b32_e32 v6, v6, v7
	v_cmp_gt_i32_e32 vcc, 1, v8
	v_cndmask_b32_e32 v6, v10, v6, vcc
	v_and_b32_e32 v7, 7, v6
	v_cmp_lt_i32_e32 vcc, 5, v7
	v_cndmask_b32_e64 v9, 0, 1, vcc
	v_cmp_eq_u32_e32 vcc, 3, v7
	v_cndmask_b32_e64 v7, 0, 1, vcc
	v_lshrrev_b32_e32 v6, 2, v6
	v_or_b32_e32 v7, v7, v9
	v_add_u32_e32 v6, v6, v7
	v_cmp_gt_i32_e32 vcc, 31, v8
	v_cndmask_b32_e32 v5, v5, v6, vcc
	v_cmp_eq_u32_e32 vcc, s6, v8
	v_lshrrev_b32_e32 v4, 16, v4
	v_cndmask_b32_e32 v3, v5, v3, vcc
	v_and_or_b32 v3, v4, s7, v3
	s_mov_b64 s[0:1], 0
	s_branch .LBB55_224
.LBB55_222:
	s_mov_b64 s[0:1], -1
                                        ; implicit-def: $vgpr3
	s_branch .LBB55_227
.LBB55_223:
	s_mov_b64 s[0:1], -1
                                        ; implicit-def: $vgpr3
.LBB55_224:
	s_andn2_b64 vcc, exec, s[0:1]
	s_cbranch_vccnz .LBB55_226
; %bb.225:
	global_load_dword v3, v[0:1], off
	s_waitcnt vmcnt(0)
	v_cvt_f16_f32_e32 v3, v3
.LBB55_226:
	s_mov_b64 s[0:1], 0
.LBB55_227:
	s_andn2_b64 vcc, exec, s[0:1]
	s_cbranch_vccnz .LBB55_229
; %bb.228:
	global_load_ushort v3, v[0:1], off
.LBB55_229:
	s_cbranch_execnz .LBB55_249
.LBB55_230:
	s_cmp_lt_i32 s22, 2
	s_cbranch_scc1 .LBB55_234
; %bb.231:
	s_cmp_lt_i32 s22, 3
	s_cbranch_scc1 .LBB55_235
; %bb.232:
	s_cmp_gt_i32 s22, 3
	s_cbranch_scc0 .LBB55_236
; %bb.233:
	global_load_dwordx2 v[3:4], v[0:1], off
	s_mov_b64 s[0:1], 0
	s_waitcnt vmcnt(0)
	v_xor_b32_e32 v6, v3, v4
	v_ffbh_i32_e32 v5, v4
	v_ashrrev_i32_e32 v6, 31, v6
	v_add_u32_e32 v5, -1, v5
	v_add_u32_e32 v6, 32, v6
	v_min_u32_e32 v5, v5, v6
	v_lshlrev_b64 v[3:4], v5, v[3:4]
	v_min_u32_e32 v3, 1, v3
	v_or_b32_e32 v3, v4, v3
	v_cvt_f32_i32_e32 v3, v3
	v_sub_u32_e32 v4, 32, v5
	v_ldexp_f32 v3, v3, v4
	v_cvt_f16_f32_e32 v3, v3
	s_branch .LBB55_237
.LBB55_234:
	s_mov_b64 s[0:1], -1
                                        ; implicit-def: $vgpr3
	s_branch .LBB55_243
.LBB55_235:
	s_mov_b64 s[0:1], -1
                                        ; implicit-def: $vgpr3
	s_branch .LBB55_240
.LBB55_236:
	s_mov_b64 s[0:1], -1
                                        ; implicit-def: $vgpr3
.LBB55_237:
	s_andn2_b64 vcc, exec, s[0:1]
	s_cbranch_vccnz .LBB55_239
; %bb.238:
	global_load_dword v3, v[0:1], off
	s_waitcnt vmcnt(0)
	v_cvt_f32_i32_e32 v3, v3
	v_cvt_f16_f32_e32 v3, v3
.LBB55_239:
	s_mov_b64 s[0:1], 0
.LBB55_240:
	s_andn2_b64 vcc, exec, s[0:1]
	s_cbranch_vccnz .LBB55_242
; %bb.241:
	global_load_ushort v3, v[0:1], off
	s_waitcnt vmcnt(0)
	v_cvt_f16_i16_e32 v3, v3
.LBB55_242:
	s_mov_b64 s[0:1], 0
.LBB55_243:
	s_andn2_b64 vcc, exec, s[0:1]
	s_cbranch_vccnz .LBB55_249
; %bb.244:
	s_cmp_gt_i32 s22, 0
	s_cbranch_scc0 .LBB55_246
; %bb.245:
	global_load_sbyte v3, v[0:1], off
	s_mov_b64 s[0:1], 0
	s_waitcnt vmcnt(0)
	v_cvt_f16_i16_e32 v3, v3
	s_branch .LBB55_247
.LBB55_246:
	s_mov_b64 s[0:1], -1
                                        ; implicit-def: $vgpr3
.LBB55_247:
	s_andn2_b64 vcc, exec, s[0:1]
	s_cbranch_vccnz .LBB55_249
; %bb.248:
	global_load_ubyte v0, v[0:1], off
	s_waitcnt vmcnt(0)
	v_cvt_f16_u16_e32 v3, v0
.LBB55_249:
	s_branch .LBB55_11
.LBB55_250:
	s_mov_b64 s[0:1], 0
                                        ; implicit-def: $vgpr2
	s_mov_b64 s[18:19], 0
.LBB55_251:
	s_and_b64 s[6:7], s[0:1], exec
	s_and_b64 s[14:15], s[14:15], exec
	s_orn2_b64 s[18:19], s[18:19], exec
.LBB55_252:
	s_or_b64 exec, exec, s[16:17]
	s_mov_b64 s[22:23], 0
	s_mov_b64 s[0:1], 0
                                        ; implicit-def: $vgpr0_vgpr1
                                        ; implicit-def: $vgpr4
	s_and_saveexec_b64 s[16:17], s[18:19]
	s_cbranch_execz .LBB55_261
; %bb.253:
	v_cmp_gt_i32_e32 vcc, s38, v2
	s_mov_b64 s[0:1], -1
	s_mov_b64 s[18:19], s[14:15]
	s_mov_b64 s[20:21], s[6:7]
	s_and_saveexec_b64 s[22:23], vcc
	s_cbranch_execz .LBB55_513
; %bb.254:
	v_mul_lo_u32 v0, v2, s3
	v_mov_b32_e32 v1, s11
	s_and_b32 s26, 0xffff, s42
	s_cmp_lt_i32 s26, 11
	s_waitcnt vmcnt(0)
	v_ashrrev_i32_e32 v3, 31, v0
	v_add_co_u32_e32 v0, vcc, s10, v0
	v_addc_co_u32_e32 v1, vcc, v1, v3, vcc
	s_cbranch_scc1 .LBB55_264
; %bb.255:
	s_cmp_gt_i32 s26, 25
	s_cbranch_scc0 .LBB55_273
; %bb.256:
	s_cmp_gt_i32 s26, 28
	s_cbranch_scc0 .LBB55_275
	;; [unrolled: 3-line block ×4, first 2 shown]
; %bb.259:
	s_cmp_eq_u32 s26, 46
	s_mov_b64 s[20:21], 0
	s_cbranch_scc0 .LBB55_285
; %bb.260:
	global_load_dword v3, v[0:1], off
	s_mov_b64 s[18:19], 0
	s_waitcnt vmcnt(0)
	v_lshlrev_b32_e32 v3, 16, v3
	v_cvt_f16_f32_e32 v3, v3
	s_branch .LBB55_286
.LBB55_261:
	s_or_b64 exec, exec, s[16:17]
	s_mov_b64 s[16:17], 0
	s_and_saveexec_b64 s[18:19], s[14:15]
	s_cbranch_execnz .LBB55_859
.LBB55_262:
	s_or_b64 exec, exec, s[18:19]
	s_and_saveexec_b64 s[14:15], s[20:21]
	s_xor_b64 s[14:15], exec, s[14:15]
	s_cbranch_execz .LBB55_860
.LBB55_263:
	global_load_ubyte v3, v[0:1], off
	v_mov_b32_e32 v4, 0x3c00
	s_or_b64 s[0:1], s[0:1], exec
	s_waitcnt vmcnt(0)
	v_cmp_ne_u16_e32 vcc, 0, v3
	v_cndmask_b32_e32 v4, 0, v4, vcc
	s_or_b64 exec, exec, s[14:15]
	s_and_saveexec_b64 s[14:15], s[22:23]
	s_cbranch_execz .LBB55_906
	s_branch .LBB55_861
.LBB55_264:
	s_mov_b64 s[0:1], 0
                                        ; implicit-def: $vgpr3
	s_mov_b64 s[18:19], s[14:15]
	s_cbranch_execnz .LBB55_463
.LBB55_265:
	s_andn2_b64 vcc, exec, s[0:1]
	s_cbranch_vccnz .LBB55_511
.LBB55_266:
	s_waitcnt vmcnt(0)
	v_cvt_f32_f16_e32 v0, v3
	s_mov_b32 s0, -0.5
	v_mov_b32_e32 v1, 0.5
	v_fma_mix_f32 v1, |v3|, s0, v1 op_sel_hi:[1,0,0]
	v_mul_f32_e32 v4, v0, v0
	v_cmp_ge_f32_e64 vcc, |v0|, 0.5
	v_cndmask_b32_e32 v1, v4, v1, vcc
	v_mov_b32_e32 v4, 0x3c5fc5da
	v_fmac_f32_e32 v4, 0x3d1c21a7, v1
	v_mov_b32_e32 v5, 0x3d034c3c
	v_fmac_f32_e32 v5, v1, v4
	;; [unrolled: 2-line block ×4, first 2 shown]
	v_sqrt_f32_e32 v4, v1
	v_mov_b32_e32 v6, 0x3e2aaaac
	v_fmac_f32_e32 v6, v1, v5
	v_mul_f32_e32 v1, v1, v6
	v_fmac_f32_e32 v4, v4, v1
	v_add_f32_e32 v4, v4, v4
	v_sub_f32_e32 v4, 0x3fc90fdb, v4
	v_fma_mix_f32 v1, |v3|, v1, |v3| op_sel_hi:[1,0,1]
	v_cmp_lt_f32_e64 vcc, |v0|, 0.5
	v_cndmask_b32_e32 v0, v4, v1, vcc
	v_cvt_f16_f32_e32 v0, v0
	v_mul_lo_u32 v1, v2, s2
	s_movk_i32 s0, 0x7fff
	v_mov_b32_e32 v5, s9
	v_bfi_b32 v3, s0, v0, v3
	v_ashrrev_i32_e32 v4, 31, v1
	s_and_b32 s28, s33, 0xff
	v_add_co_u32_e32 v0, vcc, s8, v1
	s_cmp_lt_i32 s28, 11
	v_addc_co_u32_e32 v1, vcc, v5, v4, vcc
	s_cbranch_scc1 .LBB55_274
; %bb.267:
	s_and_b32 s29, 0xffff, s28
	s_cmp_gt_i32 s29, 25
	s_cbranch_scc0 .LBB55_276
; %bb.268:
	s_cmp_gt_i32 s29, 28
	s_cbranch_scc0 .LBB55_278
; %bb.269:
	;; [unrolled: 3-line block ×4, first 2 shown]
	s_mov_b64 s[24:25], 0
	s_mov_b64 s[0:1], -1
	s_cmp_eq_u32 s29, 46
	s_mov_b64 s[20:21], 0
	s_cbranch_scc0 .LBB55_290
; %bb.272:
	v_cvt_f32_f16_e32 v4, v3
	s_movk_i32 s0, 0x7fff
	v_cmp_o_f16_e32 vcc, v3, v3
	v_mov_b32_e32 v5, 0x7fc0
	v_bfe_u32 v6, v4, 16, 1
	v_add3_u32 v4, v4, v6, s0
	v_cndmask_b32_sdwa v4, v5, v4, vcc dst_sel:DWORD dst_unused:UNUSED_PAD src0_sel:DWORD src1_sel:WORD_1
	global_store_dword v[0:1], v4, off
	s_mov_b64 s[20:21], -1
	s_mov_b64 s[0:1], 0
	s_branch .LBB55_290
.LBB55_273:
	s_mov_b64 s[20:21], -1
	s_mov_b64 s[0:1], 0
	s_mov_b64 s[18:19], s[14:15]
                                        ; implicit-def: $vgpr3
	s_branch .LBB55_427
.LBB55_274:
	s_mov_b64 s[24:25], -1
	s_mov_b64 s[20:21], 0
	s_mov_b64 s[0:1], s[6:7]
	s_branch .LBB55_359
.LBB55_275:
	s_mov_b64 s[20:21], -1
	s_mov_b64 s[0:1], 0
	s_mov_b64 s[18:19], s[14:15]
                                        ; implicit-def: $vgpr3
	s_branch .LBB55_408
.LBB55_276:
	s_mov_b64 s[24:25], -1
	s_mov_b64 s[20:21], 0
	s_mov_b64 s[0:1], s[6:7]
	s_branch .LBB55_317
.LBB55_277:
	s_mov_b64 s[20:21], -1
	s_mov_b64 s[0:1], 0
	s_mov_b64 s[18:19], s[14:15]
                                        ; implicit-def: $vgpr3
	s_branch .LBB55_403
.LBB55_278:
	s_mov_b64 s[24:25], -1
	s_mov_b64 s[20:21], 0
	s_mov_b64 s[0:1], s[6:7]
	s_branch .LBB55_300
.LBB55_279:
	s_andn2_saveexec_b64 s[22:23], s[22:23]
	s_cbranch_execz .LBB55_55
.LBB55_280:
	s_mov_b32 s26, 0x46000000
	v_add_f32_e64 v5, |v4|, s26
	v_and_b32_e32 v5, 0xff, v5
	v_cmp_ne_u32_e32 vcc, 0, v5
	s_andn2_b64 s[18:19], s[18:19], exec
	s_and_b64 s[26:27], vcc, exec
	s_or_b64 s[18:19], s[18:19], s[26:27]
	s_or_b64 exec, exec, s[22:23]
	v_mov_b32_e32 v6, 0
	s_and_saveexec_b64 s[22:23], s[18:19]
	s_cbranch_execnz .LBB55_56
	s_branch .LBB55_57
.LBB55_281:
	s_mov_b64 s[20:21], -1
	s_mov_b64 s[0:1], 0
	s_mov_b64 s[18:19], s[14:15]
                                        ; implicit-def: $vgpr3
	s_branch .LBB55_286
.LBB55_282:
	s_mov_b64 s[24:25], -1
	s_mov_b64 s[20:21], 0
	s_mov_b64 s[0:1], s[6:7]
	s_branch .LBB55_296
.LBB55_283:
	s_andn2_saveexec_b64 s[22:23], s[22:23]
	s_cbranch_execz .LBB55_68
.LBB55_284:
	s_mov_b32 s26, 0x42800000
	v_add_f32_e64 v5, |v4|, s26
	v_and_b32_e32 v5, 0xff, v5
	v_cmp_ne_u32_e32 vcc, 0, v5
	s_andn2_b64 s[18:19], s[18:19], exec
	s_and_b64 s[26:27], vcc, exec
	s_or_b64 s[18:19], s[18:19], s[26:27]
	s_or_b64 exec, exec, s[22:23]
	v_mov_b32_e32 v6, 0
	s_and_saveexec_b64 s[22:23], s[18:19]
	s_cbranch_execnz .LBB55_69
	s_branch .LBB55_70
.LBB55_285:
	s_mov_b64 s[18:19], -1
                                        ; implicit-def: $vgpr3
	s_mov_b64 s[0:1], 0
.LBB55_286:
	s_and_b64 vcc, exec, s[20:21]
	s_cbranch_vccz .LBB55_402
; %bb.287:
	s_cmp_eq_u32 s26, 44
	s_cbranch_scc0 .LBB55_401
; %bb.288:
	global_load_ubyte v3, v[0:1], off
	s_movk_i32 s18, 0xff
	v_mov_b32_e32 v5, 0x7e00
	s_mov_b64 s[0:1], -1
	s_waitcnt vmcnt(0)
	v_lshlrev_b32_e32 v4, 23, v3
	v_cvt_f16_f32_e32 v4, v4
	v_cmp_ne_u32_e32 vcc, s18, v3
	s_mov_b64 s[18:19], 0
	v_cndmask_b32_e32 v4, v5, v4, vcc
	v_cmp_ne_u32_e32 vcc, 0, v3
	v_cndmask_b32_e32 v3, 0, v4, vcc
	s_branch .LBB55_402
.LBB55_289:
	s_mov_b64 s[24:25], -1
	s_mov_b64 s[20:21], 0
	s_mov_b64 s[0:1], s[6:7]
.LBB55_290:
	s_and_b64 vcc, exec, s[24:25]
	s_cbranch_vccz .LBB55_295
; %bb.291:
	s_cmp_eq_u32 s29, 44
	s_mov_b64 s[0:1], -1
	s_cbranch_scc0 .LBB55_295
; %bb.292:
	v_cvt_f32_f16_e32 v4, v3
	s_movk_i32 s0, 0xff
	v_mov_b32_e32 v6, 0xff
	v_bfe_u32 v5, v4, 23, 8
	v_cmp_ne_u32_e32 vcc, s0, v5
	s_and_saveexec_b64 s[20:21], vcc
; %bb.293:
	s_mov_b32 s0, 0x3fffff
	v_lshrrev_b32_e32 v6, 23, v4
	v_and_b32_e32 v7, 0x400000, v4
	v_and_or_b32 v4, v4, s0, v5
	v_cmp_ne_u32_e32 vcc, 0, v7
	v_cmp_ne_u32_e64 s[0:1], 0, v4
	s_and_b64 s[0:1], vcc, s[0:1]
	v_cndmask_b32_e64 v4, 0, 1, s[0:1]
	v_add_u32_e32 v6, v6, v4
; %bb.294:
	s_or_b64 exec, exec, s[20:21]
	s_mov_b64 s[20:21], -1
	s_mov_b64 s[0:1], 0
	global_store_byte v[0:1], v6, off
.LBB55_295:
	s_mov_b64 s[24:25], 0
.LBB55_296:
	s_and_b64 vcc, exec, s[24:25]
	s_cbranch_vccz .LBB55_299
; %bb.297:
	s_cmp_eq_u32 s29, 29
	s_mov_b64 s[0:1], -1
	s_cbranch_scc0 .LBB55_299
; %bb.298:
	v_cvt_f32_f16_e32 v4, v3
	v_mov_b32_e32 v5, 0
	s_mov_b64 s[20:21], -1
	s_mov_b64 s[0:1], 0
	v_cvt_u32_f32_e32 v4, v4
	s_mov_b64 s[24:25], 0
	global_store_dwordx2 v[0:1], v[4:5], off
	s_branch .LBB55_300
.LBB55_299:
	s_mov_b64 s[24:25], 0
.LBB55_300:
	s_and_b64 vcc, exec, s[24:25]
	s_cbranch_vccz .LBB55_316
; %bb.301:
	s_cmp_lt_i32 s29, 27
	s_mov_b64 s[20:21], -1
	s_cbranch_scc1 .LBB55_307
; %bb.302:
	s_cmp_gt_i32 s29, 27
	s_cbranch_scc0 .LBB55_304
; %bb.303:
	v_cvt_f32_f16_e32 v4, v3
	s_mov_b64 s[20:21], 0
	v_cvt_u32_f32_e32 v4, v4
	global_store_dword v[0:1], v4, off
.LBB55_304:
	s_andn2_b64 vcc, exec, s[20:21]
	s_cbranch_vccnz .LBB55_306
; %bb.305:
	v_cvt_u16_f16_e32 v4, v3
	global_store_short v[0:1], v4, off
.LBB55_306:
	s_mov_b64 s[20:21], 0
.LBB55_307:
	s_andn2_b64 vcc, exec, s[20:21]
	s_cbranch_vccnz .LBB55_315
; %bb.308:
	v_cvt_f32_f16_e32 v4, v3
	s_mov_b32 s20, 0x43800000
	v_mov_b32_e32 v6, 0x80
	v_and_b32_e32 v5, 0x7fffffff, v4
	v_cmp_gt_u32_e32 vcc, s20, v5
	s_and_saveexec_b64 s[20:21], vcc
	s_cbranch_execz .LBB55_314
; %bb.309:
	s_mov_b32 s24, 0x3bffffff
	v_cmp_lt_u32_e32 vcc, s24, v5
	s_mov_b64 s[24:25], 0
                                        ; implicit-def: $vgpr5
	s_and_saveexec_b64 s[26:27], vcc
	s_xor_b64 s[26:27], exec, s[26:27]
	s_cbranch_execz .LBB55_526
; %bb.310:
	v_bfe_u32 v5, v4, 20, 1
	s_mov_b32 s30, 0x487ffff
	v_add3_u32 v5, v4, v5, s30
	s_mov_b64 s[24:25], exec
	v_lshrrev_b32_e32 v5, 20, v5
	s_andn2_saveexec_b64 s[26:27], s[26:27]
	s_cbranch_execnz .LBB55_527
.LBB55_311:
	s_or_b64 exec, exec, s[26:27]
	v_mov_b32_e32 v6, 0
	s_and_saveexec_b64 s[26:27], s[24:25]
.LBB55_312:
	v_lshrrev_b32_e32 v4, 24, v4
	s_movk_i32 s24, 0x80
	v_and_or_b32 v6, v4, s24, v5
.LBB55_313:
	s_or_b64 exec, exec, s[26:27]
.LBB55_314:
	s_or_b64 exec, exec, s[20:21]
	global_store_byte v[0:1], v6, off
.LBB55_315:
	s_mov_b64 s[20:21], -1
.LBB55_316:
	s_mov_b64 s[24:25], 0
.LBB55_317:
	s_and_b64 vcc, exec, s[24:25]
	s_cbranch_vccz .LBB55_358
; %bb.318:
	s_cmp_gt_i32 s29, 22
	s_mov_b64 s[24:25], -1
	s_cbranch_scc0 .LBB55_350
; %bb.319:
	s_cmp_lt_i32 s29, 24
	s_mov_b64 s[20:21], -1
	s_cbranch_scc1 .LBB55_339
; %bb.320:
	s_cmp_gt_i32 s29, 24
	s_cbranch_scc0 .LBB55_328
; %bb.321:
	v_cvt_f32_f16_e32 v4, v3
	s_mov_b32 s20, 0x47800000
	v_mov_b32_e32 v6, 0x80
	v_and_b32_e32 v5, 0x7fffffff, v4
	v_cmp_gt_u32_e32 vcc, s20, v5
	s_and_saveexec_b64 s[20:21], vcc
	s_cbranch_execz .LBB55_327
; %bb.322:
	s_mov_b32 s24, 0x37ffffff
	v_cmp_lt_u32_e32 vcc, s24, v5
	s_mov_b64 s[24:25], 0
                                        ; implicit-def: $vgpr5
	s_and_saveexec_b64 s[26:27], vcc
	s_xor_b64 s[26:27], exec, s[26:27]
	s_cbranch_execz .LBB55_529
; %bb.323:
	v_bfe_u32 v5, v4, 21, 1
	s_mov_b32 s30, 0x88fffff
	v_add3_u32 v5, v4, v5, s30
	s_mov_b64 s[24:25], exec
	v_lshrrev_b32_e32 v5, 21, v5
	s_andn2_saveexec_b64 s[26:27], s[26:27]
	s_cbranch_execnz .LBB55_530
.LBB55_324:
	s_or_b64 exec, exec, s[26:27]
	v_mov_b32_e32 v6, 0
	s_and_saveexec_b64 s[26:27], s[24:25]
.LBB55_325:
	v_lshrrev_b32_e32 v4, 24, v4
	s_movk_i32 s24, 0x80
	v_and_or_b32 v6, v4, s24, v5
.LBB55_326:
	s_or_b64 exec, exec, s[26:27]
.LBB55_327:
	s_or_b64 exec, exec, s[20:21]
	s_mov_b64 s[20:21], 0
	global_store_byte v[0:1], v6, off
.LBB55_328:
	s_and_b64 vcc, exec, s[20:21]
	s_cbranch_vccz .LBB55_338
; %bb.329:
	v_cvt_f32_f16_e32 v4, v3
	s_mov_b32 s20, 0x43f00000
                                        ; implicit-def: $vgpr5
	v_and_b32_e32 v6, 0x7fffffff, v4
	v_cmp_gt_u32_e32 vcc, s20, v6
	s_and_saveexec_b64 s[20:21], vcc
	s_xor_b64 s[20:21], exec, s[20:21]
	s_cbranch_execz .LBB55_335
; %bb.330:
	s_mov_b32 s24, 0x3c7fffff
	v_cmp_lt_u32_e32 vcc, s24, v6
                                        ; implicit-def: $vgpr5
	s_and_saveexec_b64 s[24:25], vcc
	s_xor_b64 s[24:25], exec, s[24:25]
; %bb.331:
	v_bfe_u32 v5, v4, 20, 1
	s_mov_b32 s26, 0x407ffff
	v_add3_u32 v5, v4, v5, s26
	v_lshrrev_b32_e32 v6, 20, v5
	v_and_b32_e32 v5, 0xff00000, v5
	s_mov_b32 s26, 0x7f00000
	v_mov_b32_e32 v7, 0x7e
	v_cmp_ne_u32_e32 vcc, s26, v5
	v_cndmask_b32_e32 v5, v7, v6, vcc
; %bb.332:
	s_andn2_saveexec_b64 s[24:25], s[24:25]
; %bb.333:
	s_mov_b32 s26, 0x46800000
	v_add_f32_e64 v5, |v4|, s26
; %bb.334:
	s_or_b64 exec, exec, s[24:25]
                                        ; implicit-def: $vgpr6
.LBB55_335:
	s_andn2_saveexec_b64 s[20:21], s[20:21]
; %bb.336:
	s_mov_b32 s24, 0x7f800000
	v_mov_b32_e32 v5, 0x7e
	v_mov_b32_e32 v7, 0x7f
	v_cmp_lt_u32_e32 vcc, s24, v6
	v_cndmask_b32_e32 v5, v5, v7, vcc
; %bb.337:
	s_or_b64 exec, exec, s[20:21]
	v_lshrrev_b32_e32 v4, 24, v4
	s_movk_i32 s20, 0x80
	v_and_or_b32 v4, v4, s20, v5
	global_store_byte v[0:1], v4, off
.LBB55_338:
	s_mov_b64 s[20:21], 0
.LBB55_339:
	s_andn2_b64 vcc, exec, s[20:21]
	s_cbranch_vccnz .LBB55_349
; %bb.340:
	v_cvt_f32_f16_e32 v4, v3
	s_mov_b32 s20, 0x47800000
                                        ; implicit-def: $vgpr5
	v_and_b32_e32 v6, 0x7fffffff, v4
	v_cmp_gt_u32_e32 vcc, s20, v6
	s_and_saveexec_b64 s[20:21], vcc
	s_xor_b64 s[20:21], exec, s[20:21]
	s_cbranch_execz .LBB55_346
; %bb.341:
	s_mov_b32 s24, 0x387fffff
	v_cmp_lt_u32_e32 vcc, s24, v6
                                        ; implicit-def: $vgpr5
	s_and_saveexec_b64 s[24:25], vcc
	s_xor_b64 s[24:25], exec, s[24:25]
; %bb.342:
	v_bfe_u32 v5, v4, 21, 1
	s_mov_b32 s26, 0x80fffff
	v_add3_u32 v5, v4, v5, s26
	v_lshrrev_b32_e32 v5, 21, v5
; %bb.343:
	s_andn2_saveexec_b64 s[24:25], s[24:25]
; %bb.344:
	s_mov_b32 s26, 0x43000000
	v_add_f32_e64 v5, |v4|, s26
; %bb.345:
	s_or_b64 exec, exec, s[24:25]
                                        ; implicit-def: $vgpr6
.LBB55_346:
	s_andn2_saveexec_b64 s[20:21], s[20:21]
; %bb.347:
	s_mov_b32 s24, 0x7f800000
	v_mov_b32_e32 v5, 0x7c
	v_mov_b32_e32 v7, 0x7f
	v_cmp_lt_u32_e32 vcc, s24, v6
	v_cndmask_b32_e32 v5, v5, v7, vcc
; %bb.348:
	s_or_b64 exec, exec, s[20:21]
	v_lshrrev_b32_e32 v4, 24, v4
	s_movk_i32 s20, 0x80
	v_and_or_b32 v4, v4, s20, v5
	global_store_byte v[0:1], v4, off
.LBB55_349:
	s_mov_b64 s[24:25], 0
	s_mov_b64 s[20:21], -1
.LBB55_350:
	s_andn2_b64 vcc, exec, s[24:25]
	s_cbranch_vccnz .LBB55_358
; %bb.351:
	s_cmp_gt_i32 s29, 14
	s_mov_b64 s[24:25], -1
	s_cbranch_scc0 .LBB55_355
; %bb.352:
	s_cmp_eq_u32 s29, 15
	s_mov_b64 s[0:1], -1
	s_cbranch_scc0 .LBB55_354
; %bb.353:
	v_cvt_f32_f16_e32 v4, v3
	s_movk_i32 s0, 0x7fff
	v_cmp_o_f16_e32 vcc, v3, v3
	v_mov_b32_e32 v5, 0x7fc0
	v_bfe_u32 v6, v4, 16, 1
	v_add3_u32 v4, v4, v6, s0
	v_cndmask_b32_sdwa v4, v5, v4, vcc dst_sel:DWORD dst_unused:UNUSED_PAD src0_sel:DWORD src1_sel:WORD_1
	global_store_short v[0:1], v4, off
	s_mov_b64 s[20:21], -1
	s_mov_b64 s[0:1], 0
.LBB55_354:
	s_mov_b64 s[24:25], 0
.LBB55_355:
	s_and_b64 vcc, exec, s[24:25]
	s_cbranch_vccz .LBB55_358
; %bb.356:
	s_cmp_eq_u32 s29, 11
	s_mov_b64 s[0:1], -1
	s_cbranch_scc0 .LBB55_358
; %bb.357:
	v_cmp_neq_f16_e32 vcc, 0, v3
	v_cndmask_b32_e64 v4, 0, 1, vcc
	s_mov_b64 s[20:21], -1
	s_mov_b64 s[0:1], 0
	global_store_byte v[0:1], v4, off
.LBB55_358:
	s_mov_b64 s[24:25], 0
.LBB55_359:
	s_and_b64 vcc, exec, s[24:25]
	s_cbranch_vccz .LBB55_398
; %bb.360:
	s_and_b32 s24, 0xffff, s28
	s_cmp_lt_i32 s24, 5
	s_mov_b64 s[20:21], -1
	s_cbranch_scc1 .LBB55_381
; %bb.361:
	s_cmp_lt_i32 s24, 8
	s_cbranch_scc1 .LBB55_371
; %bb.362:
	s_cmp_lt_i32 s24, 9
	s_cbranch_scc1 .LBB55_368
; %bb.363:
	s_cmp_gt_i32 s24, 9
	s_cbranch_scc0 .LBB55_365
; %bb.364:
	v_cvt_f32_f16_e32 v4, v3
	v_mov_b32_e32 v6, 0
	v_mov_b32_e32 v7, v6
	s_mov_b64 s[20:21], 0
	v_cvt_f64_f32_e32 v[4:5], v4
	global_store_dwordx4 v[0:1], v[4:7], off
.LBB55_365:
	s_andn2_b64 vcc, exec, s[20:21]
	s_cbranch_vccnz .LBB55_367
; %bb.366:
	v_cvt_f32_f16_e32 v4, v3
	v_mov_b32_e32 v5, 0
	global_store_dwordx2 v[0:1], v[4:5], off
.LBB55_367:
	s_mov_b64 s[20:21], 0
.LBB55_368:
	s_andn2_b64 vcc, exec, s[20:21]
	s_cbranch_vccnz .LBB55_370
; %bb.369:
	v_and_b32_e32 v4, 0xffff, v3
	global_store_dword v[0:1], v4, off
.LBB55_370:
	s_mov_b64 s[20:21], 0
.LBB55_371:
	s_andn2_b64 vcc, exec, s[20:21]
	s_cbranch_vccnz .LBB55_380
; %bb.372:
	s_cmp_lt_i32 s24, 6
	s_mov_b64 s[20:21], -1
	s_cbranch_scc1 .LBB55_378
; %bb.373:
	s_cmp_gt_i32 s24, 6
	s_cbranch_scc0 .LBB55_375
; %bb.374:
	v_cvt_f32_f16_e32 v4, v3
	s_mov_b64 s[20:21], 0
	v_cvt_f64_f32_e32 v[4:5], v4
	global_store_dwordx2 v[0:1], v[4:5], off
.LBB55_375:
	s_andn2_b64 vcc, exec, s[20:21]
	s_cbranch_vccnz .LBB55_377
; %bb.376:
	v_cvt_f32_f16_e32 v4, v3
	global_store_dword v[0:1], v4, off
.LBB55_377:
	s_mov_b64 s[20:21], 0
.LBB55_378:
	s_andn2_b64 vcc, exec, s[20:21]
	s_cbranch_vccnz .LBB55_380
; %bb.379:
	global_store_short v[0:1], v3, off
.LBB55_380:
	s_mov_b64 s[20:21], 0
.LBB55_381:
	s_andn2_b64 vcc, exec, s[20:21]
	s_cbranch_vccnz .LBB55_397
; %bb.382:
	s_cmp_lt_i32 s24, 2
	s_mov_b64 s[20:21], -1
	s_cbranch_scc1 .LBB55_392
; %bb.383:
	s_cmp_lt_i32 s24, 3
	s_cbranch_scc1 .LBB55_389
; %bb.384:
	s_cmp_gt_i32 s24, 3
	s_cbranch_scc0 .LBB55_386
; %bb.385:
	v_cvt_f32_f16_e32 v4, v3
	s_mov_b64 s[20:21], 0
	v_cvt_i32_f32_e32 v4, v4
	v_ashrrev_i32_e32 v5, 31, v4
	global_store_dwordx2 v[0:1], v[4:5], off
.LBB55_386:
	s_andn2_b64 vcc, exec, s[20:21]
	s_cbranch_vccnz .LBB55_388
; %bb.387:
	v_cvt_f32_f16_e32 v4, v3
	v_cvt_i32_f32_e32 v4, v4
	global_store_dword v[0:1], v4, off
.LBB55_388:
	s_mov_b64 s[20:21], 0
.LBB55_389:
	s_andn2_b64 vcc, exec, s[20:21]
	s_cbranch_vccnz .LBB55_391
; %bb.390:
	v_cvt_i16_f16_e32 v4, v3
	global_store_short v[0:1], v4, off
.LBB55_391:
	s_mov_b64 s[20:21], 0
.LBB55_392:
	s_andn2_b64 vcc, exec, s[20:21]
	s_cbranch_vccnz .LBB55_397
; %bb.393:
	s_cmp_gt_i32 s24, 0
	s_mov_b64 s[20:21], -1
	s_cbranch_scc0 .LBB55_395
; %bb.394:
	v_cvt_i16_f16_e32 v4, v3
	s_mov_b64 s[20:21], 0
	global_store_byte v[0:1], v4, off
.LBB55_395:
	s_andn2_b64 vcc, exec, s[20:21]
	s_cbranch_vccnz .LBB55_397
; %bb.396:
	v_cvt_f32_f16_e32 v3, v3
	v_cvt_i32_f32_e32 v3, v3
	global_store_byte v[0:1], v3, off
.LBB55_397:
	s_mov_b64 s[20:21], -1
.LBB55_398:
	s_andn2_b64 vcc, exec, s[20:21]
	s_cbranch_vccnz .LBB55_400
; %bb.399:
	v_add_u32_e32 v2, 0x80, v2
	s_mov_b64 s[24:25], -1
	s_branch .LBB55_512
.LBB55_400:
	s_mov_b64 s[24:25], 0
                                        ; implicit-def: $vgpr2
	s_branch .LBB55_512
.LBB55_401:
	s_mov_b64 s[18:19], -1
                                        ; implicit-def: $vgpr3
.LBB55_402:
	s_mov_b64 s[20:21], 0
.LBB55_403:
	s_and_b64 vcc, exec, s[20:21]
	s_cbranch_vccz .LBB55_407
; %bb.404:
	s_cmp_eq_u32 s26, 29
	s_cbranch_scc0 .LBB55_406
; %bb.405:
	global_load_dwordx2 v[3:4], v[0:1], off
	s_mov_b64 s[0:1], -1
	s_mov_b64 s[18:19], 0
	s_mov_b64 s[20:21], 0
	s_waitcnt vmcnt(0)
	v_ffbh_u32_e32 v5, v4
	v_min_u32_e32 v5, 32, v5
	v_lshlrev_b64 v[3:4], v5, v[3:4]
	v_min_u32_e32 v3, 1, v3
	v_or_b32_e32 v3, v4, v3
	v_cvt_f32_u32_e32 v3, v3
	v_sub_u32_e32 v4, 32, v5
	v_ldexp_f32 v3, v3, v4
	v_cvt_f16_f32_e32 v3, v3
	s_branch .LBB55_408
.LBB55_406:
	s_mov_b64 s[18:19], -1
                                        ; implicit-def: $vgpr3
.LBB55_407:
	s_mov_b64 s[20:21], 0
.LBB55_408:
	s_and_b64 vcc, exec, s[20:21]
	s_cbranch_vccz .LBB55_426
; %bb.409:
	s_cmp_lt_i32 s26, 27
	s_cbranch_scc1 .LBB55_412
; %bb.410:
	s_cmp_gt_i32 s26, 27
	s_cbranch_scc0 .LBB55_413
; %bb.411:
	global_load_dword v3, v[0:1], off
	s_mov_b64 s[0:1], 0
	s_waitcnt vmcnt(0)
	v_cvt_f32_u32_e32 v3, v3
	v_cvt_f16_f32_e32 v3, v3
	s_branch .LBB55_414
.LBB55_412:
	s_mov_b64 s[0:1], -1
                                        ; implicit-def: $vgpr3
	s_branch .LBB55_417
.LBB55_413:
	s_mov_b64 s[0:1], -1
                                        ; implicit-def: $vgpr3
.LBB55_414:
	s_andn2_b64 vcc, exec, s[0:1]
	s_cbranch_vccnz .LBB55_416
; %bb.415:
	global_load_ushort v3, v[0:1], off
	s_waitcnt vmcnt(0)
	v_cvt_f16_u16_e32 v3, v3
.LBB55_416:
	s_mov_b64 s[0:1], 0
.LBB55_417:
	s_andn2_b64 vcc, exec, s[0:1]
	s_cbranch_vccnz .LBB55_425
; %bb.418:
	global_load_ubyte v4, v[0:1], off
	s_movk_i32 s0, 0x7f
	s_waitcnt vmcnt(0)
	v_cmp_lt_i16_e32 vcc, s0, v4
	s_mov_b64 s[0:1], 0
	s_and_saveexec_b64 s[20:21], vcc
	s_xor_b64 s[20:21], exec, s[20:21]
	s_cbranch_execz .LBB55_439
; %bb.419:
	s_movk_i32 s0, 0x80
	v_cmp_eq_u16_e32 vcc, s0, v4
	s_mov_b64 s[0:1], -1
	s_and_saveexec_b64 s[24:25], vcc
; %bb.420:
	s_xor_b64 s[0:1], exec, -1
; %bb.421:
	s_or_b64 exec, exec, s[24:25]
	s_and_b64 s[0:1], s[0:1], exec
	s_or_saveexec_b64 s[20:21], s[20:21]
	v_mov_b32_e32 v3, 0x7e00
	s_xor_b64 exec, exec, s[20:21]
	s_cbranch_execnz .LBB55_440
.LBB55_422:
	s_or_b64 exec, exec, s[20:21]
	s_and_saveexec_b64 s[20:21], s[0:1]
	s_cbranch_execz .LBB55_424
.LBB55_423:
	v_lshlrev_b32_e32 v3, 24, v4
	v_and_b32_e32 v4, 0xffff, v4
	v_and_b32_e32 v5, 7, v4
	v_ffbh_u32_e32 v7, v5
	v_min_u32_e32 v7, 32, v7
	v_subrev_u32_e32 v8, 28, v7
	v_bfe_u32 v6, v4, 3, 4
	v_lshlrev_b32_e32 v4, v8, v4
	v_sub_u32_e32 v7, 29, v7
	v_and_b32_e32 v4, 7, v4
	v_cmp_eq_u32_e32 vcc, 0, v6
	v_cndmask_b32_e32 v6, v6, v7, vcc
	v_cndmask_b32_e32 v4, v5, v4, vcc
	v_mov_b32_e32 v5, 0x3b800000
	v_lshlrev_b32_e32 v4, 20, v4
	v_and_b32_e32 v3, 0x80000000, v3
	v_lshl_add_u32 v5, v6, 23, v5
	v_or3_b32 v3, v3, v5, v4
	v_cvt_f16_f32_e32 v3, v3
.LBB55_424:
	s_or_b64 exec, exec, s[20:21]
.LBB55_425:
	s_mov_b64 s[0:1], -1
.LBB55_426:
	s_mov_b64 s[20:21], 0
.LBB55_427:
	s_and_b64 vcc, exec, s[20:21]
	s_cbranch_vccz .LBB55_462
; %bb.428:
	s_cmp_gt_i32 s26, 22
	s_cbranch_scc0 .LBB55_438
; %bb.429:
	s_cmp_lt_i32 s26, 24
	s_cbranch_scc1 .LBB55_441
; %bb.430:
	s_cmp_gt_i32 s26, 24
	s_cbranch_scc0 .LBB55_442
; %bb.431:
	global_load_ubyte v4, v[0:1], off
	s_movk_i32 s0, 0x7f
	s_waitcnt vmcnt(0)
	v_cmp_lt_i16_e32 vcc, s0, v4
	s_mov_b64 s[0:1], 0
	s_and_saveexec_b64 s[20:21], vcc
	s_xor_b64 s[20:21], exec, s[20:21]
	s_cbranch_execz .LBB55_454
; %bb.432:
	s_movk_i32 s0, 0x80
	v_cmp_eq_u16_e32 vcc, s0, v4
	s_mov_b64 s[0:1], -1
	s_and_saveexec_b64 s[24:25], vcc
; %bb.433:
	s_xor_b64 s[0:1], exec, -1
; %bb.434:
	s_or_b64 exec, exec, s[24:25]
	s_and_b64 s[0:1], s[0:1], exec
	s_or_saveexec_b64 s[20:21], s[20:21]
	v_mov_b32_e32 v3, 0x7e00
	s_xor_b64 exec, exec, s[20:21]
	s_cbranch_execnz .LBB55_455
.LBB55_435:
	s_or_b64 exec, exec, s[20:21]
	s_and_saveexec_b64 s[20:21], s[0:1]
	s_cbranch_execz .LBB55_437
.LBB55_436:
	v_lshlrev_b32_e32 v3, 24, v4
	v_and_b32_e32 v4, 0xffff, v4
	v_and_b32_e32 v5, 3, v4
	v_ffbh_u32_e32 v7, v5
	v_min_u32_e32 v7, 32, v7
	v_subrev_u32_e32 v8, 29, v7
	v_bfe_u32 v6, v4, 2, 5
	v_lshlrev_b32_e32 v4, v8, v4
	v_sub_u32_e32 v7, 30, v7
	v_and_b32_e32 v4, 3, v4
	v_cmp_eq_u32_e32 vcc, 0, v6
	v_cndmask_b32_e32 v6, v6, v7, vcc
	v_cndmask_b32_e32 v4, v5, v4, vcc
	v_mov_b32_e32 v5, 0x37800000
	v_lshlrev_b32_e32 v4, 21, v4
	v_and_b32_e32 v3, 0x80000000, v3
	v_lshl_add_u32 v5, v6, 23, v5
	v_or3_b32 v3, v3, v5, v4
	v_cvt_f16_f32_e32 v3, v3
.LBB55_437:
	s_or_b64 exec, exec, s[20:21]
	s_mov_b64 s[0:1], 0
	s_branch .LBB55_443
.LBB55_438:
	s_mov_b64 s[20:21], -1
                                        ; implicit-def: $vgpr3
	s_branch .LBB55_449
.LBB55_439:
	s_or_saveexec_b64 s[20:21], s[20:21]
	v_mov_b32_e32 v3, 0x7e00
	s_xor_b64 exec, exec, s[20:21]
	s_cbranch_execz .LBB55_422
.LBB55_440:
	v_cmp_ne_u16_e32 vcc, 0, v4
	s_andn2_b64 s[0:1], s[0:1], exec
	s_and_b64 s[24:25], vcc, exec
	s_or_b64 s[0:1], s[0:1], s[24:25]
	v_mov_b32_e32 v3, v4
	s_or_b64 exec, exec, s[20:21]
	s_and_saveexec_b64 s[20:21], s[0:1]
	s_cbranch_execnz .LBB55_423
	s_branch .LBB55_424
.LBB55_441:
	s_mov_b64 s[0:1], -1
                                        ; implicit-def: $vgpr3
	s_branch .LBB55_446
.LBB55_442:
	s_mov_b64 s[0:1], -1
                                        ; implicit-def: $vgpr3
.LBB55_443:
	s_and_b64 vcc, exec, s[0:1]
	s_cbranch_vccz .LBB55_445
; %bb.444:
	global_load_ubyte v3, v[0:1], off
	s_mov_b32 s0, 0x7f800000
	s_waitcnt vmcnt(0)
	v_lshlrev_b32_e32 v3, 24, v3
	v_and_b32_e32 v4, 0x7f000000, v3
	v_ffbh_u32_e32 v5, v4
	v_min_u32_e32 v5, 32, v5
	v_sub_u32_e64 v5, v5, 4 clamp
	v_lshlrev_b32_e32 v7, v5, v4
	v_lshlrev_b32_e32 v5, 23, v5
	v_lshrrev_b32_e32 v7, 4, v7
	v_add_u32_e32 v6, 0x1000000, v4
	v_sub_u32_e32 v5, v7, v5
	v_ashrrev_i32_e32 v6, 8, v6
	v_add_u32_e32 v5, 0x3c000000, v5
	v_and_or_b32 v5, v6, s0, v5
	v_cmp_ne_u32_e32 vcc, 0, v4
	v_cndmask_b32_e32 v4, 0, v5, vcc
	s_brev_b32 s0, 1
	v_and_or_b32 v3, v3, s0, v4
	v_cvt_f16_f32_e32 v3, v3
.LBB55_445:
	s_mov_b64 s[0:1], 0
.LBB55_446:
	s_andn2_b64 vcc, exec, s[0:1]
	s_cbranch_vccnz .LBB55_448
; %bb.447:
	global_load_ubyte v3, v[0:1], off
	s_movk_i32 s0, 0x7f00
	s_brev_b32 s1, 16
	s_waitcnt vmcnt(0)
	v_lshlrev_b16_e32 v4, 8, v3
	v_lshlrev_b32_e32 v3, 25, v3
	v_lshrrev_b32_e32 v5, 4, v3
	v_and_or_b32 v6, v4, s0, 0.5
	v_or_b32_e32 v5, 0x70000000, v5
	v_add_f32_e32 v6, -0.5, v6
	v_mul_f32_e32 v5, 0x7800000, v5
	v_cmp_gt_u32_e32 vcc, s1, v3
	v_bfe_i32 v4, v4, 0, 16
	v_cndmask_b32_e32 v3, v5, v6, vcc
	s_brev_b32 s0, 1
	v_and_or_b32 v3, v4, s0, v3
	v_cvt_f16_f32_e32 v3, v3
.LBB55_448:
	s_mov_b64 s[20:21], 0
	s_mov_b64 s[0:1], -1
.LBB55_449:
	s_andn2_b64 vcc, exec, s[20:21]
	s_cbranch_vccnz .LBB55_462
; %bb.450:
	s_cmp_gt_i32 s26, 14
	s_cbranch_scc0 .LBB55_453
; %bb.451:
	s_cmp_eq_u32 s26, 15
	s_cbranch_scc0 .LBB55_456
; %bb.452:
	global_load_ushort v3, v[0:1], off
	s_mov_b64 s[0:1], -1
	s_mov_b64 s[18:19], 0
	s_waitcnt vmcnt(0)
	v_lshlrev_b32_e32 v3, 16, v3
	v_cvt_f16_f32_e32 v3, v3
	s_branch .LBB55_457
.LBB55_453:
	s_mov_b64 s[20:21], -1
                                        ; implicit-def: $vgpr3
	s_branch .LBB55_458
.LBB55_454:
	s_or_saveexec_b64 s[20:21], s[20:21]
	v_mov_b32_e32 v3, 0x7e00
	s_xor_b64 exec, exec, s[20:21]
	s_cbranch_execz .LBB55_435
.LBB55_455:
	v_cmp_ne_u16_e32 vcc, 0, v4
	s_andn2_b64 s[0:1], s[0:1], exec
	s_and_b64 s[24:25], vcc, exec
	s_or_b64 s[0:1], s[0:1], s[24:25]
	v_mov_b32_e32 v3, v4
	s_or_b64 exec, exec, s[20:21]
	s_and_saveexec_b64 s[20:21], s[0:1]
	s_cbranch_execnz .LBB55_436
	s_branch .LBB55_437
.LBB55_456:
	s_mov_b64 s[18:19], -1
                                        ; implicit-def: $vgpr3
.LBB55_457:
	s_mov_b64 s[20:21], 0
.LBB55_458:
	s_and_b64 vcc, exec, s[20:21]
	s_cbranch_vccz .LBB55_462
; %bb.459:
	s_cmp_eq_u32 s26, 11
	s_cbranch_scc0 .LBB55_461
; %bb.460:
	global_load_ubyte v3, v[0:1], off
	v_mov_b32_e32 v4, 0x3c00
	s_mov_b64 s[0:1], -1
	s_mov_b64 s[18:19], 0
	s_waitcnt vmcnt(0)
	v_cmp_ne_u16_e32 vcc, 0, v3
	v_cndmask_b32_e32 v3, 0, v4, vcc
	s_branch .LBB55_462
.LBB55_461:
	s_mov_b64 s[18:19], -1
                                        ; implicit-def: $vgpr3
.LBB55_462:
	s_branch .LBB55_265
.LBB55_463:
	s_cmp_lt_i32 s26, 5
	s_cbranch_scc1 .LBB55_468
; %bb.464:
	s_cmp_lt_i32 s26, 8
	s_cbranch_scc1 .LBB55_469
; %bb.465:
	;; [unrolled: 3-line block ×3, first 2 shown]
	s_cmp_gt_i32 s26, 9
	s_cbranch_scc0 .LBB55_471
; %bb.467:
	global_load_dwordx2 v[3:4], v[0:1], off
	s_movk_i32 s0, 0x1ff
	s_movk_i32 s1, 0xffe
	v_mov_b32_e32 v5, 0x7c00
	v_mov_b32_e32 v6, 0x7e00
	s_movk_i32 s20, 0x40f
	s_mov_b32 s21, 0x8000
	s_waitcnt vmcnt(0)
	v_and_or_b32 v3, v4, s0, v3
	v_cmp_ne_u32_e32 vcc, 0, v3
	v_lshrrev_b32_e32 v7, 8, v4
	v_bfe_u32 v8, v4, 20, 11
	v_cndmask_b32_e64 v3, 0, 1, vcc
	v_sub_u32_e32 v9, 0x3f1, v8
	v_and_or_b32 v3, v7, s1, v3
	v_add_u32_e32 v8, 0xfffffc10, v8
	v_med3_i32 v7, v9, 0, 13
	v_or_b32_e32 v9, 0x1000, v3
	v_cmp_ne_u32_e32 vcc, 0, v3
	v_lshl_or_b32 v10, v8, 12, v3
	v_cndmask_b32_e32 v3, v5, v6, vcc
	v_lshrrev_b32_e32 v6, v7, v9
	v_lshlrev_b32_e32 v7, v7, v6
	v_cmp_ne_u32_e32 vcc, v7, v9
	v_cndmask_b32_e64 v7, 0, 1, vcc
	v_or_b32_e32 v6, v6, v7
	v_cmp_gt_i32_e32 vcc, 1, v8
	v_cndmask_b32_e32 v6, v10, v6, vcc
	v_and_b32_e32 v7, 7, v6
	v_cmp_lt_i32_e32 vcc, 5, v7
	v_cndmask_b32_e64 v9, 0, 1, vcc
	v_cmp_eq_u32_e32 vcc, 3, v7
	v_cndmask_b32_e64 v7, 0, 1, vcc
	v_lshrrev_b32_e32 v6, 2, v6
	v_or_b32_e32 v7, v7, v9
	v_add_u32_e32 v6, v6, v7
	v_cmp_gt_i32_e32 vcc, 31, v8
	v_cndmask_b32_e32 v5, v5, v6, vcc
	v_cmp_eq_u32_e32 vcc, s20, v8
	v_lshrrev_b32_e32 v4, 16, v4
	v_cndmask_b32_e32 v3, v5, v3, vcc
	v_and_or_b32 v3, v4, s21, v3
	s_mov_b64 s[0:1], 0
	s_branch .LBB55_472
.LBB55_468:
	s_mov_b64 s[0:1], -1
                                        ; implicit-def: $vgpr3
	s_branch .LBB55_490
.LBB55_469:
	s_mov_b64 s[0:1], -1
                                        ; implicit-def: $vgpr3
	s_branch .LBB55_478
.LBB55_470:
	s_mov_b64 s[0:1], -1
                                        ; implicit-def: $vgpr3
	s_branch .LBB55_475
.LBB55_471:
	s_mov_b64 s[0:1], -1
                                        ; implicit-def: $vgpr3
.LBB55_472:
	s_andn2_b64 vcc, exec, s[0:1]
	s_cbranch_vccnz .LBB55_474
; %bb.473:
	global_load_dword v3, v[0:1], off
	s_waitcnt vmcnt(0)
	v_cvt_f16_f32_e32 v3, v3
.LBB55_474:
	s_mov_b64 s[0:1], 0
.LBB55_475:
	s_andn2_b64 vcc, exec, s[0:1]
	s_cbranch_vccnz .LBB55_477
; %bb.476:
	global_load_dword v3, v[0:1], off
.LBB55_477:
	s_mov_b64 s[0:1], 0
.LBB55_478:
	s_andn2_b64 vcc, exec, s[0:1]
	s_cbranch_vccnz .LBB55_489
; %bb.479:
	s_cmp_lt_i32 s26, 6
	s_cbranch_scc1 .LBB55_482
; %bb.480:
	s_cmp_gt_i32 s26, 6
	s_cbranch_scc0 .LBB55_483
; %bb.481:
	global_load_dwordx2 v[3:4], v[0:1], off
	s_movk_i32 s0, 0x1ff
	s_movk_i32 s1, 0xffe
	v_mov_b32_e32 v5, 0x7c00
	v_mov_b32_e32 v6, 0x7e00
	s_movk_i32 s20, 0x40f
	s_mov_b32 s21, 0x8000
	s_waitcnt vmcnt(0)
	v_and_or_b32 v3, v4, s0, v3
	v_cmp_ne_u32_e32 vcc, 0, v3
	v_lshrrev_b32_e32 v7, 8, v4
	v_bfe_u32 v8, v4, 20, 11
	v_cndmask_b32_e64 v3, 0, 1, vcc
	v_sub_u32_e32 v9, 0x3f1, v8
	v_and_or_b32 v3, v7, s1, v3
	v_add_u32_e32 v8, 0xfffffc10, v8
	v_med3_i32 v7, v9, 0, 13
	v_or_b32_e32 v9, 0x1000, v3
	v_cmp_ne_u32_e32 vcc, 0, v3
	v_lshl_or_b32 v10, v8, 12, v3
	v_cndmask_b32_e32 v3, v5, v6, vcc
	v_lshrrev_b32_e32 v6, v7, v9
	v_lshlrev_b32_e32 v7, v7, v6
	v_cmp_ne_u32_e32 vcc, v7, v9
	v_cndmask_b32_e64 v7, 0, 1, vcc
	v_or_b32_e32 v6, v6, v7
	v_cmp_gt_i32_e32 vcc, 1, v8
	v_cndmask_b32_e32 v6, v10, v6, vcc
	v_and_b32_e32 v7, 7, v6
	v_cmp_lt_i32_e32 vcc, 5, v7
	v_cndmask_b32_e64 v9, 0, 1, vcc
	v_cmp_eq_u32_e32 vcc, 3, v7
	v_cndmask_b32_e64 v7, 0, 1, vcc
	v_lshrrev_b32_e32 v6, 2, v6
	v_or_b32_e32 v7, v7, v9
	v_add_u32_e32 v6, v6, v7
	v_cmp_gt_i32_e32 vcc, 31, v8
	v_cndmask_b32_e32 v5, v5, v6, vcc
	v_cmp_eq_u32_e32 vcc, s20, v8
	v_lshrrev_b32_e32 v4, 16, v4
	v_cndmask_b32_e32 v3, v5, v3, vcc
	v_and_or_b32 v3, v4, s21, v3
	s_mov_b64 s[0:1], 0
	s_branch .LBB55_484
.LBB55_482:
	s_mov_b64 s[0:1], -1
                                        ; implicit-def: $vgpr3
	s_branch .LBB55_487
.LBB55_483:
	s_mov_b64 s[0:1], -1
                                        ; implicit-def: $vgpr3
.LBB55_484:
	s_andn2_b64 vcc, exec, s[0:1]
	s_cbranch_vccnz .LBB55_486
; %bb.485:
	global_load_dword v3, v[0:1], off
	s_waitcnt vmcnt(0)
	v_cvt_f16_f32_e32 v3, v3
.LBB55_486:
	s_mov_b64 s[0:1], 0
.LBB55_487:
	s_andn2_b64 vcc, exec, s[0:1]
	s_cbranch_vccnz .LBB55_489
; %bb.488:
	global_load_ushort v3, v[0:1], off
.LBB55_489:
	s_mov_b64 s[0:1], 0
.LBB55_490:
	s_andn2_b64 vcc, exec, s[0:1]
	s_cbranch_vccnz .LBB55_510
; %bb.491:
	s_cmp_lt_i32 s26, 2
	s_cbranch_scc1 .LBB55_495
; %bb.492:
	s_cmp_lt_i32 s26, 3
	s_cbranch_scc1 .LBB55_496
; %bb.493:
	s_cmp_gt_i32 s26, 3
	s_cbranch_scc0 .LBB55_497
; %bb.494:
	global_load_dwordx2 v[3:4], v[0:1], off
	s_mov_b64 s[0:1], 0
	s_waitcnt vmcnt(0)
	v_xor_b32_e32 v6, v3, v4
	v_ffbh_i32_e32 v5, v4
	v_ashrrev_i32_e32 v6, 31, v6
	v_add_u32_e32 v5, -1, v5
	v_add_u32_e32 v6, 32, v6
	v_min_u32_e32 v5, v5, v6
	v_lshlrev_b64 v[3:4], v5, v[3:4]
	v_min_u32_e32 v3, 1, v3
	v_or_b32_e32 v3, v4, v3
	v_cvt_f32_i32_e32 v3, v3
	v_sub_u32_e32 v4, 32, v5
	v_ldexp_f32 v3, v3, v4
	v_cvt_f16_f32_e32 v3, v3
	s_branch .LBB55_498
.LBB55_495:
	s_mov_b64 s[0:1], -1
                                        ; implicit-def: $vgpr3
	s_branch .LBB55_504
.LBB55_496:
	s_mov_b64 s[0:1], -1
                                        ; implicit-def: $vgpr3
	s_branch .LBB55_501
.LBB55_497:
	s_mov_b64 s[0:1], -1
                                        ; implicit-def: $vgpr3
.LBB55_498:
	s_andn2_b64 vcc, exec, s[0:1]
	s_cbranch_vccnz .LBB55_500
; %bb.499:
	global_load_dword v3, v[0:1], off
	s_waitcnt vmcnt(0)
	v_cvt_f32_i32_e32 v3, v3
	v_cvt_f16_f32_e32 v3, v3
.LBB55_500:
	s_mov_b64 s[0:1], 0
.LBB55_501:
	s_andn2_b64 vcc, exec, s[0:1]
	s_cbranch_vccnz .LBB55_503
; %bb.502:
	global_load_ushort v3, v[0:1], off
	s_waitcnt vmcnt(0)
	v_cvt_f16_i16_e32 v3, v3
.LBB55_503:
	s_mov_b64 s[0:1], 0
.LBB55_504:
	s_andn2_b64 vcc, exec, s[0:1]
	s_cbranch_vccnz .LBB55_510
; %bb.505:
	s_cmp_gt_i32 s26, 0
	s_cbranch_scc0 .LBB55_507
; %bb.506:
	global_load_sbyte v3, v[0:1], off
	s_mov_b64 s[0:1], 0
	s_waitcnt vmcnt(0)
	v_cvt_f16_i16_e32 v3, v3
	s_branch .LBB55_508
.LBB55_507:
	s_mov_b64 s[0:1], -1
                                        ; implicit-def: $vgpr3
.LBB55_508:
	s_andn2_b64 vcc, exec, s[0:1]
	s_cbranch_vccnz .LBB55_510
; %bb.509:
	global_load_ubyte v0, v[0:1], off
	s_waitcnt vmcnt(0)
	v_cvt_f16_u16_e32 v3, v0
.LBB55_510:
	s_branch .LBB55_266
.LBB55_511:
	s_mov_b64 s[24:25], 0
                                        ; implicit-def: $vgpr2
	s_mov_b64 s[0:1], s[6:7]
.LBB55_512:
	s_andn2_b64 s[20:21], s[6:7], exec
	s_and_b64 s[0:1], s[0:1], exec
	s_or_b64 s[20:21], s[20:21], s[0:1]
	s_andn2_b64 s[0:1], s[14:15], exec
	s_and_b64 s[18:19], s[18:19], exec
	s_or_b64 s[18:19], s[0:1], s[18:19]
	s_orn2_b64 s[0:1], s[24:25], exec
.LBB55_513:
	s_or_b64 exec, exec, s[22:23]
	s_mov_b64 s[24:25], 0
	s_mov_b64 s[26:27], 0
	;; [unrolled: 1-line block ×3, first 2 shown]
                                        ; implicit-def: $vgpr0_vgpr1
                                        ; implicit-def: $vgpr4
	s_and_saveexec_b64 s[22:23], s[0:1]
	s_cbranch_execz .LBB55_858
; %bb.514:
	v_cmp_gt_i32_e32 vcc, s38, v2
	s_mov_b64 s[34:35], -1
	s_mov_b64 s[0:1], s[18:19]
	s_mov_b64 s[28:29], s[20:21]
	s_and_saveexec_b64 s[24:25], vcc
	s_cbranch_execz .LBB55_772
; %bb.515:
	v_mul_lo_u32 v0, v2, s3
	v_mov_b32_e32 v1, s11
	s_and_b32 s34, 0xffff, s42
	s_cmp_lt_i32 s34, 11
	s_waitcnt vmcnt(0)
	v_ashrrev_i32_e32 v3, 31, v0
	v_add_co_u32_e32 v0, vcc, s10, v0
	v_addc_co_u32_e32 v1, vcc, v1, v3, vcc
	s_cbranch_scc1 .LBB55_522
; %bb.516:
	s_cmp_gt_i32 s34, 25
	s_cbranch_scc0 .LBB55_523
; %bb.517:
	s_cmp_gt_i32 s34, 28
	s_cbranch_scc0 .LBB55_524
	;; [unrolled: 3-line block ×4, first 2 shown]
; %bb.520:
	s_cmp_eq_u32 s34, 46
	s_mov_b64 s[28:29], 0
	s_cbranch_scc0 .LBB55_531
; %bb.521:
	global_load_dword v3, v[0:1], off
	s_mov_b64 s[0:1], -1
	s_waitcnt vmcnt(0)
	v_lshlrev_b32_e32 v3, 16, v3
	v_cvt_f16_f32_e32 v3, v3
	s_branch .LBB55_532
.LBB55_522:
	s_mov_b64 s[28:29], -1
	s_mov_b64 s[0:1], 0
                                        ; implicit-def: $vgpr3
	s_mov_b64 s[26:27], s[18:19]
	s_branch .LBB55_597
.LBB55_523:
	s_mov_b64 s[28:29], -1
	s_mov_b64 s[0:1], 0
	s_mov_b64 s[26:27], s[18:19]
                                        ; implicit-def: $vgpr3
	s_branch .LBB55_561
.LBB55_524:
	s_mov_b64 s[28:29], -1
	s_mov_b64 s[0:1], 0
	s_mov_b64 s[26:27], s[18:19]
                                        ; implicit-def: $vgpr3
	s_branch .LBB55_542
.LBB55_525:
	s_mov_b64 s[28:29], -1
	s_mov_b64 s[0:1], 0
	s_mov_b64 s[26:27], s[18:19]
                                        ; implicit-def: $vgpr3
	s_branch .LBB55_537
.LBB55_526:
	s_andn2_saveexec_b64 s[26:27], s[26:27]
	s_cbranch_execz .LBB55_311
.LBB55_527:
	s_mov_b32 s30, 0x46000000
	v_add_f32_e64 v5, |v4|, s30
	v_and_b32_e32 v5, 0xff, v5
	v_cmp_ne_u32_e32 vcc, 0, v5
	s_andn2_b64 s[24:25], s[24:25], exec
	s_and_b64 s[30:31], vcc, exec
	s_or_b64 s[24:25], s[24:25], s[30:31]
	s_or_b64 exec, exec, s[26:27]
	v_mov_b32_e32 v6, 0
	s_and_saveexec_b64 s[26:27], s[24:25]
	s_cbranch_execnz .LBB55_312
	s_branch .LBB55_313
.LBB55_528:
	s_mov_b64 s[28:29], -1
	s_mov_b64 s[0:1], 0
	s_mov_b64 s[26:27], s[18:19]
                                        ; implicit-def: $vgpr3
	s_branch .LBB55_532
.LBB55_529:
	s_andn2_saveexec_b64 s[26:27], s[26:27]
	s_cbranch_execz .LBB55_324
.LBB55_530:
	s_mov_b32 s30, 0x42800000
	v_add_f32_e64 v5, |v4|, s30
	v_and_b32_e32 v5, 0xff, v5
	v_cmp_ne_u32_e32 vcc, 0, v5
	s_andn2_b64 s[24:25], s[24:25], exec
	s_and_b64 s[30:31], vcc, exec
	s_or_b64 s[24:25], s[24:25], s[30:31]
	s_or_b64 exec, exec, s[26:27]
	v_mov_b32_e32 v6, 0
	s_and_saveexec_b64 s[26:27], s[24:25]
	s_cbranch_execnz .LBB55_325
	s_branch .LBB55_326
.LBB55_531:
	s_mov_b64 s[26:27], -1
                                        ; implicit-def: $vgpr3
	s_mov_b64 s[0:1], 0
.LBB55_532:
	s_and_b64 vcc, exec, s[28:29]
	s_cbranch_vccz .LBB55_536
; %bb.533:
	s_cmp_eq_u32 s34, 44
	s_cbranch_scc0 .LBB55_535
; %bb.534:
	global_load_ubyte v3, v[0:1], off
	s_movk_i32 s26, 0xff
	v_mov_b32_e32 v5, 0x7e00
	s_mov_b64 s[0:1], -1
	s_waitcnt vmcnt(0)
	v_lshlrev_b32_e32 v4, 23, v3
	v_cvt_f16_f32_e32 v4, v4
	v_cmp_ne_u32_e32 vcc, s26, v3
	s_mov_b64 s[26:27], 0
	v_cndmask_b32_e32 v4, v5, v4, vcc
	v_cmp_ne_u32_e32 vcc, 0, v3
	v_cndmask_b32_e32 v3, 0, v4, vcc
	s_branch .LBB55_536
.LBB55_535:
	s_mov_b64 s[26:27], -1
                                        ; implicit-def: $vgpr3
.LBB55_536:
	s_mov_b64 s[28:29], 0
.LBB55_537:
	s_and_b64 vcc, exec, s[28:29]
	s_cbranch_vccz .LBB55_541
; %bb.538:
	s_cmp_eq_u32 s34, 29
	s_cbranch_scc0 .LBB55_540
; %bb.539:
	global_load_dwordx2 v[3:4], v[0:1], off
	s_mov_b64 s[0:1], -1
	s_mov_b64 s[26:27], 0
	s_mov_b64 s[28:29], 0
	s_waitcnt vmcnt(0)
	v_ffbh_u32_e32 v5, v4
	v_min_u32_e32 v5, 32, v5
	v_lshlrev_b64 v[3:4], v5, v[3:4]
	v_min_u32_e32 v3, 1, v3
	v_or_b32_e32 v3, v4, v3
	v_cvt_f32_u32_e32 v3, v3
	v_sub_u32_e32 v4, 32, v5
	v_ldexp_f32 v3, v3, v4
	v_cvt_f16_f32_e32 v3, v3
	s_branch .LBB55_542
.LBB55_540:
	s_mov_b64 s[26:27], -1
                                        ; implicit-def: $vgpr3
.LBB55_541:
	s_mov_b64 s[28:29], 0
.LBB55_542:
	s_and_b64 vcc, exec, s[28:29]
	s_cbranch_vccz .LBB55_560
; %bb.543:
	s_cmp_lt_i32 s34, 27
	s_cbranch_scc1 .LBB55_546
; %bb.544:
	s_cmp_gt_i32 s34, 27
	s_cbranch_scc0 .LBB55_547
; %bb.545:
	global_load_dword v3, v[0:1], off
	s_mov_b64 s[0:1], 0
	s_waitcnt vmcnt(0)
	v_cvt_f32_u32_e32 v3, v3
	v_cvt_f16_f32_e32 v3, v3
	s_branch .LBB55_548
.LBB55_546:
	s_mov_b64 s[0:1], -1
                                        ; implicit-def: $vgpr3
	s_branch .LBB55_551
.LBB55_547:
	s_mov_b64 s[0:1], -1
                                        ; implicit-def: $vgpr3
.LBB55_548:
	s_andn2_b64 vcc, exec, s[0:1]
	s_cbranch_vccnz .LBB55_550
; %bb.549:
	global_load_ushort v3, v[0:1], off
	s_waitcnt vmcnt(0)
	v_cvt_f16_u16_e32 v3, v3
.LBB55_550:
	s_mov_b64 s[0:1], 0
.LBB55_551:
	s_andn2_b64 vcc, exec, s[0:1]
	s_cbranch_vccnz .LBB55_559
; %bb.552:
	global_load_ubyte v4, v[0:1], off
	s_movk_i32 s0, 0x7f
	s_waitcnt vmcnt(0)
	v_cmp_lt_i16_e32 vcc, s0, v4
	s_mov_b64 s[0:1], 0
	s_and_saveexec_b64 s[28:29], vcc
	s_xor_b64 s[28:29], exec, s[28:29]
	s_cbranch_execz .LBB55_573
; %bb.553:
	s_movk_i32 s0, 0x80
	v_cmp_eq_u16_e32 vcc, s0, v4
	s_mov_b64 s[0:1], -1
	s_and_saveexec_b64 s[30:31], vcc
; %bb.554:
	s_xor_b64 s[0:1], exec, -1
; %bb.555:
	s_or_b64 exec, exec, s[30:31]
	s_and_b64 s[0:1], s[0:1], exec
	s_or_saveexec_b64 s[28:29], s[28:29]
	v_mov_b32_e32 v3, 0x7e00
	s_xor_b64 exec, exec, s[28:29]
	s_cbranch_execnz .LBB55_574
.LBB55_556:
	s_or_b64 exec, exec, s[28:29]
	s_and_saveexec_b64 s[28:29], s[0:1]
	s_cbranch_execz .LBB55_558
.LBB55_557:
	v_lshlrev_b32_e32 v3, 24, v4
	v_and_b32_e32 v4, 0xffff, v4
	v_and_b32_e32 v5, 7, v4
	v_ffbh_u32_e32 v7, v5
	v_min_u32_e32 v7, 32, v7
	v_subrev_u32_e32 v8, 28, v7
	v_bfe_u32 v6, v4, 3, 4
	v_lshlrev_b32_e32 v4, v8, v4
	v_sub_u32_e32 v7, 29, v7
	v_and_b32_e32 v4, 7, v4
	v_cmp_eq_u32_e32 vcc, 0, v6
	v_cndmask_b32_e32 v6, v6, v7, vcc
	v_cndmask_b32_e32 v4, v5, v4, vcc
	v_mov_b32_e32 v5, 0x3b800000
	v_lshlrev_b32_e32 v4, 20, v4
	v_and_b32_e32 v3, 0x80000000, v3
	v_lshl_add_u32 v5, v6, 23, v5
	v_or3_b32 v3, v3, v5, v4
	v_cvt_f16_f32_e32 v3, v3
.LBB55_558:
	s_or_b64 exec, exec, s[28:29]
.LBB55_559:
	s_mov_b64 s[0:1], -1
.LBB55_560:
	s_mov_b64 s[28:29], 0
.LBB55_561:
	s_and_b64 vcc, exec, s[28:29]
	s_cbranch_vccz .LBB55_596
; %bb.562:
	s_cmp_gt_i32 s34, 22
	s_cbranch_scc0 .LBB55_572
; %bb.563:
	s_cmp_lt_i32 s34, 24
	s_cbranch_scc1 .LBB55_575
; %bb.564:
	s_cmp_gt_i32 s34, 24
	s_cbranch_scc0 .LBB55_576
; %bb.565:
	global_load_ubyte v4, v[0:1], off
	s_movk_i32 s0, 0x7f
	s_waitcnt vmcnt(0)
	v_cmp_lt_i16_e32 vcc, s0, v4
	s_mov_b64 s[0:1], 0
	s_and_saveexec_b64 s[28:29], vcc
	s_xor_b64 s[28:29], exec, s[28:29]
	s_cbranch_execz .LBB55_588
; %bb.566:
	s_movk_i32 s0, 0x80
	v_cmp_eq_u16_e32 vcc, s0, v4
	s_mov_b64 s[0:1], -1
	s_and_saveexec_b64 s[30:31], vcc
; %bb.567:
	s_xor_b64 s[0:1], exec, -1
; %bb.568:
	s_or_b64 exec, exec, s[30:31]
	s_and_b64 s[0:1], s[0:1], exec
	s_or_saveexec_b64 s[28:29], s[28:29]
	v_mov_b32_e32 v3, 0x7e00
	s_xor_b64 exec, exec, s[28:29]
	s_cbranch_execnz .LBB55_589
.LBB55_569:
	s_or_b64 exec, exec, s[28:29]
	s_and_saveexec_b64 s[28:29], s[0:1]
	s_cbranch_execz .LBB55_571
.LBB55_570:
	v_lshlrev_b32_e32 v3, 24, v4
	v_and_b32_e32 v4, 0xffff, v4
	v_and_b32_e32 v5, 3, v4
	v_ffbh_u32_e32 v7, v5
	v_min_u32_e32 v7, 32, v7
	v_subrev_u32_e32 v8, 29, v7
	v_bfe_u32 v6, v4, 2, 5
	v_lshlrev_b32_e32 v4, v8, v4
	v_sub_u32_e32 v7, 30, v7
	v_and_b32_e32 v4, 3, v4
	v_cmp_eq_u32_e32 vcc, 0, v6
	v_cndmask_b32_e32 v6, v6, v7, vcc
	v_cndmask_b32_e32 v4, v5, v4, vcc
	v_mov_b32_e32 v5, 0x37800000
	v_lshlrev_b32_e32 v4, 21, v4
	v_and_b32_e32 v3, 0x80000000, v3
	v_lshl_add_u32 v5, v6, 23, v5
	v_or3_b32 v3, v3, v5, v4
	v_cvt_f16_f32_e32 v3, v3
.LBB55_571:
	s_or_b64 exec, exec, s[28:29]
	s_mov_b64 s[0:1], 0
	s_branch .LBB55_577
.LBB55_572:
	s_mov_b64 s[28:29], -1
                                        ; implicit-def: $vgpr3
	s_branch .LBB55_583
.LBB55_573:
	s_or_saveexec_b64 s[28:29], s[28:29]
	v_mov_b32_e32 v3, 0x7e00
	s_xor_b64 exec, exec, s[28:29]
	s_cbranch_execz .LBB55_556
.LBB55_574:
	v_cmp_ne_u16_e32 vcc, 0, v4
	s_andn2_b64 s[0:1], s[0:1], exec
	s_and_b64 s[30:31], vcc, exec
	s_or_b64 s[0:1], s[0:1], s[30:31]
	v_mov_b32_e32 v3, v4
	s_or_b64 exec, exec, s[28:29]
	s_and_saveexec_b64 s[28:29], s[0:1]
	s_cbranch_execnz .LBB55_557
	s_branch .LBB55_558
.LBB55_575:
	s_mov_b64 s[0:1], -1
                                        ; implicit-def: $vgpr3
	s_branch .LBB55_580
.LBB55_576:
	s_mov_b64 s[0:1], -1
                                        ; implicit-def: $vgpr3
.LBB55_577:
	s_and_b64 vcc, exec, s[0:1]
	s_cbranch_vccz .LBB55_579
; %bb.578:
	global_load_ubyte v3, v[0:1], off
	s_mov_b32 s0, 0x7f800000
	s_waitcnt vmcnt(0)
	v_lshlrev_b32_e32 v3, 24, v3
	v_and_b32_e32 v4, 0x7f000000, v3
	v_ffbh_u32_e32 v5, v4
	v_min_u32_e32 v5, 32, v5
	v_sub_u32_e64 v5, v5, 4 clamp
	v_lshlrev_b32_e32 v7, v5, v4
	v_lshlrev_b32_e32 v5, 23, v5
	v_lshrrev_b32_e32 v7, 4, v7
	v_add_u32_e32 v6, 0x1000000, v4
	v_sub_u32_e32 v5, v7, v5
	v_ashrrev_i32_e32 v6, 8, v6
	v_add_u32_e32 v5, 0x3c000000, v5
	v_and_or_b32 v5, v6, s0, v5
	v_cmp_ne_u32_e32 vcc, 0, v4
	v_cndmask_b32_e32 v4, 0, v5, vcc
	s_brev_b32 s0, 1
	v_and_or_b32 v3, v3, s0, v4
	v_cvt_f16_f32_e32 v3, v3
.LBB55_579:
	s_mov_b64 s[0:1], 0
.LBB55_580:
	s_andn2_b64 vcc, exec, s[0:1]
	s_cbranch_vccnz .LBB55_582
; %bb.581:
	global_load_ubyte v3, v[0:1], off
	s_movk_i32 s0, 0x7f00
	s_brev_b32 s1, 16
	s_waitcnt vmcnt(0)
	v_lshlrev_b16_e32 v4, 8, v3
	v_lshlrev_b32_e32 v3, 25, v3
	v_lshrrev_b32_e32 v5, 4, v3
	v_and_or_b32 v6, v4, s0, 0.5
	v_or_b32_e32 v5, 0x70000000, v5
	v_add_f32_e32 v6, -0.5, v6
	v_mul_f32_e32 v5, 0x7800000, v5
	v_cmp_gt_u32_e32 vcc, s1, v3
	v_bfe_i32 v4, v4, 0, 16
	v_cndmask_b32_e32 v3, v5, v6, vcc
	s_brev_b32 s0, 1
	v_and_or_b32 v3, v4, s0, v3
	v_cvt_f16_f32_e32 v3, v3
.LBB55_582:
	s_mov_b64 s[28:29], 0
	s_mov_b64 s[0:1], -1
.LBB55_583:
	s_andn2_b64 vcc, exec, s[28:29]
	s_cbranch_vccnz .LBB55_596
; %bb.584:
	s_cmp_gt_i32 s34, 14
	s_cbranch_scc0 .LBB55_587
; %bb.585:
	s_cmp_eq_u32 s34, 15
	s_cbranch_scc0 .LBB55_590
; %bb.586:
	global_load_ushort v3, v[0:1], off
	s_mov_b64 s[0:1], -1
	s_mov_b64 s[26:27], 0
	s_waitcnt vmcnt(0)
	v_lshlrev_b32_e32 v3, 16, v3
	v_cvt_f16_f32_e32 v3, v3
	s_branch .LBB55_591
.LBB55_587:
	s_mov_b64 s[28:29], -1
                                        ; implicit-def: $vgpr3
	s_branch .LBB55_592
.LBB55_588:
	s_or_saveexec_b64 s[28:29], s[28:29]
	v_mov_b32_e32 v3, 0x7e00
	s_xor_b64 exec, exec, s[28:29]
	s_cbranch_execz .LBB55_569
.LBB55_589:
	v_cmp_ne_u16_e32 vcc, 0, v4
	s_andn2_b64 s[0:1], s[0:1], exec
	s_and_b64 s[30:31], vcc, exec
	s_or_b64 s[0:1], s[0:1], s[30:31]
	v_mov_b32_e32 v3, v4
	s_or_b64 exec, exec, s[28:29]
	s_and_saveexec_b64 s[28:29], s[0:1]
	s_cbranch_execnz .LBB55_570
	s_branch .LBB55_571
.LBB55_590:
	s_mov_b64 s[26:27], -1
                                        ; implicit-def: $vgpr3
.LBB55_591:
	s_mov_b64 s[28:29], 0
.LBB55_592:
	s_and_b64 vcc, exec, s[28:29]
	s_cbranch_vccz .LBB55_596
; %bb.593:
	s_cmp_eq_u32 s34, 11
	s_cbranch_scc0 .LBB55_595
; %bb.594:
	global_load_ubyte v3, v[0:1], off
	v_mov_b32_e32 v4, 0x3c00
	s_mov_b64 s[0:1], -1
	s_mov_b64 s[26:27], 0
	s_waitcnt vmcnt(0)
	v_cmp_ne_u16_e32 vcc, 0, v3
	v_cndmask_b32_e32 v3, 0, v4, vcc
	s_branch .LBB55_596
.LBB55_595:
	s_mov_b64 s[26:27], -1
                                        ; implicit-def: $vgpr3
.LBB55_596:
	s_mov_b64 s[28:29], 0
.LBB55_597:
	s_and_b64 vcc, exec, s[28:29]
	s_cbranch_vccz .LBB55_646
; %bb.598:
	s_cmp_lt_i32 s34, 5
	s_cbranch_scc1 .LBB55_603
; %bb.599:
	s_cmp_lt_i32 s34, 8
	s_cbranch_scc1 .LBB55_604
	;; [unrolled: 3-line block ×3, first 2 shown]
; %bb.601:
	s_cmp_gt_i32 s34, 9
	s_cbranch_scc0 .LBB55_606
; %bb.602:
	global_load_dwordx2 v[3:4], v[0:1], off
	s_movk_i32 s0, 0x1ff
	s_movk_i32 s1, 0xffe
	v_mov_b32_e32 v5, 0x7c00
	v_mov_b32_e32 v6, 0x7e00
	s_movk_i32 s28, 0x40f
	s_mov_b32 s29, 0x8000
	s_waitcnt vmcnt(0)
	v_and_or_b32 v3, v4, s0, v3
	v_cmp_ne_u32_e32 vcc, 0, v3
	v_lshrrev_b32_e32 v7, 8, v4
	v_bfe_u32 v8, v4, 20, 11
	v_cndmask_b32_e64 v3, 0, 1, vcc
	v_sub_u32_e32 v9, 0x3f1, v8
	v_and_or_b32 v3, v7, s1, v3
	v_add_u32_e32 v8, 0xfffffc10, v8
	v_med3_i32 v7, v9, 0, 13
	v_or_b32_e32 v9, 0x1000, v3
	v_cmp_ne_u32_e32 vcc, 0, v3
	v_lshl_or_b32 v10, v8, 12, v3
	v_cndmask_b32_e32 v3, v5, v6, vcc
	v_lshrrev_b32_e32 v6, v7, v9
	v_lshlrev_b32_e32 v7, v7, v6
	v_cmp_ne_u32_e32 vcc, v7, v9
	v_cndmask_b32_e64 v7, 0, 1, vcc
	v_or_b32_e32 v6, v6, v7
	v_cmp_gt_i32_e32 vcc, 1, v8
	v_cndmask_b32_e32 v6, v10, v6, vcc
	v_and_b32_e32 v7, 7, v6
	v_cmp_lt_i32_e32 vcc, 5, v7
	v_cndmask_b32_e64 v9, 0, 1, vcc
	v_cmp_eq_u32_e32 vcc, 3, v7
	v_cndmask_b32_e64 v7, 0, 1, vcc
	v_lshrrev_b32_e32 v6, 2, v6
	v_or_b32_e32 v7, v7, v9
	v_add_u32_e32 v6, v6, v7
	v_cmp_gt_i32_e32 vcc, 31, v8
	v_cndmask_b32_e32 v5, v5, v6, vcc
	v_cmp_eq_u32_e32 vcc, s28, v8
	v_lshrrev_b32_e32 v4, 16, v4
	v_cndmask_b32_e32 v3, v5, v3, vcc
	v_and_or_b32 v3, v4, s29, v3
	s_mov_b64 s[0:1], 0
	s_branch .LBB55_607
.LBB55_603:
	s_mov_b64 s[0:1], -1
                                        ; implicit-def: $vgpr3
	s_branch .LBB55_625
.LBB55_604:
	s_mov_b64 s[0:1], -1
                                        ; implicit-def: $vgpr3
	s_branch .LBB55_613
.LBB55_605:
	s_mov_b64 s[0:1], -1
                                        ; implicit-def: $vgpr3
	s_branch .LBB55_610
.LBB55_606:
	s_mov_b64 s[0:1], -1
                                        ; implicit-def: $vgpr3
.LBB55_607:
	s_andn2_b64 vcc, exec, s[0:1]
	s_cbranch_vccnz .LBB55_609
; %bb.608:
	global_load_dword v3, v[0:1], off
	s_waitcnt vmcnt(0)
	v_cvt_f16_f32_e32 v3, v3
.LBB55_609:
	s_mov_b64 s[0:1], 0
.LBB55_610:
	s_andn2_b64 vcc, exec, s[0:1]
	s_cbranch_vccnz .LBB55_612
; %bb.611:
	global_load_dword v3, v[0:1], off
.LBB55_612:
	s_mov_b64 s[0:1], 0
.LBB55_613:
	s_andn2_b64 vcc, exec, s[0:1]
	s_cbranch_vccnz .LBB55_624
; %bb.614:
	s_cmp_lt_i32 s34, 6
	s_cbranch_scc1 .LBB55_617
; %bb.615:
	s_cmp_gt_i32 s34, 6
	s_cbranch_scc0 .LBB55_618
; %bb.616:
	global_load_dwordx2 v[3:4], v[0:1], off
	s_movk_i32 s0, 0x1ff
	s_movk_i32 s1, 0xffe
	v_mov_b32_e32 v5, 0x7c00
	v_mov_b32_e32 v6, 0x7e00
	s_movk_i32 s28, 0x40f
	s_mov_b32 s29, 0x8000
	s_waitcnt vmcnt(0)
	v_and_or_b32 v3, v4, s0, v3
	v_cmp_ne_u32_e32 vcc, 0, v3
	v_lshrrev_b32_e32 v7, 8, v4
	v_bfe_u32 v8, v4, 20, 11
	v_cndmask_b32_e64 v3, 0, 1, vcc
	v_sub_u32_e32 v9, 0x3f1, v8
	v_and_or_b32 v3, v7, s1, v3
	v_add_u32_e32 v8, 0xfffffc10, v8
	v_med3_i32 v7, v9, 0, 13
	v_or_b32_e32 v9, 0x1000, v3
	v_cmp_ne_u32_e32 vcc, 0, v3
	v_lshl_or_b32 v10, v8, 12, v3
	v_cndmask_b32_e32 v3, v5, v6, vcc
	v_lshrrev_b32_e32 v6, v7, v9
	v_lshlrev_b32_e32 v7, v7, v6
	v_cmp_ne_u32_e32 vcc, v7, v9
	v_cndmask_b32_e64 v7, 0, 1, vcc
	v_or_b32_e32 v6, v6, v7
	v_cmp_gt_i32_e32 vcc, 1, v8
	v_cndmask_b32_e32 v6, v10, v6, vcc
	v_and_b32_e32 v7, 7, v6
	v_cmp_lt_i32_e32 vcc, 5, v7
	v_cndmask_b32_e64 v9, 0, 1, vcc
	v_cmp_eq_u32_e32 vcc, 3, v7
	v_cndmask_b32_e64 v7, 0, 1, vcc
	v_lshrrev_b32_e32 v6, 2, v6
	v_or_b32_e32 v7, v7, v9
	v_add_u32_e32 v6, v6, v7
	v_cmp_gt_i32_e32 vcc, 31, v8
	v_cndmask_b32_e32 v5, v5, v6, vcc
	v_cmp_eq_u32_e32 vcc, s28, v8
	v_lshrrev_b32_e32 v4, 16, v4
	v_cndmask_b32_e32 v3, v5, v3, vcc
	v_and_or_b32 v3, v4, s29, v3
	s_mov_b64 s[0:1], 0
	s_branch .LBB55_619
.LBB55_617:
	s_mov_b64 s[0:1], -1
                                        ; implicit-def: $vgpr3
	s_branch .LBB55_622
.LBB55_618:
	s_mov_b64 s[0:1], -1
                                        ; implicit-def: $vgpr3
.LBB55_619:
	s_andn2_b64 vcc, exec, s[0:1]
	s_cbranch_vccnz .LBB55_621
; %bb.620:
	global_load_dword v3, v[0:1], off
	s_waitcnt vmcnt(0)
	v_cvt_f16_f32_e32 v3, v3
.LBB55_621:
	s_mov_b64 s[0:1], 0
.LBB55_622:
	s_andn2_b64 vcc, exec, s[0:1]
	s_cbranch_vccnz .LBB55_624
; %bb.623:
	global_load_ushort v3, v[0:1], off
.LBB55_624:
	s_mov_b64 s[0:1], 0
.LBB55_625:
	s_andn2_b64 vcc, exec, s[0:1]
	s_cbranch_vccnz .LBB55_645
; %bb.626:
	s_cmp_lt_i32 s34, 2
	s_cbranch_scc1 .LBB55_630
; %bb.627:
	s_cmp_lt_i32 s34, 3
	s_cbranch_scc1 .LBB55_631
; %bb.628:
	s_cmp_gt_i32 s34, 3
	s_cbranch_scc0 .LBB55_632
; %bb.629:
	global_load_dwordx2 v[3:4], v[0:1], off
	s_mov_b64 s[0:1], 0
	s_waitcnt vmcnt(0)
	v_xor_b32_e32 v6, v3, v4
	v_ffbh_i32_e32 v5, v4
	v_ashrrev_i32_e32 v6, 31, v6
	v_add_u32_e32 v5, -1, v5
	v_add_u32_e32 v6, 32, v6
	v_min_u32_e32 v5, v5, v6
	v_lshlrev_b64 v[3:4], v5, v[3:4]
	v_min_u32_e32 v3, 1, v3
	v_or_b32_e32 v3, v4, v3
	v_cvt_f32_i32_e32 v3, v3
	v_sub_u32_e32 v4, 32, v5
	v_ldexp_f32 v3, v3, v4
	v_cvt_f16_f32_e32 v3, v3
	s_branch .LBB55_633
.LBB55_630:
	s_mov_b64 s[0:1], -1
                                        ; implicit-def: $vgpr3
	s_branch .LBB55_639
.LBB55_631:
	s_mov_b64 s[0:1], -1
                                        ; implicit-def: $vgpr3
	s_branch .LBB55_636
.LBB55_632:
	s_mov_b64 s[0:1], -1
                                        ; implicit-def: $vgpr3
.LBB55_633:
	s_andn2_b64 vcc, exec, s[0:1]
	s_cbranch_vccnz .LBB55_635
; %bb.634:
	global_load_dword v3, v[0:1], off
	s_waitcnt vmcnt(0)
	v_cvt_f32_i32_e32 v3, v3
	v_cvt_f16_f32_e32 v3, v3
.LBB55_635:
	s_mov_b64 s[0:1], 0
.LBB55_636:
	s_andn2_b64 vcc, exec, s[0:1]
	s_cbranch_vccnz .LBB55_638
; %bb.637:
	global_load_ushort v3, v[0:1], off
	s_waitcnt vmcnt(0)
	v_cvt_f16_i16_e32 v3, v3
.LBB55_638:
	s_mov_b64 s[0:1], 0
.LBB55_639:
	s_andn2_b64 vcc, exec, s[0:1]
	s_cbranch_vccnz .LBB55_645
; %bb.640:
	s_cmp_gt_i32 s34, 0
	s_cbranch_scc0 .LBB55_642
; %bb.641:
	global_load_sbyte v3, v[0:1], off
	s_mov_b64 s[0:1], 0
	s_waitcnt vmcnt(0)
	v_cvt_f16_i16_e32 v3, v3
	s_branch .LBB55_643
.LBB55_642:
	s_mov_b64 s[0:1], -1
                                        ; implicit-def: $vgpr3
.LBB55_643:
	s_andn2_b64 vcc, exec, s[0:1]
	s_cbranch_vccnz .LBB55_645
; %bb.644:
	global_load_ubyte v0, v[0:1], off
	s_waitcnt vmcnt(0)
	v_cvt_f16_u16_e32 v3, v0
.LBB55_645:
	s_mov_b64 s[0:1], -1
.LBB55_646:
	s_andn2_b64 vcc, exec, s[0:1]
	s_cbranch_vccnz .LBB55_654
; %bb.647:
	s_waitcnt vmcnt(0)
	v_cvt_f32_f16_e32 v0, v3
	s_mov_b32 s0, -0.5
	v_mov_b32_e32 v1, 0.5
	v_fma_mix_f32 v1, |v3|, s0, v1 op_sel_hi:[1,0,0]
	v_mul_f32_e32 v4, v0, v0
	v_cmp_ge_f32_e64 vcc, |v0|, 0.5
	v_cndmask_b32_e32 v1, v4, v1, vcc
	v_mov_b32_e32 v4, 0x3c5fc5da
	v_fmac_f32_e32 v4, 0x3d1c21a7, v1
	v_mov_b32_e32 v5, 0x3d034c3c
	v_fmac_f32_e32 v5, v1, v4
	v_mov_b32_e32 v4, 0x3d3641b1
	v_fmac_f32_e32 v4, v1, v5
	v_mov_b32_e32 v5, 0x3d999bc8
	v_fmac_f32_e32 v5, v1, v4
	v_sqrt_f32_e32 v4, v1
	v_mov_b32_e32 v6, 0x3e2aaaac
	v_fmac_f32_e32 v6, v1, v5
	v_mul_f32_e32 v1, v1, v6
	v_fmac_f32_e32 v4, v4, v1
	v_add_f32_e32 v4, v4, v4
	v_sub_f32_e32 v4, 0x3fc90fdb, v4
	v_fma_mix_f32 v1, |v3|, v1, |v3| op_sel_hi:[1,0,1]
	v_cmp_lt_f32_e64 vcc, |v0|, 0.5
	v_cndmask_b32_e32 v0, v4, v1, vcc
	v_cvt_f16_f32_e32 v0, v0
	v_mul_lo_u32 v1, v2, s2
	s_movk_i32 s0, 0x7fff
	v_mov_b32_e32 v5, s9
	v_bfi_b32 v3, s0, v0, v3
	v_ashrrev_i32_e32 v4, 31, v1
	s_and_b32 s36, s33, 0xff
	v_add_co_u32_e32 v0, vcc, s8, v1
	s_cmp_lt_i32 s36, 11
	v_addc_co_u32_e32 v1, vcc, v5, v4, vcc
	s_cbranch_scc1 .LBB55_655
; %bb.648:
	s_and_b32 s37, 0xffff, s36
	s_cmp_gt_i32 s37, 25
	s_cbranch_scc0 .LBB55_656
; %bb.649:
	s_cmp_gt_i32 s37, 28
	s_cbranch_scc0 .LBB55_657
; %bb.650:
	;; [unrolled: 3-line block ×4, first 2 shown]
	s_mov_b64 s[30:31], 0
	s_mov_b64 s[0:1], -1
	s_cmp_eq_u32 s37, 46
	s_mov_b64 s[28:29], 0
	s_cbranch_scc0 .LBB55_660
; %bb.653:
	v_cvt_f32_f16_e32 v4, v3
	s_movk_i32 s0, 0x7fff
	v_cmp_o_f16_e32 vcc, v3, v3
	v_mov_b32_e32 v5, 0x7fc0
	v_bfe_u32 v6, v4, 16, 1
	v_add3_u32 v4, v4, v6, s0
	v_cndmask_b32_sdwa v4, v5, v4, vcc dst_sel:DWORD dst_unused:UNUSED_PAD src0_sel:DWORD src1_sel:WORD_1
	global_store_dword v[0:1], v4, off
	s_mov_b64 s[28:29], -1
	s_mov_b64 s[0:1], 0
	s_branch .LBB55_660
.LBB55_654:
	s_mov_b64 s[30:31], 0
                                        ; implicit-def: $vgpr2
	s_mov_b64 s[0:1], s[20:21]
	s_branch .LBB55_771
.LBB55_655:
	s_mov_b64 s[30:31], -1
	s_mov_b64 s[28:29], 0
	s_mov_b64 s[0:1], s[20:21]
	s_branch .LBB55_729
.LBB55_656:
	s_mov_b64 s[30:31], -1
	s_mov_b64 s[28:29], 0
	s_mov_b64 s[0:1], s[20:21]
	s_branch .LBB55_687
.LBB55_657:
	s_mov_b64 s[30:31], -1
	s_mov_b64 s[28:29], 0
	s_mov_b64 s[0:1], s[20:21]
	s_branch .LBB55_670
.LBB55_658:
	s_mov_b64 s[30:31], -1
	s_mov_b64 s[28:29], 0
	s_mov_b64 s[0:1], s[20:21]
	s_branch .LBB55_666
.LBB55_659:
	s_mov_b64 s[30:31], -1
	s_mov_b64 s[28:29], 0
	s_mov_b64 s[0:1], s[20:21]
.LBB55_660:
	s_and_b64 vcc, exec, s[30:31]
	s_cbranch_vccz .LBB55_665
; %bb.661:
	s_cmp_eq_u32 s37, 44
	s_mov_b64 s[0:1], -1
	s_cbranch_scc0 .LBB55_665
; %bb.662:
	v_cvt_f32_f16_e32 v4, v3
	s_movk_i32 s0, 0xff
	v_mov_b32_e32 v6, 0xff
	v_bfe_u32 v5, v4, 23, 8
	v_cmp_ne_u32_e32 vcc, s0, v5
	s_and_saveexec_b64 s[28:29], vcc
; %bb.663:
	s_mov_b32 s0, 0x3fffff
	v_lshrrev_b32_e32 v6, 23, v4
	v_and_b32_e32 v7, 0x400000, v4
	v_and_or_b32 v4, v4, s0, v5
	v_cmp_ne_u32_e32 vcc, 0, v7
	v_cmp_ne_u32_e64 s[0:1], 0, v4
	s_and_b64 s[0:1], vcc, s[0:1]
	v_cndmask_b32_e64 v4, 0, 1, s[0:1]
	v_add_u32_e32 v6, v6, v4
; %bb.664:
	s_or_b64 exec, exec, s[28:29]
	s_mov_b64 s[28:29], -1
	s_mov_b64 s[0:1], 0
	global_store_byte v[0:1], v6, off
.LBB55_665:
	s_mov_b64 s[30:31], 0
.LBB55_666:
	s_and_b64 vcc, exec, s[30:31]
	s_cbranch_vccz .LBB55_669
; %bb.667:
	s_cmp_eq_u32 s37, 29
	s_mov_b64 s[0:1], -1
	s_cbranch_scc0 .LBB55_669
; %bb.668:
	v_cvt_f32_f16_e32 v4, v3
	v_mov_b32_e32 v5, 0
	s_mov_b64 s[28:29], -1
	s_mov_b64 s[0:1], 0
	v_cvt_u32_f32_e32 v4, v4
	s_mov_b64 s[30:31], 0
	global_store_dwordx2 v[0:1], v[4:5], off
	s_branch .LBB55_670
.LBB55_669:
	s_mov_b64 s[30:31], 0
.LBB55_670:
	s_and_b64 vcc, exec, s[30:31]
	s_cbranch_vccz .LBB55_686
; %bb.671:
	s_cmp_lt_i32 s37, 27
	s_mov_b64 s[28:29], -1
	s_cbranch_scc1 .LBB55_677
; %bb.672:
	s_cmp_gt_i32 s37, 27
	s_cbranch_scc0 .LBB55_674
; %bb.673:
	v_cvt_f32_f16_e32 v4, v3
	s_mov_b64 s[28:29], 0
	v_cvt_u32_f32_e32 v4, v4
	global_store_dword v[0:1], v4, off
.LBB55_674:
	s_andn2_b64 vcc, exec, s[28:29]
	s_cbranch_vccnz .LBB55_676
; %bb.675:
	v_cvt_u16_f16_e32 v4, v3
	global_store_short v[0:1], v4, off
.LBB55_676:
	s_mov_b64 s[28:29], 0
.LBB55_677:
	s_andn2_b64 vcc, exec, s[28:29]
	s_cbranch_vccnz .LBB55_685
; %bb.678:
	v_cvt_f32_f16_e32 v4, v3
	s_mov_b32 s28, 0x43800000
	v_mov_b32_e32 v6, 0x80
	v_and_b32_e32 v5, 0x7fffffff, v4
	v_cmp_gt_u32_e32 vcc, s28, v5
	s_and_saveexec_b64 s[28:29], vcc
	s_cbranch_execz .LBB55_684
; %bb.679:
	s_mov_b32 s30, 0x3bffffff
	v_cmp_lt_u32_e32 vcc, s30, v5
	s_mov_b64 s[30:31], 0
                                        ; implicit-def: $vgpr5
	s_and_saveexec_b64 s[34:35], vcc
	s_xor_b64 s[34:35], exec, s[34:35]
	s_cbranch_execz .LBB55_785
; %bb.680:
	v_bfe_u32 v5, v4, 20, 1
	s_mov_b32 s39, 0x487ffff
	v_add3_u32 v5, v4, v5, s39
	s_mov_b64 s[30:31], exec
	v_lshrrev_b32_e32 v5, 20, v5
	s_andn2_saveexec_b64 s[34:35], s[34:35]
	s_cbranch_execnz .LBB55_786
.LBB55_681:
	s_or_b64 exec, exec, s[34:35]
	v_mov_b32_e32 v6, 0
	s_and_saveexec_b64 s[34:35], s[30:31]
.LBB55_682:
	v_lshrrev_b32_e32 v4, 24, v4
	s_movk_i32 s30, 0x80
	v_and_or_b32 v6, v4, s30, v5
.LBB55_683:
	s_or_b64 exec, exec, s[34:35]
.LBB55_684:
	s_or_b64 exec, exec, s[28:29]
	global_store_byte v[0:1], v6, off
.LBB55_685:
	s_mov_b64 s[28:29], -1
.LBB55_686:
	s_mov_b64 s[30:31], 0
.LBB55_687:
	s_and_b64 vcc, exec, s[30:31]
	s_cbranch_vccz .LBB55_728
; %bb.688:
	s_cmp_gt_i32 s37, 22
	s_mov_b64 s[30:31], -1
	s_cbranch_scc0 .LBB55_720
; %bb.689:
	s_cmp_lt_i32 s37, 24
	s_mov_b64 s[28:29], -1
	s_cbranch_scc1 .LBB55_709
; %bb.690:
	s_cmp_gt_i32 s37, 24
	s_cbranch_scc0 .LBB55_698
; %bb.691:
	v_cvt_f32_f16_e32 v4, v3
	s_mov_b32 s28, 0x47800000
	v_mov_b32_e32 v6, 0x80
	v_and_b32_e32 v5, 0x7fffffff, v4
	v_cmp_gt_u32_e32 vcc, s28, v5
	s_and_saveexec_b64 s[28:29], vcc
	s_cbranch_execz .LBB55_697
; %bb.692:
	s_mov_b32 s30, 0x37ffffff
	v_cmp_lt_u32_e32 vcc, s30, v5
	s_mov_b64 s[30:31], 0
                                        ; implicit-def: $vgpr5
	s_and_saveexec_b64 s[34:35], vcc
	s_xor_b64 s[34:35], exec, s[34:35]
	s_cbranch_execz .LBB55_788
; %bb.693:
	v_bfe_u32 v5, v4, 21, 1
	s_mov_b32 s39, 0x88fffff
	v_add3_u32 v5, v4, v5, s39
	s_mov_b64 s[30:31], exec
	v_lshrrev_b32_e32 v5, 21, v5
	s_andn2_saveexec_b64 s[34:35], s[34:35]
	s_cbranch_execnz .LBB55_789
.LBB55_694:
	s_or_b64 exec, exec, s[34:35]
	v_mov_b32_e32 v6, 0
	s_and_saveexec_b64 s[34:35], s[30:31]
.LBB55_695:
	v_lshrrev_b32_e32 v4, 24, v4
	s_movk_i32 s30, 0x80
	v_and_or_b32 v6, v4, s30, v5
.LBB55_696:
	s_or_b64 exec, exec, s[34:35]
.LBB55_697:
	s_or_b64 exec, exec, s[28:29]
	s_mov_b64 s[28:29], 0
	global_store_byte v[0:1], v6, off
.LBB55_698:
	s_and_b64 vcc, exec, s[28:29]
	s_cbranch_vccz .LBB55_708
; %bb.699:
	v_cvt_f32_f16_e32 v4, v3
	s_mov_b32 s28, 0x43f00000
                                        ; implicit-def: $vgpr5
	v_and_b32_e32 v6, 0x7fffffff, v4
	v_cmp_gt_u32_e32 vcc, s28, v6
	s_and_saveexec_b64 s[28:29], vcc
	s_xor_b64 s[28:29], exec, s[28:29]
	s_cbranch_execz .LBB55_705
; %bb.700:
	s_mov_b32 s30, 0x3c7fffff
	v_cmp_lt_u32_e32 vcc, s30, v6
                                        ; implicit-def: $vgpr5
	s_and_saveexec_b64 s[30:31], vcc
	s_xor_b64 s[30:31], exec, s[30:31]
; %bb.701:
	v_bfe_u32 v5, v4, 20, 1
	s_mov_b32 s34, 0x407ffff
	v_add3_u32 v5, v4, v5, s34
	v_lshrrev_b32_e32 v6, 20, v5
	v_and_b32_e32 v5, 0xff00000, v5
	s_mov_b32 s34, 0x7f00000
	v_mov_b32_e32 v7, 0x7e
	v_cmp_ne_u32_e32 vcc, s34, v5
	v_cndmask_b32_e32 v5, v7, v6, vcc
; %bb.702:
	s_andn2_saveexec_b64 s[30:31], s[30:31]
; %bb.703:
	s_mov_b32 s34, 0x46800000
	v_add_f32_e64 v5, |v4|, s34
; %bb.704:
	s_or_b64 exec, exec, s[30:31]
                                        ; implicit-def: $vgpr6
.LBB55_705:
	s_andn2_saveexec_b64 s[28:29], s[28:29]
; %bb.706:
	s_mov_b32 s30, 0x7f800000
	v_mov_b32_e32 v5, 0x7e
	v_mov_b32_e32 v7, 0x7f
	v_cmp_lt_u32_e32 vcc, s30, v6
	v_cndmask_b32_e32 v5, v5, v7, vcc
; %bb.707:
	s_or_b64 exec, exec, s[28:29]
	v_lshrrev_b32_e32 v4, 24, v4
	s_movk_i32 s28, 0x80
	v_and_or_b32 v4, v4, s28, v5
	global_store_byte v[0:1], v4, off
.LBB55_708:
	s_mov_b64 s[28:29], 0
.LBB55_709:
	s_andn2_b64 vcc, exec, s[28:29]
	s_cbranch_vccnz .LBB55_719
; %bb.710:
	v_cvt_f32_f16_e32 v4, v3
	s_mov_b32 s28, 0x47800000
                                        ; implicit-def: $vgpr5
	v_and_b32_e32 v6, 0x7fffffff, v4
	v_cmp_gt_u32_e32 vcc, s28, v6
	s_and_saveexec_b64 s[28:29], vcc
	s_xor_b64 s[28:29], exec, s[28:29]
	s_cbranch_execz .LBB55_716
; %bb.711:
	s_mov_b32 s30, 0x387fffff
	v_cmp_lt_u32_e32 vcc, s30, v6
                                        ; implicit-def: $vgpr5
	s_and_saveexec_b64 s[30:31], vcc
	s_xor_b64 s[30:31], exec, s[30:31]
; %bb.712:
	v_bfe_u32 v5, v4, 21, 1
	s_mov_b32 s34, 0x80fffff
	v_add3_u32 v5, v4, v5, s34
	v_lshrrev_b32_e32 v5, 21, v5
; %bb.713:
	s_andn2_saveexec_b64 s[30:31], s[30:31]
; %bb.714:
	s_mov_b32 s34, 0x43000000
	v_add_f32_e64 v5, |v4|, s34
; %bb.715:
	s_or_b64 exec, exec, s[30:31]
                                        ; implicit-def: $vgpr6
.LBB55_716:
	s_andn2_saveexec_b64 s[28:29], s[28:29]
; %bb.717:
	s_mov_b32 s30, 0x7f800000
	v_mov_b32_e32 v5, 0x7c
	v_mov_b32_e32 v7, 0x7f
	v_cmp_lt_u32_e32 vcc, s30, v6
	v_cndmask_b32_e32 v5, v5, v7, vcc
; %bb.718:
	s_or_b64 exec, exec, s[28:29]
	v_lshrrev_b32_e32 v4, 24, v4
	s_movk_i32 s28, 0x80
	v_and_or_b32 v4, v4, s28, v5
	global_store_byte v[0:1], v4, off
.LBB55_719:
	s_mov_b64 s[30:31], 0
	s_mov_b64 s[28:29], -1
.LBB55_720:
	s_andn2_b64 vcc, exec, s[30:31]
	s_cbranch_vccnz .LBB55_728
; %bb.721:
	s_cmp_gt_i32 s37, 14
	s_mov_b64 s[30:31], -1
	s_cbranch_scc0 .LBB55_725
; %bb.722:
	s_cmp_eq_u32 s37, 15
	s_mov_b64 s[0:1], -1
	s_cbranch_scc0 .LBB55_724
; %bb.723:
	v_cvt_f32_f16_e32 v4, v3
	s_movk_i32 s0, 0x7fff
	v_cmp_o_f16_e32 vcc, v3, v3
	v_mov_b32_e32 v5, 0x7fc0
	v_bfe_u32 v6, v4, 16, 1
	v_add3_u32 v4, v4, v6, s0
	v_cndmask_b32_sdwa v4, v5, v4, vcc dst_sel:DWORD dst_unused:UNUSED_PAD src0_sel:DWORD src1_sel:WORD_1
	global_store_short v[0:1], v4, off
	s_mov_b64 s[28:29], -1
	s_mov_b64 s[0:1], 0
.LBB55_724:
	s_mov_b64 s[30:31], 0
.LBB55_725:
	s_and_b64 vcc, exec, s[30:31]
	s_cbranch_vccz .LBB55_728
; %bb.726:
	s_cmp_eq_u32 s37, 11
	s_mov_b64 s[0:1], -1
	s_cbranch_scc0 .LBB55_728
; %bb.727:
	v_cmp_neq_f16_e32 vcc, 0, v3
	v_cndmask_b32_e64 v4, 0, 1, vcc
	s_mov_b64 s[28:29], -1
	s_mov_b64 s[0:1], 0
	global_store_byte v[0:1], v4, off
.LBB55_728:
	s_mov_b64 s[30:31], 0
.LBB55_729:
	s_and_b64 vcc, exec, s[30:31]
	s_cbranch_vccz .LBB55_768
; %bb.730:
	s_and_b32 s30, 0xffff, s36
	s_cmp_lt_i32 s30, 5
	s_mov_b64 s[28:29], -1
	s_cbranch_scc1 .LBB55_751
; %bb.731:
	s_cmp_lt_i32 s30, 8
	s_cbranch_scc1 .LBB55_741
; %bb.732:
	s_cmp_lt_i32 s30, 9
	s_cbranch_scc1 .LBB55_738
; %bb.733:
	s_cmp_gt_i32 s30, 9
	s_cbranch_scc0 .LBB55_735
; %bb.734:
	v_cvt_f32_f16_e32 v4, v3
	v_mov_b32_e32 v6, 0
	v_mov_b32_e32 v7, v6
	s_mov_b64 s[28:29], 0
	v_cvt_f64_f32_e32 v[4:5], v4
	global_store_dwordx4 v[0:1], v[4:7], off
.LBB55_735:
	s_andn2_b64 vcc, exec, s[28:29]
	s_cbranch_vccnz .LBB55_737
; %bb.736:
	v_cvt_f32_f16_e32 v4, v3
	v_mov_b32_e32 v5, 0
	global_store_dwordx2 v[0:1], v[4:5], off
.LBB55_737:
	s_mov_b64 s[28:29], 0
.LBB55_738:
	s_andn2_b64 vcc, exec, s[28:29]
	s_cbranch_vccnz .LBB55_740
; %bb.739:
	v_and_b32_e32 v4, 0xffff, v3
	global_store_dword v[0:1], v4, off
.LBB55_740:
	s_mov_b64 s[28:29], 0
.LBB55_741:
	s_andn2_b64 vcc, exec, s[28:29]
	s_cbranch_vccnz .LBB55_750
; %bb.742:
	s_cmp_lt_i32 s30, 6
	s_mov_b64 s[28:29], -1
	s_cbranch_scc1 .LBB55_748
; %bb.743:
	s_cmp_gt_i32 s30, 6
	s_cbranch_scc0 .LBB55_745
; %bb.744:
	v_cvt_f32_f16_e32 v4, v3
	s_mov_b64 s[28:29], 0
	v_cvt_f64_f32_e32 v[4:5], v4
	global_store_dwordx2 v[0:1], v[4:5], off
.LBB55_745:
	s_andn2_b64 vcc, exec, s[28:29]
	s_cbranch_vccnz .LBB55_747
; %bb.746:
	v_cvt_f32_f16_e32 v4, v3
	global_store_dword v[0:1], v4, off
.LBB55_747:
	s_mov_b64 s[28:29], 0
.LBB55_748:
	s_andn2_b64 vcc, exec, s[28:29]
	s_cbranch_vccnz .LBB55_750
; %bb.749:
	global_store_short v[0:1], v3, off
.LBB55_750:
	s_mov_b64 s[28:29], 0
.LBB55_751:
	s_andn2_b64 vcc, exec, s[28:29]
	s_cbranch_vccnz .LBB55_767
; %bb.752:
	s_cmp_lt_i32 s30, 2
	s_mov_b64 s[28:29], -1
	s_cbranch_scc1 .LBB55_762
; %bb.753:
	s_cmp_lt_i32 s30, 3
	s_cbranch_scc1 .LBB55_759
; %bb.754:
	s_cmp_gt_i32 s30, 3
	s_cbranch_scc0 .LBB55_756
; %bb.755:
	v_cvt_f32_f16_e32 v4, v3
	s_mov_b64 s[28:29], 0
	v_cvt_i32_f32_e32 v4, v4
	v_ashrrev_i32_e32 v5, 31, v4
	global_store_dwordx2 v[0:1], v[4:5], off
.LBB55_756:
	s_andn2_b64 vcc, exec, s[28:29]
	s_cbranch_vccnz .LBB55_758
; %bb.757:
	v_cvt_f32_f16_e32 v4, v3
	v_cvt_i32_f32_e32 v4, v4
	global_store_dword v[0:1], v4, off
.LBB55_758:
	s_mov_b64 s[28:29], 0
.LBB55_759:
	s_andn2_b64 vcc, exec, s[28:29]
	s_cbranch_vccnz .LBB55_761
; %bb.760:
	v_cvt_i16_f16_e32 v4, v3
	global_store_short v[0:1], v4, off
.LBB55_761:
	s_mov_b64 s[28:29], 0
.LBB55_762:
	s_andn2_b64 vcc, exec, s[28:29]
	s_cbranch_vccnz .LBB55_767
; %bb.763:
	s_cmp_gt_i32 s30, 0
	s_mov_b64 s[28:29], -1
	s_cbranch_scc0 .LBB55_765
; %bb.764:
	v_cvt_i16_f16_e32 v4, v3
	s_mov_b64 s[28:29], 0
	global_store_byte v[0:1], v4, off
.LBB55_765:
	s_andn2_b64 vcc, exec, s[28:29]
	s_cbranch_vccnz .LBB55_767
; %bb.766:
	v_cvt_f32_f16_e32 v3, v3
	v_cvt_i32_f32_e32 v3, v3
	global_store_byte v[0:1], v3, off
.LBB55_767:
	s_mov_b64 s[28:29], -1
.LBB55_768:
	s_andn2_b64 vcc, exec, s[28:29]
	s_cbranch_vccnz .LBB55_770
; %bb.769:
	v_add_u32_e32 v2, 0x80, v2
	s_mov_b64 s[30:31], -1
	s_branch .LBB55_771
.LBB55_770:
	s_mov_b64 s[30:31], 0
                                        ; implicit-def: $vgpr2
.LBB55_771:
	s_andn2_b64 s[28:29], s[20:21], exec
	s_and_b64 s[0:1], s[0:1], exec
	s_or_b64 s[28:29], s[28:29], s[0:1]
	s_andn2_b64 s[0:1], s[18:19], exec
	s_and_b64 s[26:27], s[26:27], exec
	s_or_b64 s[0:1], s[0:1], s[26:27]
	s_orn2_b64 s[34:35], s[30:31], exec
.LBB55_772:
	s_or_b64 exec, exec, s[24:25]
	s_mov_b64 s[30:31], 0
	s_mov_b64 s[26:27], 0
	;; [unrolled: 1-line block ×3, first 2 shown]
                                        ; implicit-def: $vgpr0_vgpr1
                                        ; implicit-def: $vgpr4
	s_and_saveexec_b64 s[24:25], s[34:35]
	s_cbranch_execz .LBB55_857
; %bb.773:
	v_cmp_gt_i32_e32 vcc, s38, v2
	s_mov_b64 s[34:35], 0
	s_mov_b64 s[38:39], s[0:1]
	;; [unrolled: 1-line block ×3, first 2 shown]
                                        ; implicit-def: $vgpr0_vgpr1
                                        ; implicit-def: $vgpr4
	s_and_saveexec_b64 s[26:27], vcc
	s_cbranch_execz .LBB55_856
; %bb.774:
	v_mul_lo_u32 v0, v2, s3
	v_mov_b32_e32 v1, s11
	s_and_b32 s43, 0xffff, s42
	s_cmp_lt_i32 s43, 11
	s_waitcnt vmcnt(0)
	v_ashrrev_i32_e32 v3, 31, v0
	v_add_co_u32_e32 v0, vcc, s10, v0
	v_addc_co_u32_e32 v1, vcc, v1, v3, vcc
	s_cbranch_scc1 .LBB55_781
; %bb.775:
	s_cmp_gt_i32 s43, 25
	s_cbranch_scc0 .LBB55_782
; %bb.776:
	s_cmp_gt_i32 s43, 28
	s_cbranch_scc0 .LBB55_783
	;; [unrolled: 3-line block ×4, first 2 shown]
; %bb.779:
	s_cmp_eq_u32 s43, 46
	s_mov_b64 s[38:39], 0
	s_cbranch_scc0 .LBB55_790
; %bb.780:
	global_load_dword v3, v[0:1], off
	s_mov_b64 s[36:37], -1
	s_waitcnt vmcnt(0)
	v_lshlrev_b32_e32 v3, 16, v3
	v_cvt_f16_f32_e32 v4, v3
	s_branch .LBB55_792
.LBB55_781:
	s_mov_b64 s[38:39], -1
                                        ; implicit-def: $vgpr4
	s_mov_b64 s[30:31], s[0:1]
	s_branch .LBB55_855
.LBB55_782:
	s_mov_b64 s[38:39], -1
	s_mov_b64 s[30:31], s[0:1]
                                        ; implicit-def: $vgpr4
	s_branch .LBB55_821
.LBB55_783:
	s_mov_b64 s[38:39], -1
	s_mov_b64 s[30:31], s[0:1]
                                        ; implicit-def: $vgpr4
	s_branch .LBB55_802
.LBB55_784:
	s_mov_b64 s[38:39], -1
	s_mov_b64 s[30:31], s[0:1]
                                        ; implicit-def: $vgpr4
	s_branch .LBB55_797
.LBB55_785:
	s_andn2_saveexec_b64 s[34:35], s[34:35]
	s_cbranch_execz .LBB55_681
.LBB55_786:
	s_mov_b32 s39, 0x46000000
	v_add_f32_e64 v5, |v4|, s39
	v_and_b32_e32 v5, 0xff, v5
	v_cmp_ne_u32_e32 vcc, 0, v5
	s_andn2_b64 s[30:31], s[30:31], exec
	s_and_b64 s[40:41], vcc, exec
	s_or_b64 s[30:31], s[30:31], s[40:41]
	s_or_b64 exec, exec, s[34:35]
	v_mov_b32_e32 v6, 0
	s_and_saveexec_b64 s[34:35], s[30:31]
	s_cbranch_execnz .LBB55_682
	s_branch .LBB55_683
.LBB55_787:
	s_mov_b64 s[38:39], -1
	s_mov_b64 s[30:31], s[0:1]
	s_branch .LBB55_791
.LBB55_788:
	s_andn2_saveexec_b64 s[34:35], s[34:35]
	s_cbranch_execz .LBB55_694
.LBB55_789:
	s_mov_b32 s39, 0x42800000
	v_add_f32_e64 v5, |v4|, s39
	v_and_b32_e32 v5, 0xff, v5
	v_cmp_ne_u32_e32 vcc, 0, v5
	s_andn2_b64 s[30:31], s[30:31], exec
	s_and_b64 s[40:41], vcc, exec
	s_or_b64 s[30:31], s[30:31], s[40:41]
	s_or_b64 exec, exec, s[34:35]
	v_mov_b32_e32 v6, 0
	s_and_saveexec_b64 s[34:35], s[30:31]
	s_cbranch_execnz .LBB55_695
	s_branch .LBB55_696
.LBB55_790:
	s_mov_b64 s[30:31], -1
.LBB55_791:
                                        ; implicit-def: $vgpr4
.LBB55_792:
	s_and_b64 vcc, exec, s[38:39]
	s_cbranch_vccz .LBB55_796
; %bb.793:
	s_cmp_eq_u32 s43, 44
	s_cbranch_scc0 .LBB55_795
; %bb.794:
	global_load_ubyte v3, v[0:1], off
	s_movk_i32 s36, 0xff
	v_mov_b32_e32 v5, 0x7e00
	s_mov_b64 s[30:31], 0
	s_waitcnt vmcnt(0)
	v_lshlrev_b32_e32 v4, 23, v3
	v_cvt_f16_f32_e32 v4, v4
	v_cmp_ne_u32_e32 vcc, s36, v3
	s_mov_b64 s[36:37], -1
	v_cndmask_b32_e32 v4, v5, v4, vcc
	v_cmp_ne_u32_e32 vcc, 0, v3
	v_cndmask_b32_e32 v4, 0, v4, vcc
	s_branch .LBB55_796
.LBB55_795:
	s_mov_b64 s[30:31], -1
                                        ; implicit-def: $vgpr4
.LBB55_796:
	s_mov_b64 s[38:39], 0
.LBB55_797:
	s_and_b64 vcc, exec, s[38:39]
	s_cbranch_vccz .LBB55_801
; %bb.798:
	s_cmp_eq_u32 s43, 29
	s_cbranch_scc0 .LBB55_800
; %bb.799:
	global_load_dwordx2 v[3:4], v[0:1], off
	s_mov_b64 s[30:31], 0
	s_mov_b64 s[36:37], -1
	s_mov_b64 s[38:39], 0
	s_waitcnt vmcnt(0)
	v_ffbh_u32_e32 v5, v4
	v_min_u32_e32 v5, 32, v5
	v_lshlrev_b64 v[3:4], v5, v[3:4]
	v_min_u32_e32 v3, 1, v3
	v_or_b32_e32 v3, v4, v3
	v_cvt_f32_u32_e32 v3, v3
	v_sub_u32_e32 v4, 32, v5
	v_ldexp_f32 v3, v3, v4
	v_cvt_f16_f32_e32 v4, v3
	s_branch .LBB55_802
.LBB55_800:
	s_mov_b64 s[30:31], -1
                                        ; implicit-def: $vgpr4
.LBB55_801:
	s_mov_b64 s[38:39], 0
.LBB55_802:
	s_and_b64 vcc, exec, s[38:39]
	s_cbranch_vccz .LBB55_820
; %bb.803:
	s_cmp_lt_i32 s43, 27
	s_cbranch_scc1 .LBB55_806
; %bb.804:
	s_cmp_gt_i32 s43, 27
	s_cbranch_scc0 .LBB55_807
; %bb.805:
	global_load_dword v3, v[0:1], off
	s_mov_b64 s[36:37], 0
	s_waitcnt vmcnt(0)
	v_cvt_f32_u32_e32 v3, v3
	v_cvt_f16_f32_e32 v4, v3
	s_branch .LBB55_808
.LBB55_806:
	s_mov_b64 s[36:37], -1
                                        ; implicit-def: $vgpr4
	s_branch .LBB55_811
.LBB55_807:
	s_mov_b64 s[36:37], -1
                                        ; implicit-def: $vgpr4
.LBB55_808:
	s_andn2_b64 vcc, exec, s[36:37]
	s_cbranch_vccnz .LBB55_810
; %bb.809:
	global_load_ushort v3, v[0:1], off
	s_waitcnt vmcnt(0)
	v_cvt_f16_u16_e32 v4, v3
.LBB55_810:
	s_mov_b64 s[36:37], 0
.LBB55_811:
	s_andn2_b64 vcc, exec, s[36:37]
	s_cbranch_vccnz .LBB55_819
; %bb.812:
	global_load_ubyte v3, v[0:1], off
	s_movk_i32 s36, 0x7f
	s_waitcnt vmcnt(0)
	v_cmp_lt_i16_e32 vcc, s36, v3
	s_mov_b64 s[36:37], 0
	s_and_saveexec_b64 s[38:39], vcc
	s_xor_b64 s[38:39], exec, s[38:39]
	s_cbranch_execz .LBB55_833
; %bb.813:
	s_movk_i32 s36, 0x80
	v_cmp_eq_u16_e32 vcc, s36, v3
	s_mov_b64 s[36:37], -1
	s_and_saveexec_b64 s[40:41], vcc
; %bb.814:
	s_xor_b64 s[36:37], exec, -1
; %bb.815:
	s_or_b64 exec, exec, s[40:41]
	s_and_b64 s[36:37], s[36:37], exec
	s_or_saveexec_b64 s[38:39], s[38:39]
	v_mov_b32_e32 v4, 0x7e00
	s_xor_b64 exec, exec, s[38:39]
	s_cbranch_execnz .LBB55_834
.LBB55_816:
	s_or_b64 exec, exec, s[38:39]
	s_and_saveexec_b64 s[38:39], s[36:37]
	s_cbranch_execz .LBB55_818
.LBB55_817:
	v_lshlrev_b32_e32 v4, 24, v3
	v_and_b32_e32 v3, 0xffff, v3
	v_and_b32_e32 v5, 7, v3
	v_ffbh_u32_e32 v7, v5
	v_min_u32_e32 v7, 32, v7
	v_subrev_u32_e32 v8, 28, v7
	v_bfe_u32 v6, v3, 3, 4
	v_lshlrev_b32_e32 v3, v8, v3
	v_sub_u32_e32 v7, 29, v7
	v_and_b32_e32 v3, 7, v3
	v_cmp_eq_u32_e32 vcc, 0, v6
	v_cndmask_b32_e32 v6, v6, v7, vcc
	v_cndmask_b32_e32 v3, v5, v3, vcc
	v_mov_b32_e32 v5, 0x3b800000
	v_lshlrev_b32_e32 v3, 20, v3
	v_and_b32_e32 v4, 0x80000000, v4
	v_lshl_add_u32 v5, v6, 23, v5
	v_or3_b32 v3, v4, v5, v3
	v_cvt_f16_f32_e32 v4, v3
.LBB55_818:
	s_or_b64 exec, exec, s[38:39]
.LBB55_819:
	s_mov_b64 s[36:37], -1
.LBB55_820:
	s_mov_b64 s[38:39], 0
.LBB55_821:
	s_and_b64 vcc, exec, s[38:39]
	s_cbranch_vccz .LBB55_854
; %bb.822:
	s_cmp_gt_i32 s43, 22
	s_cbranch_scc0 .LBB55_832
; %bb.823:
	s_cmp_lt_i32 s43, 24
	s_cbranch_scc1 .LBB55_835
; %bb.824:
	s_cmp_gt_i32 s43, 24
	s_cbranch_scc0 .LBB55_836
; %bb.825:
	global_load_ubyte v3, v[0:1], off
	s_movk_i32 s34, 0x7f
	s_waitcnt vmcnt(0)
	v_cmp_lt_i16_e32 vcc, s34, v3
	s_mov_b64 s[34:35], 0
	s_and_saveexec_b64 s[36:37], vcc
	s_xor_b64 s[36:37], exec, s[36:37]
	s_cbranch_execz .LBB55_848
; %bb.826:
	s_movk_i32 s34, 0x80
	v_cmp_eq_u16_e32 vcc, s34, v3
	s_mov_b64 s[34:35], -1
	s_and_saveexec_b64 s[38:39], vcc
; %bb.827:
	s_xor_b64 s[34:35], exec, -1
; %bb.828:
	s_or_b64 exec, exec, s[38:39]
	s_and_b64 s[34:35], s[34:35], exec
	s_or_saveexec_b64 s[36:37], s[36:37]
	v_mov_b32_e32 v4, 0x7e00
	s_xor_b64 exec, exec, s[36:37]
	s_cbranch_execnz .LBB55_849
.LBB55_829:
	s_or_b64 exec, exec, s[36:37]
	s_and_saveexec_b64 s[36:37], s[34:35]
	s_cbranch_execz .LBB55_831
.LBB55_830:
	v_lshlrev_b32_e32 v4, 24, v3
	v_and_b32_e32 v3, 0xffff, v3
	v_and_b32_e32 v5, 3, v3
	v_ffbh_u32_e32 v7, v5
	v_min_u32_e32 v7, 32, v7
	v_subrev_u32_e32 v8, 29, v7
	v_bfe_u32 v6, v3, 2, 5
	v_lshlrev_b32_e32 v3, v8, v3
	v_sub_u32_e32 v7, 30, v7
	v_and_b32_e32 v3, 3, v3
	v_cmp_eq_u32_e32 vcc, 0, v6
	v_cndmask_b32_e32 v6, v6, v7, vcc
	v_cndmask_b32_e32 v3, v5, v3, vcc
	v_mov_b32_e32 v5, 0x37800000
	v_lshlrev_b32_e32 v3, 21, v3
	v_and_b32_e32 v4, 0x80000000, v4
	v_lshl_add_u32 v5, v6, 23, v5
	v_or3_b32 v3, v4, v5, v3
	v_cvt_f16_f32_e32 v4, v3
.LBB55_831:
	s_or_b64 exec, exec, s[36:37]
	s_mov_b64 s[34:35], 0
	s_branch .LBB55_837
.LBB55_832:
	s_mov_b64 s[34:35], -1
                                        ; implicit-def: $vgpr4
	s_branch .LBB55_843
.LBB55_833:
	s_or_saveexec_b64 s[38:39], s[38:39]
	v_mov_b32_e32 v4, 0x7e00
	s_xor_b64 exec, exec, s[38:39]
	s_cbranch_execz .LBB55_816
.LBB55_834:
	v_cmp_ne_u16_e32 vcc, 0, v3
	s_andn2_b64 s[36:37], s[36:37], exec
	s_and_b64 s[40:41], vcc, exec
	s_or_b64 s[36:37], s[36:37], s[40:41]
	v_mov_b32_e32 v4, v3
	s_or_b64 exec, exec, s[38:39]
	s_and_saveexec_b64 s[38:39], s[36:37]
	s_cbranch_execnz .LBB55_817
	s_branch .LBB55_818
.LBB55_835:
	s_mov_b64 s[34:35], -1
                                        ; implicit-def: $vgpr4
	s_branch .LBB55_840
.LBB55_836:
	s_mov_b64 s[34:35], -1
                                        ; implicit-def: $vgpr4
.LBB55_837:
	s_and_b64 vcc, exec, s[34:35]
	s_cbranch_vccz .LBB55_839
; %bb.838:
	global_load_ubyte v3, v[0:1], off
	s_mov_b32 s34, 0x7f800000
	s_waitcnt vmcnt(0)
	v_lshlrev_b32_e32 v3, 24, v3
	v_and_b32_e32 v4, 0x7f000000, v3
	v_ffbh_u32_e32 v5, v4
	v_min_u32_e32 v5, 32, v5
	v_sub_u32_e64 v5, v5, 4 clamp
	v_lshlrev_b32_e32 v7, v5, v4
	v_lshlrev_b32_e32 v5, 23, v5
	v_lshrrev_b32_e32 v7, 4, v7
	v_add_u32_e32 v6, 0x1000000, v4
	v_sub_u32_e32 v5, v7, v5
	v_ashrrev_i32_e32 v6, 8, v6
	v_add_u32_e32 v5, 0x3c000000, v5
	v_and_or_b32 v5, v6, s34, v5
	v_cmp_ne_u32_e32 vcc, 0, v4
	v_cndmask_b32_e32 v4, 0, v5, vcc
	s_brev_b32 s34, 1
	v_and_or_b32 v3, v3, s34, v4
	v_cvt_f16_f32_e32 v4, v3
.LBB55_839:
	s_mov_b64 s[34:35], 0
.LBB55_840:
	s_andn2_b64 vcc, exec, s[34:35]
	s_cbranch_vccnz .LBB55_842
; %bb.841:
	global_load_ubyte v3, v[0:1], off
	s_movk_i32 s34, 0x7f00
	s_brev_b32 s35, 16
	s_waitcnt vmcnt(0)
	v_lshlrev_b16_e32 v4, 8, v3
	v_lshlrev_b32_e32 v3, 25, v3
	v_lshrrev_b32_e32 v5, 4, v3
	v_and_or_b32 v6, v4, s34, 0.5
	v_or_b32_e32 v5, 0x70000000, v5
	v_add_f32_e32 v6, -0.5, v6
	v_mul_f32_e32 v5, 0x7800000, v5
	v_cmp_gt_u32_e32 vcc, s35, v3
	v_bfe_i32 v4, v4, 0, 16
	v_cndmask_b32_e32 v3, v5, v6, vcc
	s_brev_b32 s34, 1
	v_and_or_b32 v3, v4, s34, v3
	v_cvt_f16_f32_e32 v4, v3
.LBB55_842:
	s_mov_b64 s[34:35], 0
	s_mov_b64 s[36:37], -1
.LBB55_843:
	s_andn2_b64 vcc, exec, s[34:35]
	s_mov_b64 s[34:35], 0
	s_cbranch_vccnz .LBB55_854
; %bb.844:
	s_cmp_gt_i32 s43, 14
	s_cbranch_scc0 .LBB55_847
; %bb.845:
	s_cmp_eq_u32 s43, 15
	s_cbranch_scc0 .LBB55_850
; %bb.846:
	global_load_ushort v3, v[0:1], off
	s_mov_b64 s[30:31], 0
	s_mov_b64 s[36:37], -1
	s_waitcnt vmcnt(0)
	v_lshlrev_b32_e32 v3, 16, v3
	v_cvt_f16_f32_e32 v4, v3
	s_branch .LBB55_851
.LBB55_847:
	s_mov_b64 s[38:39], -1
                                        ; implicit-def: $vgpr4
	s_branch .LBB55_852
.LBB55_848:
	s_or_saveexec_b64 s[36:37], s[36:37]
	v_mov_b32_e32 v4, 0x7e00
	s_xor_b64 exec, exec, s[36:37]
	s_cbranch_execz .LBB55_829
.LBB55_849:
	v_cmp_ne_u16_e32 vcc, 0, v3
	s_andn2_b64 s[34:35], s[34:35], exec
	s_and_b64 s[38:39], vcc, exec
	s_or_b64 s[34:35], s[34:35], s[38:39]
	v_mov_b32_e32 v4, v3
	s_or_b64 exec, exec, s[36:37]
	s_and_saveexec_b64 s[36:37], s[34:35]
	s_cbranch_execnz .LBB55_830
	s_branch .LBB55_831
.LBB55_850:
	s_mov_b64 s[30:31], -1
                                        ; implicit-def: $vgpr4
.LBB55_851:
	s_mov_b64 s[38:39], 0
.LBB55_852:
	s_and_b64 vcc, exec, s[38:39]
	s_cbranch_vccz .LBB55_854
; %bb.853:
	s_cmp_lg_u32 s43, 11
	s_cselect_b64 s[38:39], -1, 0
	s_andn2_b64 s[30:31], s[30:31], exec
	s_and_b64 s[38:39], s[38:39], exec
	s_mov_b64 s[34:35], -1
	s_or_b64 s[30:31], s[30:31], s[38:39]
.LBB55_854:
	s_mov_b64 s[38:39], 0
.LBB55_855:
	s_and_b64 s[40:41], s[38:39], exec
	s_andn2_b64 s[38:39], s[0:1], exec
	s_and_b64 s[30:31], s[30:31], exec
	s_and_b64 s[36:37], s[36:37], exec
	;; [unrolled: 1-line block ×3, first 2 shown]
	s_or_b64 s[38:39], s[38:39], s[30:31]
.LBB55_856:
	s_or_b64 exec, exec, s[26:27]
	s_and_b64 s[30:31], s[34:35], exec
	s_andn2_b64 s[0:1], s[0:1], exec
	s_and_b64 s[34:35], s[38:39], exec
	s_and_b64 s[36:37], s[36:37], exec
	s_and_b64 s[26:27], s[40:41], exec
	s_or_b64 s[0:1], s[0:1], s[34:35]
.LBB55_857:
	s_or_b64 exec, exec, s[24:25]
	s_andn2_b64 s[20:21], s[20:21], exec
	s_and_b64 s[24:25], s[28:29], exec
	s_andn2_b64 s[18:19], s[18:19], exec
	s_and_b64 s[0:1], s[0:1], exec
	s_or_b64 s[20:21], s[20:21], s[24:25]
	s_and_b64 s[28:29], s[36:37], exec
	s_and_b64 s[26:27], s[26:27], exec
	;; [unrolled: 1-line block ×3, first 2 shown]
	s_or_b64 s[18:19], s[18:19], s[0:1]
.LBB55_858:
	s_or_b64 exec, exec, s[22:23]
	s_andn2_b64 s[0:1], s[6:7], exec
	s_and_b64 s[6:7], s[20:21], exec
	s_andn2_b64 s[14:15], s[14:15], exec
	s_and_b64 s[18:19], s[18:19], exec
	s_or_b64 s[6:7], s[0:1], s[6:7]
	s_and_b64 s[0:1], s[28:29], exec
	s_and_b64 s[22:23], s[26:27], exec
	;; [unrolled: 1-line block ×3, first 2 shown]
	s_or_b64 s[14:15], s[14:15], s[18:19]
	s_or_b64 exec, exec, s[16:17]
	s_mov_b64 s[16:17], 0
	s_and_saveexec_b64 s[18:19], s[14:15]
	s_cbranch_execz .LBB55_262
.LBB55_859:
	s_mov_b64 s[16:17], exec
	s_andn2_b64 s[20:21], s[20:21], exec
	s_trap 2
	s_or_b64 exec, exec, s[18:19]
	s_and_saveexec_b64 s[14:15], s[20:21]
	s_xor_b64 s[14:15], exec, s[14:15]
	s_cbranch_execnz .LBB55_263
.LBB55_860:
	s_or_b64 exec, exec, s[14:15]
	s_and_saveexec_b64 s[14:15], s[22:23]
	s_cbranch_execz .LBB55_906
.LBB55_861:
	s_sext_i32_i16 s18, s42
	s_cmp_lt_i32 s18, 5
	s_cbranch_scc1 .LBB55_866
; %bb.862:
	s_cmp_lt_i32 s18, 8
	s_cbranch_scc1 .LBB55_867
; %bb.863:
	;; [unrolled: 3-line block ×3, first 2 shown]
	s_cmp_gt_i32 s18, 9
	s_cbranch_scc0 .LBB55_869
; %bb.865:
	global_load_dwordx2 v[3:4], v[0:1], off
	s_movk_i32 s18, 0x1ff
	s_movk_i32 s19, 0xffe
	v_mov_b32_e32 v5, 0x7c00
	v_mov_b32_e32 v6, 0x7e00
	s_movk_i32 s20, 0x40f
	s_mov_b32 s21, 0x8000
	s_waitcnt vmcnt(0)
	v_and_or_b32 v3, v4, s18, v3
	v_cmp_ne_u32_e32 vcc, 0, v3
	v_lshrrev_b32_e32 v7, 8, v4
	v_bfe_u32 v8, v4, 20, 11
	v_cndmask_b32_e64 v3, 0, 1, vcc
	v_sub_u32_e32 v9, 0x3f1, v8
	v_and_or_b32 v3, v7, s19, v3
	v_add_u32_e32 v8, 0xfffffc10, v8
	v_med3_i32 v7, v9, 0, 13
	v_or_b32_e32 v9, 0x1000, v3
	v_cmp_ne_u32_e32 vcc, 0, v3
	v_lshl_or_b32 v10, v8, 12, v3
	v_cndmask_b32_e32 v3, v5, v6, vcc
	v_lshrrev_b32_e32 v6, v7, v9
	v_lshlrev_b32_e32 v7, v7, v6
	v_cmp_ne_u32_e32 vcc, v7, v9
	v_cndmask_b32_e64 v7, 0, 1, vcc
	v_or_b32_e32 v6, v6, v7
	v_cmp_gt_i32_e32 vcc, 1, v8
	v_cndmask_b32_e32 v6, v10, v6, vcc
	v_and_b32_e32 v7, 7, v6
	v_cmp_lt_i32_e32 vcc, 5, v7
	v_cndmask_b32_e64 v9, 0, 1, vcc
	v_cmp_eq_u32_e32 vcc, 3, v7
	v_cndmask_b32_e64 v7, 0, 1, vcc
	v_lshrrev_b32_e32 v6, 2, v6
	v_or_b32_e32 v7, v7, v9
	v_add_u32_e32 v6, v6, v7
	v_cmp_gt_i32_e32 vcc, 31, v8
	v_cndmask_b32_e32 v5, v5, v6, vcc
	v_cmp_eq_u32_e32 vcc, s20, v8
	v_lshrrev_b32_e32 v4, 16, v4
	v_cndmask_b32_e32 v3, v5, v3, vcc
	v_and_or_b32 v4, v4, s21, v3
	s_mov_b64 s[18:19], 0
	s_branch .LBB55_870
.LBB55_866:
                                        ; implicit-def: $vgpr4
	s_branch .LBB55_887
.LBB55_867:
                                        ; implicit-def: $vgpr4
	s_branch .LBB55_876
.LBB55_868:
	s_mov_b64 s[18:19], -1
                                        ; implicit-def: $vgpr4
	s_branch .LBB55_873
.LBB55_869:
	s_mov_b64 s[18:19], -1
                                        ; implicit-def: $vgpr4
.LBB55_870:
	s_andn2_b64 vcc, exec, s[18:19]
	s_cbranch_vccnz .LBB55_872
; %bb.871:
	global_load_dword v3, v[0:1], off
	s_waitcnt vmcnt(0)
	v_cvt_f16_f32_e32 v4, v3
.LBB55_872:
	s_mov_b64 s[18:19], 0
.LBB55_873:
	s_andn2_b64 vcc, exec, s[18:19]
	s_cbranch_vccnz .LBB55_875
; %bb.874:
	global_load_dword v4, v[0:1], off
.LBB55_875:
	s_cbranch_execnz .LBB55_886
.LBB55_876:
	s_sext_i32_i16 s18, s42
	s_cmp_lt_i32 s18, 6
	s_cbranch_scc1 .LBB55_879
; %bb.877:
	s_cmp_gt_i32 s18, 6
	s_cbranch_scc0 .LBB55_880
; %bb.878:
	global_load_dwordx2 v[3:4], v[0:1], off
	s_movk_i32 s18, 0x1ff
	s_movk_i32 s19, 0xffe
	v_mov_b32_e32 v5, 0x7c00
	v_mov_b32_e32 v6, 0x7e00
	s_movk_i32 s20, 0x40f
	s_mov_b32 s21, 0x8000
	s_waitcnt vmcnt(0)
	v_and_or_b32 v3, v4, s18, v3
	v_cmp_ne_u32_e32 vcc, 0, v3
	v_lshrrev_b32_e32 v7, 8, v4
	v_bfe_u32 v8, v4, 20, 11
	v_cndmask_b32_e64 v3, 0, 1, vcc
	v_sub_u32_e32 v9, 0x3f1, v8
	v_and_or_b32 v3, v7, s19, v3
	v_add_u32_e32 v8, 0xfffffc10, v8
	v_med3_i32 v7, v9, 0, 13
	v_or_b32_e32 v9, 0x1000, v3
	v_cmp_ne_u32_e32 vcc, 0, v3
	v_lshl_or_b32 v10, v8, 12, v3
	v_cndmask_b32_e32 v3, v5, v6, vcc
	v_lshrrev_b32_e32 v6, v7, v9
	v_lshlrev_b32_e32 v7, v7, v6
	v_cmp_ne_u32_e32 vcc, v7, v9
	v_cndmask_b32_e64 v7, 0, 1, vcc
	v_or_b32_e32 v6, v6, v7
	v_cmp_gt_i32_e32 vcc, 1, v8
	v_cndmask_b32_e32 v6, v10, v6, vcc
	v_and_b32_e32 v7, 7, v6
	v_cmp_lt_i32_e32 vcc, 5, v7
	v_cndmask_b32_e64 v9, 0, 1, vcc
	v_cmp_eq_u32_e32 vcc, 3, v7
	v_cndmask_b32_e64 v7, 0, 1, vcc
	v_lshrrev_b32_e32 v6, 2, v6
	v_or_b32_e32 v7, v7, v9
	v_add_u32_e32 v6, v6, v7
	v_cmp_gt_i32_e32 vcc, 31, v8
	v_cndmask_b32_e32 v5, v5, v6, vcc
	v_cmp_eq_u32_e32 vcc, s20, v8
	v_lshrrev_b32_e32 v4, 16, v4
	v_cndmask_b32_e32 v3, v5, v3, vcc
	v_and_or_b32 v4, v4, s21, v3
	s_mov_b64 s[18:19], 0
	s_branch .LBB55_881
.LBB55_879:
	s_mov_b64 s[18:19], -1
                                        ; implicit-def: $vgpr4
	s_branch .LBB55_884
.LBB55_880:
	s_mov_b64 s[18:19], -1
                                        ; implicit-def: $vgpr4
.LBB55_881:
	s_andn2_b64 vcc, exec, s[18:19]
	s_cbranch_vccnz .LBB55_883
; %bb.882:
	global_load_dword v3, v[0:1], off
	s_waitcnt vmcnt(0)
	v_cvt_f16_f32_e32 v4, v3
.LBB55_883:
	s_mov_b64 s[18:19], 0
.LBB55_884:
	s_andn2_b64 vcc, exec, s[18:19]
	s_cbranch_vccnz .LBB55_886
; %bb.885:
	global_load_ushort v4, v[0:1], off
.LBB55_886:
	s_cbranch_execnz .LBB55_905
.LBB55_887:
	s_sext_i32_i16 s18, s42
	s_cmp_lt_i32 s18, 2
	s_cbranch_scc1 .LBB55_891
; %bb.888:
	s_cmp_lt_i32 s18, 3
	s_cbranch_scc1 .LBB55_892
; %bb.889:
	s_cmp_gt_i32 s18, 3
	s_cbranch_scc0 .LBB55_893
; %bb.890:
	global_load_dwordx2 v[3:4], v[0:1], off
	s_mov_b64 s[18:19], 0
	s_waitcnt vmcnt(0)
	v_xor_b32_e32 v6, v3, v4
	v_ffbh_i32_e32 v5, v4
	v_ashrrev_i32_e32 v6, 31, v6
	v_add_u32_e32 v5, -1, v5
	v_add_u32_e32 v6, 32, v6
	v_min_u32_e32 v5, v5, v6
	v_lshlrev_b64 v[3:4], v5, v[3:4]
	v_min_u32_e32 v3, 1, v3
	v_or_b32_e32 v3, v4, v3
	v_cvt_f32_i32_e32 v3, v3
	v_sub_u32_e32 v4, 32, v5
	v_ldexp_f32 v3, v3, v4
	v_cvt_f16_f32_e32 v4, v3
	s_branch .LBB55_894
.LBB55_891:
                                        ; implicit-def: $vgpr4
	s_branch .LBB55_900
.LBB55_892:
	s_mov_b64 s[18:19], -1
                                        ; implicit-def: $vgpr4
	s_branch .LBB55_897
.LBB55_893:
	s_mov_b64 s[18:19], -1
                                        ; implicit-def: $vgpr4
.LBB55_894:
	s_andn2_b64 vcc, exec, s[18:19]
	s_cbranch_vccnz .LBB55_896
; %bb.895:
	global_load_dword v3, v[0:1], off
	s_waitcnt vmcnt(0)
	v_cvt_f32_i32_e32 v3, v3
	v_cvt_f16_f32_e32 v4, v3
.LBB55_896:
	s_mov_b64 s[18:19], 0
.LBB55_897:
	s_andn2_b64 vcc, exec, s[18:19]
	s_cbranch_vccnz .LBB55_899
; %bb.898:
	global_load_ushort v3, v[0:1], off
	s_waitcnt vmcnt(0)
	v_cvt_f16_i16_e32 v4, v3
.LBB55_899:
	s_cbranch_execnz .LBB55_905
.LBB55_900:
	s_sext_i32_i16 s18, s42
	s_cmp_gt_i32 s18, 0
	s_cbranch_scc0 .LBB55_902
; %bb.901:
	global_load_sbyte v3, v[0:1], off
	s_mov_b64 s[18:19], 0
	s_waitcnt vmcnt(0)
	v_cvt_f16_i16_e32 v4, v3
	s_branch .LBB55_903
.LBB55_902:
	s_mov_b64 s[18:19], -1
                                        ; implicit-def: $vgpr4
.LBB55_903:
	s_andn2_b64 vcc, exec, s[18:19]
	s_cbranch_vccnz .LBB55_905
; %bb.904:
	global_load_ubyte v0, v[0:1], off
	s_waitcnt vmcnt(0)
	v_cvt_f16_u16_e32 v4, v0
.LBB55_905:
	s_or_b64 s[0:1], s[0:1], exec
.LBB55_906:
	s_or_b64 exec, exec, s[14:15]
	s_mov_b64 s[20:21], 0
	s_mov_b64 s[18:19], 0
                                        ; implicit-def: $sgpr26
                                        ; implicit-def: $vgpr0_vgpr1
                                        ; implicit-def: $vgpr3
	s_and_saveexec_b64 s[14:15], s[0:1]
	s_cbranch_execz .LBB55_924
; %bb.907:
	s_waitcnt vmcnt(0)
	v_cvt_f32_f16_e32 v0, v4
	s_mov_b32 s0, -0.5
	v_mov_b32_e32 v1, 0.5
	v_fma_mix_f32 v1, |v4|, s0, v1 op_sel_hi:[1,0,0]
	v_mul_f32_e32 v3, v0, v0
	v_cmp_ge_f32_e64 vcc, |v0|, 0.5
	v_cndmask_b32_e32 v1, v3, v1, vcc
	v_mov_b32_e32 v3, 0x3c5fc5da
	v_fmac_f32_e32 v3, 0x3d1c21a7, v1
	v_mov_b32_e32 v5, 0x3d034c3c
	v_fmac_f32_e32 v5, v1, v3
	;; [unrolled: 2-line block ×4, first 2 shown]
	v_sqrt_f32_e32 v3, v1
	v_mov_b32_e32 v6, 0x3e2aaaac
	v_fmac_f32_e32 v6, v1, v5
	v_mul_f32_e32 v1, v1, v6
	v_fmac_f32_e32 v3, v3, v1
	v_add_f32_e32 v3, v3, v3
	v_sub_f32_e32 v3, 0x3fc90fdb, v3
	v_fma_mix_f32 v1, |v4|, v1, |v4| op_sel_hi:[1,0,1]
	v_cmp_lt_f32_e64 vcc, |v0|, 0.5
	v_cndmask_b32_e32 v0, v3, v1, vcc
	v_cvt_f16_f32_e32 v0, v0
	v_mul_lo_u32 v1, v2, s2
	s_movk_i32 s0, 0x7fff
	s_and_b32 s26, s33, 0xff
	v_bfi_b32 v3, s0, v0, v4
	v_ashrrev_i32_e32 v2, 31, v1
	v_mov_b32_e32 v4, s9
	v_add_co_u32_e32 v0, vcc, s8, v1
	s_cmp_lt_i32 s26, 11
	v_addc_co_u32_e32 v1, vcc, v4, v2, vcc
	s_cbranch_scc1 .LBB55_927
; %bb.908:
	s_and_b32 s27, 0xffff, s26
	s_mov_b64 s[20:21], -1
	s_cmp_gt_i32 s27, 25
	s_mov_b64 s[0:1], s[6:7]
	s_cbranch_scc0 .LBB55_945
; %bb.909:
	s_mov_b64 s[18:19], -1
	s_cmp_gt_i32 s27, 28
	s_mov_b64 s[0:1], s[6:7]
	s_cbranch_scc0 .LBB55_929
; %bb.910:
	s_cmp_gt_i32 s27, 43
	s_mov_b64 s[0:1], s[6:7]
	s_cbranch_scc0 .LBB55_921
; %bb.911:
	;; [unrolled: 4-line block ×3, first 2 shown]
	s_cmp_eq_u32 s27, 46
	s_mov_b64 s[0:1], -1
	s_cbranch_scc0 .LBB55_914
; %bb.913:
	v_cvt_f32_f16_e32 v2, v3
	s_movk_i32 s0, 0x7fff
	v_cmp_o_f16_e32 vcc, v3, v3
	v_mov_b32_e32 v4, 0x7fc0
	v_bfe_u32 v5, v2, 16, 1
	v_add3_u32 v2, v2, v5, s0
	v_cndmask_b32_sdwa v2, v4, v2, vcc dst_sel:DWORD dst_unused:UNUSED_PAD src0_sel:DWORD src1_sel:WORD_1
	global_store_dword v[0:1], v2, off
	s_mov_b64 s[0:1], 0
.LBB55_914:
	s_mov_b64 s[18:19], 0
.LBB55_915:
	s_and_b64 vcc, exec, s[18:19]
	s_cbranch_vccz .LBB55_920
; %bb.916:
	s_cmp_eq_u32 s27, 44
	s_mov_b64 s[0:1], -1
	s_cbranch_scc0 .LBB55_920
; %bb.917:
	v_cvt_f32_f16_e32 v2, v3
	s_movk_i32 s0, 0xff
	v_mov_b32_e32 v5, 0xff
	v_bfe_u32 v4, v2, 23, 8
	v_cmp_ne_u32_e32 vcc, s0, v4
	s_and_saveexec_b64 s[18:19], vcc
; %bb.918:
	s_mov_b32 s0, 0x3fffff
	v_lshrrev_b32_e32 v5, 23, v2
	v_and_b32_e32 v6, 0x400000, v2
	v_and_or_b32 v2, v2, s0, v4
	v_cmp_ne_u32_e32 vcc, 0, v6
	v_cmp_ne_u32_e64 s[0:1], 0, v2
	s_and_b64 s[0:1], vcc, s[0:1]
	v_cndmask_b32_e64 v2, 0, 1, s[0:1]
	v_add_u32_e32 v5, v5, v2
; %bb.919:
	s_or_b64 exec, exec, s[18:19]
	s_mov_b64 s[0:1], 0
	global_store_byte v[0:1], v5, off
.LBB55_920:
	s_mov_b64 s[18:19], 0
.LBB55_921:
	s_and_b64 vcc, exec, s[18:19]
	s_cbranch_vccz .LBB55_928
; %bb.922:
	s_cmp_eq_u32 s27, 29
	s_mov_b64 s[0:1], -1
	s_cbranch_scc0 .LBB55_928
; %bb.923:
	v_cvt_f32_f16_e32 v2, v3
	v_mov_b32_e32 v5, 0
	s_mov_b64 s[0:1], 0
	s_mov_b64 s[18:19], 0
	v_cvt_u32_f32_e32 v4, v2
	global_store_dwordx2 v[0:1], v[4:5], off
	s_branch .LBB55_929
.LBB55_924:
	s_or_b64 exec, exec, s[14:15]
	s_and_saveexec_b64 s[0:1], s[6:7]
	s_cbranch_execnz .LBB55_987
.LBB55_925:
	s_or_b64 exec, exec, s[0:1]
	s_and_saveexec_b64 s[0:1], s[20:21]
	s_xor_b64 s[0:1], exec, s[0:1]
	s_cbranch_execz .LBB55_988
.LBB55_926:
	s_waitcnt vmcnt(0)
	v_cmp_neq_f16_e32 vcc, 0, v3
	v_cndmask_b32_e64 v2, 0, 1, vcc
	global_store_byte v[0:1], v2, off
	s_or_b64 exec, exec, s[0:1]
	s_and_saveexec_b64 s[0:1], s[18:19]
	s_xor_b64 s[0:1], exec, s[0:1]
	s_cbranch_execz .LBB55_1026
	s_branch .LBB55_989
.LBB55_927:
	s_mov_b64 s[18:19], -1
	s_mov_b64 s[0:1], s[6:7]
	s_branch .LBB55_986
.LBB55_928:
	s_mov_b64 s[18:19], 0
.LBB55_929:
	s_and_b64 vcc, exec, s[18:19]
	s_cbranch_vccz .LBB55_944
; %bb.930:
	s_cmp_lt_i32 s27, 27
	s_mov_b64 s[18:19], -1
	s_cbranch_scc1 .LBB55_936
; %bb.931:
	s_cmp_gt_i32 s27, 27
	s_cbranch_scc0 .LBB55_933
; %bb.932:
	v_cvt_f32_f16_e32 v2, v3
	s_mov_b64 s[18:19], 0
	v_cvt_u32_f32_e32 v2, v2
	global_store_dword v[0:1], v2, off
.LBB55_933:
	s_andn2_b64 vcc, exec, s[18:19]
	s_cbranch_vccnz .LBB55_935
; %bb.934:
	v_cvt_u16_f16_e32 v2, v3
	global_store_short v[0:1], v2, off
.LBB55_935:
	s_mov_b64 s[18:19], 0
.LBB55_936:
	s_andn2_b64 vcc, exec, s[18:19]
	s_cbranch_vccnz .LBB55_944
; %bb.937:
	v_cvt_f32_f16_e32 v2, v3
	s_mov_b32 s18, 0x43800000
	v_mov_b32_e32 v5, 0x80
	v_and_b32_e32 v4, 0x7fffffff, v2
	v_cmp_gt_u32_e32 vcc, s18, v4
	s_and_saveexec_b64 s[18:19], vcc
	s_cbranch_execz .LBB55_943
; %bb.938:
	s_mov_b32 s20, 0x3bffffff
	v_cmp_lt_u32_e32 vcc, s20, v4
	s_mov_b64 s[20:21], 0
                                        ; implicit-def: $vgpr4
	s_and_saveexec_b64 s[22:23], vcc
	s_xor_b64 s[22:23], exec, s[22:23]
	s_cbranch_execz .LBB55_1041
; %bb.939:
	v_bfe_u32 v4, v2, 20, 1
	s_mov_b32 s24, 0x487ffff
	v_add3_u32 v4, v2, v4, s24
	s_mov_b64 s[20:21], exec
	v_lshrrev_b32_e32 v4, 20, v4
	s_andn2_saveexec_b64 s[22:23], s[22:23]
	s_cbranch_execnz .LBB55_1042
.LBB55_940:
	s_or_b64 exec, exec, s[22:23]
	v_mov_b32_e32 v5, 0
	s_and_saveexec_b64 s[22:23], s[20:21]
.LBB55_941:
	v_lshrrev_b32_e32 v2, 24, v2
	s_movk_i32 s20, 0x80
	v_and_or_b32 v5, v2, s20, v4
.LBB55_942:
	s_or_b64 exec, exec, s[22:23]
.LBB55_943:
	s_or_b64 exec, exec, s[18:19]
	global_store_byte v[0:1], v5, off
.LBB55_944:
	s_mov_b64 s[20:21], 0
.LBB55_945:
	s_mov_b64 s[18:19], 0
	s_and_b64 vcc, exec, s[20:21]
	s_cbranch_vccz .LBB55_985
; %bb.946:
	s_cmp_gt_i32 s27, 22
	s_mov_b64 s[20:21], -1
	s_cbranch_scc0 .LBB55_978
; %bb.947:
	s_cmp_lt_i32 s27, 24
	s_cbranch_scc1 .LBB55_967
; %bb.948:
	s_cmp_gt_i32 s27, 24
	s_cbranch_scc0 .LBB55_956
; %bb.949:
	v_cvt_f32_f16_e32 v2, v3
	s_mov_b32 s20, 0x47800000
	v_mov_b32_e32 v5, 0x80
	v_and_b32_e32 v4, 0x7fffffff, v2
	v_cmp_gt_u32_e32 vcc, s20, v4
	s_and_saveexec_b64 s[20:21], vcc
	s_cbranch_execz .LBB55_955
; %bb.950:
	s_mov_b32 s22, 0x37ffffff
	v_cmp_lt_u32_e32 vcc, s22, v4
	s_mov_b64 s[22:23], 0
                                        ; implicit-def: $vgpr4
	s_and_saveexec_b64 s[24:25], vcc
	s_xor_b64 s[24:25], exec, s[24:25]
	s_cbranch_execz .LBB55_1166
; %bb.951:
	v_bfe_u32 v4, v2, 21, 1
	s_mov_b32 s28, 0x88fffff
	v_add3_u32 v4, v2, v4, s28
	s_mov_b64 s[22:23], exec
	v_lshrrev_b32_e32 v4, 21, v4
	s_andn2_saveexec_b64 s[24:25], s[24:25]
	s_cbranch_execnz .LBB55_1167
.LBB55_952:
	s_or_b64 exec, exec, s[24:25]
	v_mov_b32_e32 v5, 0
	s_and_saveexec_b64 s[24:25], s[22:23]
.LBB55_953:
	v_lshrrev_b32_e32 v2, 24, v2
	s_movk_i32 s22, 0x80
	v_and_or_b32 v5, v2, s22, v4
.LBB55_954:
	s_or_b64 exec, exec, s[24:25]
.LBB55_955:
	s_or_b64 exec, exec, s[20:21]
	s_mov_b64 s[20:21], 0
	global_store_byte v[0:1], v5, off
.LBB55_956:
	s_and_b64 vcc, exec, s[20:21]
	s_cbranch_vccz .LBB55_966
; %bb.957:
	v_cvt_f32_f16_e32 v2, v3
	s_mov_b32 s20, 0x43f00000
                                        ; implicit-def: $vgpr4
	v_and_b32_e32 v5, 0x7fffffff, v2
	v_cmp_gt_u32_e32 vcc, s20, v5
	s_and_saveexec_b64 s[20:21], vcc
	s_xor_b64 s[20:21], exec, s[20:21]
	s_cbranch_execz .LBB55_963
; %bb.958:
	s_mov_b32 s22, 0x3c7fffff
	v_cmp_lt_u32_e32 vcc, s22, v5
                                        ; implicit-def: $vgpr4
	s_and_saveexec_b64 s[22:23], vcc
	s_xor_b64 s[22:23], exec, s[22:23]
; %bb.959:
	v_bfe_u32 v4, v2, 20, 1
	s_mov_b32 s24, 0x407ffff
	v_add3_u32 v4, v2, v4, s24
	v_lshrrev_b32_e32 v5, 20, v4
	v_and_b32_e32 v4, 0xff00000, v4
	s_mov_b32 s24, 0x7f00000
	v_mov_b32_e32 v6, 0x7e
	v_cmp_ne_u32_e32 vcc, s24, v4
	v_cndmask_b32_e32 v4, v6, v5, vcc
; %bb.960:
	s_andn2_saveexec_b64 s[22:23], s[22:23]
; %bb.961:
	s_mov_b32 s24, 0x46800000
	v_add_f32_e64 v4, |v2|, s24
; %bb.962:
	s_or_b64 exec, exec, s[22:23]
                                        ; implicit-def: $vgpr5
.LBB55_963:
	s_andn2_saveexec_b64 s[20:21], s[20:21]
; %bb.964:
	s_mov_b32 s22, 0x7f800000
	v_mov_b32_e32 v4, 0x7e
	v_mov_b32_e32 v6, 0x7f
	v_cmp_lt_u32_e32 vcc, s22, v5
	v_cndmask_b32_e32 v4, v4, v6, vcc
; %bb.965:
	s_or_b64 exec, exec, s[20:21]
	v_lshrrev_b32_e32 v2, 24, v2
	s_movk_i32 s20, 0x80
	v_and_or_b32 v2, v2, s20, v4
	global_store_byte v[0:1], v2, off
.LBB55_966:
	s_mov_b64 s[20:21], 0
.LBB55_967:
	s_andn2_b64 vcc, exec, s[20:21]
	s_cbranch_vccnz .LBB55_977
; %bb.968:
	v_cvt_f32_f16_e32 v2, v3
	s_mov_b32 s20, 0x47800000
                                        ; implicit-def: $vgpr4
	v_and_b32_e32 v5, 0x7fffffff, v2
	v_cmp_gt_u32_e32 vcc, s20, v5
	s_and_saveexec_b64 s[20:21], vcc
	s_xor_b64 s[20:21], exec, s[20:21]
	s_cbranch_execz .LBB55_974
; %bb.969:
	s_mov_b32 s22, 0x387fffff
	v_cmp_lt_u32_e32 vcc, s22, v5
                                        ; implicit-def: $vgpr4
	s_and_saveexec_b64 s[22:23], vcc
	s_xor_b64 s[22:23], exec, s[22:23]
; %bb.970:
	v_bfe_u32 v4, v2, 21, 1
	s_mov_b32 s24, 0x80fffff
	v_add3_u32 v4, v2, v4, s24
	v_lshrrev_b32_e32 v4, 21, v4
; %bb.971:
	s_andn2_saveexec_b64 s[22:23], s[22:23]
; %bb.972:
	s_mov_b32 s24, 0x43000000
	v_add_f32_e64 v4, |v2|, s24
; %bb.973:
	s_or_b64 exec, exec, s[22:23]
                                        ; implicit-def: $vgpr5
.LBB55_974:
	s_andn2_saveexec_b64 s[20:21], s[20:21]
; %bb.975:
	s_mov_b32 s22, 0x7f800000
	v_mov_b32_e32 v4, 0x7c
	v_mov_b32_e32 v6, 0x7f
	v_cmp_lt_u32_e32 vcc, s22, v5
	v_cndmask_b32_e32 v4, v4, v6, vcc
; %bb.976:
	s_or_b64 exec, exec, s[20:21]
	v_lshrrev_b32_e32 v2, 24, v2
	s_movk_i32 s20, 0x80
	v_and_or_b32 v2, v2, s20, v4
	global_store_byte v[0:1], v2, off
.LBB55_977:
	s_mov_b64 s[20:21], 0
.LBB55_978:
	s_andn2_b64 vcc, exec, s[20:21]
	s_mov_b64 s[20:21], 0
	s_cbranch_vccnz .LBB55_986
; %bb.979:
	s_cmp_gt_i32 s27, 14
	s_mov_b64 s[22:23], -1
	s_cbranch_scc0 .LBB55_983
; %bb.980:
	s_cmp_eq_u32 s27, 15
	s_mov_b64 s[0:1], -1
	s_cbranch_scc0 .LBB55_982
; %bb.981:
	v_cvt_f32_f16_e32 v2, v3
	s_movk_i32 s0, 0x7fff
	v_cmp_o_f16_e32 vcc, v3, v3
	v_mov_b32_e32 v4, 0x7fc0
	v_bfe_u32 v5, v2, 16, 1
	v_add3_u32 v2, v2, v5, s0
	v_cndmask_b32_sdwa v2, v4, v2, vcc dst_sel:DWORD dst_unused:UNUSED_PAD src0_sel:DWORD src1_sel:WORD_1
	global_store_short v[0:1], v2, off
	s_mov_b64 s[0:1], 0
.LBB55_982:
	s_mov_b64 s[22:23], 0
.LBB55_983:
	s_and_b64 vcc, exec, s[22:23]
	s_cbranch_vccz .LBB55_986
; %bb.984:
	s_cmp_lg_u32 s27, 11
	s_cselect_b64 s[22:23], -1, 0
	s_andn2_b64 s[0:1], s[0:1], exec
	s_and_b64 s[22:23], s[22:23], exec
	s_mov_b64 s[20:21], -1
	s_or_b64 s[0:1], s[0:1], s[22:23]
	s_branch .LBB55_986
.LBB55_985:
	s_mov_b64 s[20:21], 0
.LBB55_986:
	s_andn2_b64 s[6:7], s[6:7], exec
	s_and_b64 s[0:1], s[0:1], exec
	s_and_b64 s[18:19], s[18:19], exec
	;; [unrolled: 1-line block ×3, first 2 shown]
	s_or_b64 s[6:7], s[6:7], s[0:1]
	s_or_b64 exec, exec, s[14:15]
	s_and_saveexec_b64 s[0:1], s[6:7]
	s_cbranch_execz .LBB55_925
.LBB55_987:
	s_or_b64 s[16:17], s[16:17], exec
	s_andn2_b64 s[20:21], s[20:21], exec
	s_trap 2
	s_or_b64 exec, exec, s[0:1]
	s_and_saveexec_b64 s[0:1], s[20:21]
	s_xor_b64 s[0:1], exec, s[0:1]
	s_cbranch_execnz .LBB55_926
.LBB55_988:
	s_or_b64 exec, exec, s[0:1]
	s_and_saveexec_b64 s[0:1], s[18:19]
	s_xor_b64 s[0:1], exec, s[0:1]
	s_cbranch_execz .LBB55_1026
.LBB55_989:
	s_sext_i32_i16 s14, s26
	s_cmp_lt_i32 s14, 5
	s_mov_b64 s[6:7], -1
	s_cbranch_scc1 .LBB55_1010
; %bb.990:
	s_cmp_lt_i32 s14, 8
	s_cbranch_scc1 .LBB55_1000
; %bb.991:
	s_cmp_lt_i32 s14, 9
	s_cbranch_scc1 .LBB55_997
; %bb.992:
	s_cmp_gt_i32 s14, 9
	s_cbranch_scc0 .LBB55_994
; %bb.993:
	s_waitcnt vmcnt(0)
	v_cvt_f32_f16_e32 v2, v3
	v_mov_b32_e32 v6, 0
	v_mov_b32_e32 v7, v6
	s_mov_b64 s[6:7], 0
	v_cvt_f64_f32_e32 v[4:5], v2
	global_store_dwordx4 v[0:1], v[4:7], off
.LBB55_994:
	s_andn2_b64 vcc, exec, s[6:7]
	s_cbranch_vccnz .LBB55_996
; %bb.995:
	s_waitcnt vmcnt(0)
	v_cvt_f32_f16_e32 v4, v3
	v_mov_b32_e32 v5, 0
	global_store_dwordx2 v[0:1], v[4:5], off
.LBB55_996:
	s_mov_b64 s[6:7], 0
.LBB55_997:
	s_andn2_b64 vcc, exec, s[6:7]
	s_cbranch_vccnz .LBB55_999
; %bb.998:
	s_waitcnt vmcnt(0)
	v_and_b32_e32 v2, 0xffff, v3
	global_store_dword v[0:1], v2, off
.LBB55_999:
	s_mov_b64 s[6:7], 0
.LBB55_1000:
	s_andn2_b64 vcc, exec, s[6:7]
	s_cbranch_vccnz .LBB55_1009
; %bb.1001:
	s_sext_i32_i16 s14, s26
	s_cmp_lt_i32 s14, 6
	s_mov_b64 s[6:7], -1
	s_cbranch_scc1 .LBB55_1007
; %bb.1002:
	s_cmp_gt_i32 s14, 6
	s_cbranch_scc0 .LBB55_1004
; %bb.1003:
	s_waitcnt vmcnt(0)
	v_cvt_f32_f16_e32 v2, v3
	s_mov_b64 s[6:7], 0
	v_cvt_f64_f32_e32 v[4:5], v2
	global_store_dwordx2 v[0:1], v[4:5], off
.LBB55_1004:
	s_andn2_b64 vcc, exec, s[6:7]
	s_cbranch_vccnz .LBB55_1006
; %bb.1005:
	s_waitcnt vmcnt(0)
	v_cvt_f32_f16_e32 v2, v3
	global_store_dword v[0:1], v2, off
.LBB55_1006:
	s_mov_b64 s[6:7], 0
.LBB55_1007:
	s_andn2_b64 vcc, exec, s[6:7]
	s_cbranch_vccnz .LBB55_1009
; %bb.1008:
	s_waitcnt vmcnt(0)
	global_store_short v[0:1], v3, off
.LBB55_1009:
	s_mov_b64 s[6:7], 0
.LBB55_1010:
	s_andn2_b64 vcc, exec, s[6:7]
	s_cbranch_vccnz .LBB55_1026
; %bb.1011:
	s_sext_i32_i16 s14, s26
	s_cmp_lt_i32 s14, 2
	s_mov_b64 s[6:7], -1
	s_cbranch_scc1 .LBB55_1021
; %bb.1012:
	s_cmp_lt_i32 s14, 3
	s_cbranch_scc1 .LBB55_1018
; %bb.1013:
	s_cmp_gt_i32 s14, 3
	s_cbranch_scc0 .LBB55_1015
; %bb.1014:
	s_waitcnt vmcnt(0)
	v_cvt_f32_f16_e32 v2, v3
	s_mov_b64 s[6:7], 0
	v_cvt_i32_f32_e32 v4, v2
	v_ashrrev_i32_e32 v5, 31, v4
	global_store_dwordx2 v[0:1], v[4:5], off
.LBB55_1015:
	s_andn2_b64 vcc, exec, s[6:7]
	s_cbranch_vccnz .LBB55_1017
; %bb.1016:
	s_waitcnt vmcnt(0)
	v_cvt_f32_f16_e32 v2, v3
	v_cvt_i32_f32_e32 v2, v2
	global_store_dword v[0:1], v2, off
.LBB55_1017:
	s_mov_b64 s[6:7], 0
.LBB55_1018:
	s_andn2_b64 vcc, exec, s[6:7]
	s_cbranch_vccnz .LBB55_1020
; %bb.1019:
	s_waitcnt vmcnt(0)
	v_cvt_i16_f16_e32 v2, v3
	global_store_short v[0:1], v2, off
.LBB55_1020:
	s_mov_b64 s[6:7], 0
.LBB55_1021:
	s_andn2_b64 vcc, exec, s[6:7]
	s_cbranch_vccnz .LBB55_1026
; %bb.1022:
	s_sext_i32_i16 s6, s26
	s_cmp_gt_i32 s6, 0
	s_mov_b64 s[6:7], -1
	s_cbranch_scc0 .LBB55_1024
; %bb.1023:
	s_waitcnt vmcnt(0)
	v_cvt_i16_f16_e32 v2, v3
	s_mov_b64 s[6:7], 0
	global_store_byte v[0:1], v2, off
.LBB55_1024:
	s_andn2_b64 vcc, exec, s[6:7]
	s_cbranch_vccnz .LBB55_1026
; %bb.1025:
	s_waitcnt vmcnt(0)
	v_cvt_f32_f16_e32 v2, v3
	v_cvt_i32_f32_e32 v2, v2
	global_store_byte v[0:1], v2, off
.LBB55_1026:
	s_or_b64 exec, exec, s[0:1]
	s_and_b64 s[6:7], s[16:17], exec
                                        ; implicit-def: $vgpr2
.LBB55_1027:
	s_or_saveexec_b64 s[4:5], s[4:5]
	s_mov_b64 s[0:1], 0
                                        ; implicit-def: $sgpr20
                                        ; implicit-def: $vgpr0_vgpr1
                                        ; implicit-def: $vgpr3
	s_xor_b64 exec, exec, s[4:5]
	s_cbranch_execz .LBB55_1975
; %bb.1028:
	s_waitcnt vmcnt(0)
	v_mul_lo_u32 v4, s3, v2
	v_mov_b32_e32 v1, s11
	s_and_b32 s22, 0xffff, s42
	s_cmp_lt_i32 s22, 11
	v_ashrrev_i32_e32 v3, 31, v4
	v_add_co_u32_e32 v0, vcc, s10, v4
	v_addc_co_u32_e32 v1, vcc, v1, v3, vcc
	s_cbranch_scc1 .LBB55_1035
; %bb.1029:
	s_cmp_gt_i32 s22, 25
	s_cbranch_scc0 .LBB55_1037
; %bb.1030:
	s_cmp_gt_i32 s22, 28
	s_cbranch_scc0 .LBB55_1038
	;; [unrolled: 3-line block ×4, first 2 shown]
; %bb.1033:
	s_cmp_eq_u32 s22, 46
	s_mov_b64 s[14:15], 0
	s_cbranch_scc0 .LBB55_1043
; %bb.1034:
	global_load_dword v3, v[0:1], off
	s_mov_b64 s[16:17], -1
	s_waitcnt vmcnt(0)
	v_lshlrev_b32_e32 v3, 16, v3
	v_cvt_f16_f32_e32 v3, v3
	s_branch .LBB55_1044
.LBB55_1035:
	s_mov_b64 s[16:17], 0
                                        ; implicit-def: $vgpr3
	s_mov_b64 s[14:15], s[6:7]
	s_cbranch_execnz .LBB55_1107
.LBB55_1036:
	s_andn2_b64 vcc, exec, s[16:17]
	s_cbranch_vccz .LBB55_1152
	s_branch .LBB55_1973
.LBB55_1037:
	s_mov_b64 s[16:17], 0
                                        ; implicit-def: $vgpr3
	s_cbranch_execnz .LBB55_1072
	s_branch .LBB55_1103
.LBB55_1038:
	s_mov_b64 s[14:15], -1
	s_mov_b64 s[16:17], 0
                                        ; implicit-def: $vgpr3
	s_branch .LBB55_1053
.LBB55_1039:
	s_mov_b64 s[16:17], 0
                                        ; implicit-def: $vgpr3
	s_cbranch_execnz .LBB55_1049
	s_branch .LBB55_1052
.LBB55_1040:
	s_mov_b64 s[14:15], -1
	s_mov_b64 s[16:17], 0
                                        ; implicit-def: $vgpr3
	s_branch .LBB55_1044
.LBB55_1041:
	s_andn2_saveexec_b64 s[22:23], s[22:23]
	s_cbranch_execz .LBB55_940
.LBB55_1042:
	s_mov_b32 s24, 0x46000000
	v_add_f32_e64 v4, |v2|, s24
	v_and_b32_e32 v4, 0xff, v4
	v_cmp_ne_u32_e32 vcc, 0, v4
	s_andn2_b64 s[20:21], s[20:21], exec
	s_and_b64 s[24:25], vcc, exec
	s_or_b64 s[20:21], s[20:21], s[24:25]
	s_or_b64 exec, exec, s[22:23]
	v_mov_b32_e32 v5, 0
	s_and_saveexec_b64 s[22:23], s[20:21]
	s_cbranch_execnz .LBB55_941
	s_branch .LBB55_942
.LBB55_1043:
	s_mov_b64 s[0:1], -1
                                        ; implicit-def: $vgpr3
	s_mov_b64 s[16:17], 0
.LBB55_1044:
	s_and_b64 vcc, exec, s[14:15]
	s_cbranch_vccz .LBB55_1047
; %bb.1045:
	s_cmp_eq_u32 s22, 44
	s_cbranch_scc0 .LBB55_1048
; %bb.1046:
	global_load_ubyte v3, v[0:1], off
	s_movk_i32 s14, 0xff
	v_mov_b32_e32 v6, 0x7e00
	s_mov_b64 s[0:1], 0
	s_mov_b64 s[16:17], -1
	s_waitcnt vmcnt(0)
	v_lshlrev_b32_e32 v5, 23, v3
	v_cvt_f16_f32_e32 v5, v5
	v_cmp_ne_u32_e32 vcc, s14, v3
	v_cndmask_b32_e32 v5, v6, v5, vcc
	v_cmp_ne_u32_e32 vcc, 0, v3
	v_cndmask_b32_e32 v3, 0, v5, vcc
.LBB55_1047:
	s_branch .LBB55_1052
.LBB55_1048:
	s_mov_b64 s[0:1], -1
                                        ; implicit-def: $vgpr3
	s_branch .LBB55_1052
.LBB55_1049:
	s_cmp_eq_u32 s22, 29
	s_cbranch_scc0 .LBB55_1051
; %bb.1050:
	global_load_dwordx2 v[5:6], v[0:1], off
	s_mov_b64 s[0:1], 0
	s_mov_b64 s[16:17], -1
	s_mov_b64 s[14:15], 0
	s_waitcnt vmcnt(0)
	v_ffbh_u32_e32 v3, v6
	v_min_u32_e32 v3, 32, v3
	v_lshlrev_b64 v[5:6], v3, v[5:6]
	v_sub_u32_e32 v3, 32, v3
	v_min_u32_e32 v5, 1, v5
	v_or_b32_e32 v5, v6, v5
	v_cvt_f32_u32_e32 v5, v5
	v_ldexp_f32 v3, v5, v3
	v_cvt_f16_f32_e32 v3, v3
	s_branch .LBB55_1053
.LBB55_1051:
	s_mov_b64 s[0:1], -1
                                        ; implicit-def: $vgpr3
.LBB55_1052:
	s_mov_b64 s[14:15], 0
.LBB55_1053:
	s_and_b64 vcc, exec, s[14:15]
	s_cbranch_vccz .LBB55_1071
; %bb.1054:
	s_cmp_lt_i32 s22, 27
	s_cbranch_scc1 .LBB55_1057
; %bb.1055:
	s_cmp_gt_i32 s22, 27
	s_cbranch_scc0 .LBB55_1058
; %bb.1056:
	global_load_dword v3, v[0:1], off
	s_mov_b64 s[14:15], 0
	s_waitcnt vmcnt(0)
	v_cvt_f32_u32_e32 v3, v3
	v_cvt_f16_f32_e32 v3, v3
	s_branch .LBB55_1059
.LBB55_1057:
	s_mov_b64 s[14:15], -1
                                        ; implicit-def: $vgpr3
	s_branch .LBB55_1062
.LBB55_1058:
	s_mov_b64 s[14:15], -1
                                        ; implicit-def: $vgpr3
.LBB55_1059:
	s_andn2_b64 vcc, exec, s[14:15]
	s_cbranch_vccnz .LBB55_1061
; %bb.1060:
	global_load_ushort v3, v[0:1], off
	s_waitcnt vmcnt(0)
	v_cvt_f16_u16_e32 v3, v3
.LBB55_1061:
	s_mov_b64 s[14:15], 0
.LBB55_1062:
	s_andn2_b64 vcc, exec, s[14:15]
	s_cbranch_vccnz .LBB55_1070
; %bb.1063:
	global_load_ubyte v5, v[0:1], off
	s_movk_i32 s14, 0x7f
	s_waitcnt vmcnt(0)
	v_cmp_lt_i16_e32 vcc, s14, v5
	s_mov_b64 s[14:15], 0
	s_and_saveexec_b64 s[16:17], vcc
	s_xor_b64 s[16:17], exec, s[16:17]
	s_cbranch_execz .LBB55_1083
; %bb.1064:
	s_movk_i32 s14, 0x80
	v_cmp_eq_u16_e32 vcc, s14, v5
	s_mov_b64 s[14:15], -1
	s_and_saveexec_b64 s[18:19], vcc
; %bb.1065:
	s_xor_b64 s[14:15], exec, -1
; %bb.1066:
	s_or_b64 exec, exec, s[18:19]
	s_and_b64 s[14:15], s[14:15], exec
	s_or_saveexec_b64 s[16:17], s[16:17]
	v_mov_b32_e32 v3, 0x7e00
	s_xor_b64 exec, exec, s[16:17]
	s_cbranch_execnz .LBB55_1084
.LBB55_1067:
	s_or_b64 exec, exec, s[16:17]
	s_and_saveexec_b64 s[16:17], s[14:15]
	s_cbranch_execz .LBB55_1069
.LBB55_1068:
	v_lshlrev_b32_e32 v3, 24, v5
	v_and_b32_e32 v5, 0xffff, v5
	v_and_b32_e32 v6, 7, v5
	v_ffbh_u32_e32 v8, v6
	v_min_u32_e32 v8, 32, v8
	v_subrev_u32_e32 v9, 28, v8
	v_bfe_u32 v7, v5, 3, 4
	v_lshlrev_b32_e32 v5, v9, v5
	v_sub_u32_e32 v8, 29, v8
	v_and_b32_e32 v5, 7, v5
	v_cmp_eq_u32_e32 vcc, 0, v7
	v_cndmask_b32_e32 v7, v7, v8, vcc
	v_cndmask_b32_e32 v5, v6, v5, vcc
	v_mov_b32_e32 v6, 0x3b800000
	v_lshlrev_b32_e32 v5, 20, v5
	v_and_b32_e32 v3, 0x80000000, v3
	v_lshl_add_u32 v6, v7, 23, v6
	v_or3_b32 v3, v3, v6, v5
	v_cvt_f16_f32_e32 v3, v3
.LBB55_1069:
	s_or_b64 exec, exec, s[16:17]
.LBB55_1070:
	s_mov_b64 s[16:17], -1
.LBB55_1071:
	s_branch .LBB55_1103
.LBB55_1072:
	s_cmp_gt_i32 s22, 22
	s_cbranch_scc0 .LBB55_1082
; %bb.1073:
	s_cmp_lt_i32 s22, 24
	s_cbranch_scc1 .LBB55_1085
; %bb.1074:
	s_cmp_gt_i32 s22, 24
	s_cbranch_scc0 .LBB55_1086
; %bb.1075:
	global_load_ubyte v5, v[0:1], off
	s_movk_i32 s12, 0x7f
	s_waitcnt vmcnt(0)
	v_cmp_lt_i16_e32 vcc, s12, v5
	s_mov_b64 s[12:13], 0
	s_and_saveexec_b64 s[14:15], vcc
	s_xor_b64 s[14:15], exec, s[14:15]
	s_cbranch_execz .LBB55_1097
; %bb.1076:
	s_movk_i32 s12, 0x80
	v_cmp_eq_u16_e32 vcc, s12, v5
	s_mov_b64 s[12:13], -1
	s_and_saveexec_b64 s[16:17], vcc
; %bb.1077:
	s_xor_b64 s[12:13], exec, -1
; %bb.1078:
	s_or_b64 exec, exec, s[16:17]
	s_and_b64 s[12:13], s[12:13], exec
	s_or_saveexec_b64 s[14:15], s[14:15]
	v_mov_b32_e32 v3, 0x7e00
	s_xor_b64 exec, exec, s[14:15]
	s_cbranch_execnz .LBB55_1098
.LBB55_1079:
	s_or_b64 exec, exec, s[14:15]
	s_and_saveexec_b64 s[14:15], s[12:13]
	s_cbranch_execz .LBB55_1081
.LBB55_1080:
	v_lshlrev_b32_e32 v3, 24, v5
	v_and_b32_e32 v5, 0xffff, v5
	v_and_b32_e32 v6, 3, v5
	v_ffbh_u32_e32 v8, v6
	v_min_u32_e32 v8, 32, v8
	v_subrev_u32_e32 v9, 29, v8
	v_bfe_u32 v7, v5, 2, 5
	v_lshlrev_b32_e32 v5, v9, v5
	v_sub_u32_e32 v8, 30, v8
	v_and_b32_e32 v5, 3, v5
	v_cmp_eq_u32_e32 vcc, 0, v7
	v_cndmask_b32_e32 v7, v7, v8, vcc
	v_cndmask_b32_e32 v5, v6, v5, vcc
	v_mov_b32_e32 v6, 0x37800000
	v_lshlrev_b32_e32 v5, 21, v5
	v_and_b32_e32 v3, 0x80000000, v3
	v_lshl_add_u32 v6, v7, 23, v6
	v_or3_b32 v3, v3, v6, v5
	v_cvt_f16_f32_e32 v3, v3
.LBB55_1081:
	s_or_b64 exec, exec, s[14:15]
	s_mov_b64 s[12:13], 0
	s_branch .LBB55_1087
.LBB55_1082:
                                        ; implicit-def: $vgpr3
	s_mov_b64 s[12:13], 0
	s_branch .LBB55_1093
.LBB55_1083:
	s_or_saveexec_b64 s[16:17], s[16:17]
	v_mov_b32_e32 v3, 0x7e00
	s_xor_b64 exec, exec, s[16:17]
	s_cbranch_execz .LBB55_1067
.LBB55_1084:
	v_cmp_ne_u16_e32 vcc, 0, v5
	s_andn2_b64 s[14:15], s[14:15], exec
	s_and_b64 s[18:19], vcc, exec
	s_or_b64 s[14:15], s[14:15], s[18:19]
	v_mov_b32_e32 v3, v5
	s_or_b64 exec, exec, s[16:17]
	s_and_saveexec_b64 s[16:17], s[14:15]
	s_cbranch_execnz .LBB55_1068
	s_branch .LBB55_1069
.LBB55_1085:
	s_mov_b64 s[12:13], -1
                                        ; implicit-def: $vgpr3
	s_branch .LBB55_1090
.LBB55_1086:
	s_mov_b64 s[12:13], -1
                                        ; implicit-def: $vgpr3
.LBB55_1087:
	s_and_b64 vcc, exec, s[12:13]
	s_cbranch_vccz .LBB55_1089
; %bb.1088:
	global_load_ubyte v3, v[0:1], off
	s_mov_b32 s12, 0x7f800000
	s_waitcnt vmcnt(0)
	v_lshlrev_b32_e32 v3, 24, v3
	v_and_b32_e32 v5, 0x7f000000, v3
	v_ffbh_u32_e32 v6, v5
	v_min_u32_e32 v6, 32, v6
	v_sub_u32_e64 v6, v6, 4 clamp
	v_lshlrev_b32_e32 v8, v6, v5
	v_lshlrev_b32_e32 v6, 23, v6
	v_lshrrev_b32_e32 v8, 4, v8
	v_add_u32_e32 v7, 0x1000000, v5
	v_sub_u32_e32 v6, v8, v6
	v_ashrrev_i32_e32 v7, 8, v7
	v_add_u32_e32 v6, 0x3c000000, v6
	v_and_or_b32 v6, v7, s12, v6
	v_cmp_ne_u32_e32 vcc, 0, v5
	v_cndmask_b32_e32 v5, 0, v6, vcc
	s_brev_b32 s12, 1
	v_and_or_b32 v3, v3, s12, v5
	v_cvt_f16_f32_e32 v3, v3
.LBB55_1089:
	s_mov_b64 s[12:13], 0
.LBB55_1090:
	s_andn2_b64 vcc, exec, s[12:13]
	s_cbranch_vccnz .LBB55_1092
; %bb.1091:
	global_load_ubyte v3, v[0:1], off
	s_movk_i32 s12, 0x7f00
	s_brev_b32 s13, 16
	s_waitcnt vmcnt(0)
	v_lshlrev_b16_e32 v5, 8, v3
	v_lshlrev_b32_e32 v3, 25, v3
	v_lshrrev_b32_e32 v6, 4, v3
	v_and_or_b32 v7, v5, s12, 0.5
	v_or_b32_e32 v6, 0x70000000, v6
	v_add_f32_e32 v7, -0.5, v7
	v_mul_f32_e32 v6, 0x7800000, v6
	v_cmp_gt_u32_e32 vcc, s13, v3
	v_bfe_i32 v5, v5, 0, 16
	v_cndmask_b32_e32 v3, v6, v7, vcc
	s_brev_b32 s12, 1
	v_and_or_b32 v3, v5, s12, v3
	v_cvt_f16_f32_e32 v3, v3
.LBB55_1092:
	s_mov_b64 s[16:17], -1
	s_mov_b64 s[12:13], 0
	s_cbranch_execnz .LBB55_1103
.LBB55_1093:
	s_cmp_gt_i32 s22, 14
	s_cbranch_scc0 .LBB55_1096
; %bb.1094:
	s_cmp_eq_u32 s22, 15
	s_cbranch_scc0 .LBB55_1099
; %bb.1095:
	global_load_ushort v3, v[0:1], off
	s_mov_b64 s[0:1], 0
	s_mov_b64 s[16:17], -1
	s_waitcnt vmcnt(0)
	v_lshlrev_b32_e32 v3, 16, v3
	v_cvt_f16_f32_e32 v3, v3
	s_branch .LBB55_1100
.LBB55_1096:
	s_mov_b64 s[14:15], -1
                                        ; implicit-def: $vgpr3
	s_branch .LBB55_1101
.LBB55_1097:
	s_or_saveexec_b64 s[14:15], s[14:15]
	v_mov_b32_e32 v3, 0x7e00
	s_xor_b64 exec, exec, s[14:15]
	s_cbranch_execz .LBB55_1079
.LBB55_1098:
	v_cmp_ne_u16_e32 vcc, 0, v5
	s_andn2_b64 s[12:13], s[12:13], exec
	s_and_b64 s[16:17], vcc, exec
	s_or_b64 s[12:13], s[12:13], s[16:17]
	v_mov_b32_e32 v3, v5
	s_or_b64 exec, exec, s[14:15]
	s_and_saveexec_b64 s[14:15], s[12:13]
	s_cbranch_execnz .LBB55_1080
	s_branch .LBB55_1081
.LBB55_1099:
	s_mov_b64 s[0:1], -1
                                        ; implicit-def: $vgpr3
.LBB55_1100:
	s_mov_b64 s[14:15], 0
.LBB55_1101:
	s_and_b64 vcc, exec, s[14:15]
	s_cbranch_vccz .LBB55_1103
; %bb.1102:
	s_cmp_lg_u32 s22, 11
	s_mov_b64 s[12:13], -1
	s_cselect_b64 s[0:1], -1, 0
.LBB55_1103:
	s_and_b64 vcc, exec, s[0:1]
	s_mov_b64 s[14:15], s[6:7]
	s_cbranch_vccnz .LBB55_1164
; %bb.1104:
	s_andn2_b64 vcc, exec, s[12:13]
	s_cbranch_vccnz .LBB55_1106
.LBB55_1105:
	global_load_ubyte v3, v[0:1], off
	v_mov_b32_e32 v5, 0x3c00
	s_mov_b64 s[16:17], -1
	s_waitcnt vmcnt(0)
	v_cmp_ne_u16_e32 vcc, 0, v3
	v_cndmask_b32_e32 v3, 0, v5, vcc
.LBB55_1106:
	s_branch .LBB55_1036
.LBB55_1107:
	s_cmp_lt_i32 s22, 5
	s_cbranch_scc1 .LBB55_1112
; %bb.1108:
	s_cmp_lt_i32 s22, 8
	s_cbranch_scc1 .LBB55_1113
; %bb.1109:
	;; [unrolled: 3-line block ×3, first 2 shown]
	s_cmp_gt_i32 s22, 9
	s_cbranch_scc0 .LBB55_1115
; %bb.1111:
	global_load_dwordx2 v[5:6], v[0:1], off
	s_movk_i32 s0, 0x1ff
	s_movk_i32 s1, 0xffe
	v_mov_b32_e32 v3, 0x7c00
	v_mov_b32_e32 v7, 0x7e00
	s_movk_i32 s12, 0x40f
	s_mov_b32 s13, 0x8000
	s_waitcnt vmcnt(0)
	v_and_or_b32 v5, v6, s0, v5
	v_cmp_ne_u32_e32 vcc, 0, v5
	v_lshrrev_b32_e32 v8, 8, v6
	v_bfe_u32 v9, v6, 20, 11
	v_cndmask_b32_e64 v5, 0, 1, vcc
	v_sub_u32_e32 v10, 0x3f1, v9
	v_and_or_b32 v5, v8, s1, v5
	v_add_u32_e32 v9, 0xfffffc10, v9
	v_med3_i32 v8, v10, 0, 13
	v_or_b32_e32 v10, 0x1000, v5
	v_cmp_ne_u32_e32 vcc, 0, v5
	v_lshl_or_b32 v11, v9, 12, v5
	v_cndmask_b32_e32 v5, v3, v7, vcc
	v_lshrrev_b32_e32 v7, v8, v10
	v_lshlrev_b32_e32 v8, v8, v7
	v_cmp_ne_u32_e32 vcc, v8, v10
	v_cndmask_b32_e64 v8, 0, 1, vcc
	v_or_b32_e32 v7, v7, v8
	v_cmp_gt_i32_e32 vcc, 1, v9
	v_cndmask_b32_e32 v7, v11, v7, vcc
	v_and_b32_e32 v8, 7, v7
	v_cmp_lt_i32_e32 vcc, 5, v8
	v_cndmask_b32_e64 v10, 0, 1, vcc
	v_cmp_eq_u32_e32 vcc, 3, v8
	v_cndmask_b32_e64 v8, 0, 1, vcc
	v_lshrrev_b32_e32 v7, 2, v7
	v_or_b32_e32 v8, v8, v10
	v_add_u32_e32 v7, v7, v8
	v_cmp_gt_i32_e32 vcc, 31, v9
	v_cndmask_b32_e32 v3, v3, v7, vcc
	v_cmp_eq_u32_e32 vcc, s12, v9
	v_lshrrev_b32_e32 v6, 16, v6
	v_cndmask_b32_e32 v3, v3, v5, vcc
	v_and_or_b32 v3, v6, s13, v3
	s_mov_b64 s[0:1], 0
	s_branch .LBB55_1116
.LBB55_1112:
                                        ; implicit-def: $vgpr3
	s_branch .LBB55_1133
.LBB55_1113:
                                        ; implicit-def: $vgpr3
	s_branch .LBB55_1122
.LBB55_1114:
	s_mov_b64 s[0:1], -1
                                        ; implicit-def: $vgpr3
	s_branch .LBB55_1119
.LBB55_1115:
	s_mov_b64 s[0:1], -1
                                        ; implicit-def: $vgpr3
.LBB55_1116:
	s_andn2_b64 vcc, exec, s[0:1]
	s_cbranch_vccnz .LBB55_1118
; %bb.1117:
	global_load_dword v3, v[0:1], off
	s_waitcnt vmcnt(0)
	v_cvt_f16_f32_e32 v3, v3
.LBB55_1118:
	s_mov_b64 s[0:1], 0
.LBB55_1119:
	s_andn2_b64 vcc, exec, s[0:1]
	s_cbranch_vccnz .LBB55_1121
; %bb.1120:
	global_load_dword v3, v[0:1], off
.LBB55_1121:
	s_cbranch_execnz .LBB55_1132
.LBB55_1122:
	s_cmp_lt_i32 s22, 6
	s_cbranch_scc1 .LBB55_1125
; %bb.1123:
	s_cmp_gt_i32 s22, 6
	s_cbranch_scc0 .LBB55_1126
; %bb.1124:
	global_load_dwordx2 v[5:6], v[0:1], off
	s_movk_i32 s0, 0x1ff
	s_movk_i32 s1, 0xffe
	s_waitcnt vmcnt(1)
	v_mov_b32_e32 v3, 0x7c00
	v_mov_b32_e32 v7, 0x7e00
	s_movk_i32 s12, 0x40f
	s_mov_b32 s13, 0x8000
	s_waitcnt vmcnt(0)
	v_and_or_b32 v5, v6, s0, v5
	v_cmp_ne_u32_e32 vcc, 0, v5
	v_lshrrev_b32_e32 v8, 8, v6
	v_bfe_u32 v9, v6, 20, 11
	v_cndmask_b32_e64 v5, 0, 1, vcc
	v_sub_u32_e32 v10, 0x3f1, v9
	v_and_or_b32 v5, v8, s1, v5
	v_add_u32_e32 v9, 0xfffffc10, v9
	v_med3_i32 v8, v10, 0, 13
	v_or_b32_e32 v10, 0x1000, v5
	v_cmp_ne_u32_e32 vcc, 0, v5
	v_lshl_or_b32 v11, v9, 12, v5
	v_cndmask_b32_e32 v5, v3, v7, vcc
	v_lshrrev_b32_e32 v7, v8, v10
	v_lshlrev_b32_e32 v8, v8, v7
	v_cmp_ne_u32_e32 vcc, v8, v10
	v_cndmask_b32_e64 v8, 0, 1, vcc
	v_or_b32_e32 v7, v7, v8
	v_cmp_gt_i32_e32 vcc, 1, v9
	v_cndmask_b32_e32 v7, v11, v7, vcc
	v_and_b32_e32 v8, 7, v7
	v_cmp_lt_i32_e32 vcc, 5, v8
	v_cndmask_b32_e64 v10, 0, 1, vcc
	v_cmp_eq_u32_e32 vcc, 3, v8
	v_cndmask_b32_e64 v8, 0, 1, vcc
	v_lshrrev_b32_e32 v7, 2, v7
	v_or_b32_e32 v8, v8, v10
	v_add_u32_e32 v7, v7, v8
	v_cmp_gt_i32_e32 vcc, 31, v9
	v_cndmask_b32_e32 v3, v3, v7, vcc
	v_cmp_eq_u32_e32 vcc, s12, v9
	v_lshrrev_b32_e32 v6, 16, v6
	v_cndmask_b32_e32 v3, v3, v5, vcc
	v_and_or_b32 v3, v6, s13, v3
	s_mov_b64 s[0:1], 0
	s_branch .LBB55_1127
.LBB55_1125:
	s_mov_b64 s[0:1], -1
                                        ; implicit-def: $vgpr3
	s_branch .LBB55_1130
.LBB55_1126:
	s_mov_b64 s[0:1], -1
                                        ; implicit-def: $vgpr3
.LBB55_1127:
	s_andn2_b64 vcc, exec, s[0:1]
	s_cbranch_vccnz .LBB55_1129
; %bb.1128:
	global_load_dword v3, v[0:1], off
	s_waitcnt vmcnt(0)
	v_cvt_f16_f32_e32 v3, v3
.LBB55_1129:
	s_mov_b64 s[0:1], 0
.LBB55_1130:
	s_andn2_b64 vcc, exec, s[0:1]
	s_cbranch_vccnz .LBB55_1132
; %bb.1131:
	global_load_ushort v3, v[0:1], off
.LBB55_1132:
	s_cbranch_execnz .LBB55_1151
.LBB55_1133:
	s_cmp_lt_i32 s22, 2
	s_cbranch_scc1 .LBB55_1137
; %bb.1134:
	s_cmp_lt_i32 s22, 3
	s_cbranch_scc1 .LBB55_1138
; %bb.1135:
	s_cmp_gt_i32 s22, 3
	s_cbranch_scc0 .LBB55_1139
; %bb.1136:
	global_load_dwordx2 v[5:6], v[0:1], off
	s_mov_b64 s[0:1], 0
	s_waitcnt vmcnt(0)
	v_xor_b32_e32 v7, v5, v6
	v_ffbh_i32_e32 v3, v6
	v_ashrrev_i32_e32 v7, 31, v7
	v_add_u32_e32 v3, -1, v3
	v_add_u32_e32 v7, 32, v7
	v_min_u32_e32 v3, v3, v7
	v_lshlrev_b64 v[5:6], v3, v[5:6]
	v_sub_u32_e32 v3, 32, v3
	v_min_u32_e32 v5, 1, v5
	v_or_b32_e32 v5, v6, v5
	v_cvt_f32_i32_e32 v5, v5
	v_ldexp_f32 v3, v5, v3
	v_cvt_f16_f32_e32 v3, v3
	s_branch .LBB55_1140
.LBB55_1137:
                                        ; implicit-def: $vgpr3
	s_branch .LBB55_1146
.LBB55_1138:
	s_mov_b64 s[0:1], -1
                                        ; implicit-def: $vgpr3
	s_branch .LBB55_1143
.LBB55_1139:
	s_mov_b64 s[0:1], -1
                                        ; implicit-def: $vgpr3
.LBB55_1140:
	s_andn2_b64 vcc, exec, s[0:1]
	s_cbranch_vccnz .LBB55_1142
; %bb.1141:
	global_load_dword v3, v[0:1], off
	s_waitcnt vmcnt(0)
	v_cvt_f32_i32_e32 v3, v3
	v_cvt_f16_f32_e32 v3, v3
.LBB55_1142:
	s_mov_b64 s[0:1], 0
.LBB55_1143:
	s_andn2_b64 vcc, exec, s[0:1]
	s_cbranch_vccnz .LBB55_1145
; %bb.1144:
	global_load_ushort v3, v[0:1], off
	s_waitcnt vmcnt(0)
	v_cvt_f16_i16_e32 v3, v3
.LBB55_1145:
	s_cbranch_execnz .LBB55_1151
.LBB55_1146:
	s_cmp_gt_i32 s22, 0
	s_cbranch_scc0 .LBB55_1148
; %bb.1147:
	global_load_sbyte v3, v[0:1], off
	s_mov_b64 s[0:1], 0
	s_waitcnt vmcnt(0)
	v_cvt_f16_i16_e32 v3, v3
	s_branch .LBB55_1149
.LBB55_1148:
	s_mov_b64 s[0:1], -1
                                        ; implicit-def: $vgpr3
.LBB55_1149:
	s_andn2_b64 vcc, exec, s[0:1]
	s_cbranch_vccnz .LBB55_1151
; %bb.1150:
	global_load_ubyte v0, v[0:1], off
	s_waitcnt vmcnt(0)
	v_cvt_f16_u16_e32 v3, v0
.LBB55_1151:
.LBB55_1152:
	s_lshl_b32 s3, s3, 7
	v_add_u32_e32 v5, s3, v4
	v_ashrrev_i32_e32 v1, 31, v5
	v_mov_b32_e32 v4, s11
	v_add_co_u32_e32 v0, vcc, s10, v5
	s_cmp_lt_i32 s22, 11
	v_addc_co_u32_e32 v1, vcc, v4, v1, vcc
	s_cbranch_scc1 .LBB55_1159
; %bb.1153:
	s_cmp_gt_i32 s22, 25
	s_mov_b64 s[12:13], 0
	s_cbranch_scc0 .LBB55_1161
; %bb.1154:
	s_cmp_gt_i32 s22, 28
	s_cbranch_scc0 .LBB55_1162
; %bb.1155:
	s_cmp_gt_i32 s22, 43
	s_cbranch_scc0 .LBB55_1163
; %bb.1156:
	s_cmp_gt_i32 s22, 45
	s_cbranch_scc0 .LBB55_1165
; %bb.1157:
	s_cmp_eq_u32 s22, 46
	s_mov_b64 s[18:19], 0
	s_cbranch_scc0 .LBB55_1168
; %bb.1158:
	global_load_dword v4, v[0:1], off
	s_mov_b64 s[0:1], 0
	s_mov_b64 s[16:17], -1
	s_waitcnt vmcnt(0)
	v_lshlrev_b32_e32 v4, 16, v4
	v_cvt_f16_f32_e32 v4, v4
	s_branch .LBB55_1169
.LBB55_1159:
	s_mov_b64 s[16:17], 0
                                        ; implicit-def: $vgpr4
	s_cbranch_execnz .LBB55_1234
.LBB55_1160:
	s_andn2_b64 vcc, exec, s[16:17]
	s_cbranch_vccnz .LBB55_1973
	s_branch .LBB55_1281
.LBB55_1161:
	s_mov_b64 s[16:17], 0
	s_mov_b64 s[0:1], 0
                                        ; implicit-def: $vgpr4
	s_cbranch_execnz .LBB55_1198
	s_branch .LBB55_1230
.LBB55_1162:
	s_mov_b64 s[18:19], -1
	s_mov_b64 s[16:17], 0
	s_mov_b64 s[0:1], 0
                                        ; implicit-def: $vgpr4
	s_branch .LBB55_1179
.LBB55_1163:
	s_mov_b64 s[18:19], -1
	s_mov_b64 s[16:17], 0
	s_mov_b64 s[0:1], 0
                                        ; implicit-def: $vgpr4
	s_branch .LBB55_1174
.LBB55_1164:
	s_or_b64 s[14:15], s[6:7], exec
	s_trap 2
	s_cbranch_execz .LBB55_1105
	s_branch .LBB55_1106
.LBB55_1165:
	s_mov_b64 s[18:19], -1
	s_mov_b64 s[16:17], 0
	s_mov_b64 s[0:1], 0
                                        ; implicit-def: $vgpr4
	s_branch .LBB55_1169
.LBB55_1166:
	s_andn2_saveexec_b64 s[24:25], s[24:25]
	s_cbranch_execz .LBB55_952
.LBB55_1167:
	s_mov_b32 s28, 0x42800000
	v_add_f32_e64 v4, |v2|, s28
	v_and_b32_e32 v4, 0xff, v4
	v_cmp_ne_u32_e32 vcc, 0, v4
	s_andn2_b64 s[22:23], s[22:23], exec
	s_and_b64 s[28:29], vcc, exec
	s_or_b64 s[22:23], s[22:23], s[28:29]
	s_or_b64 exec, exec, s[24:25]
	v_mov_b32_e32 v5, 0
	s_and_saveexec_b64 s[24:25], s[22:23]
	s_cbranch_execnz .LBB55_953
	s_branch .LBB55_954
.LBB55_1168:
	s_mov_b64 s[0:1], -1
                                        ; implicit-def: $vgpr4
	s_mov_b64 s[16:17], 0
.LBB55_1169:
	s_and_b64 vcc, exec, s[18:19]
	s_cbranch_vccz .LBB55_1173
; %bb.1170:
	s_cmp_eq_u32 s22, 44
	s_cbranch_scc0 .LBB55_1172
; %bb.1171:
	global_load_ubyte v4, v[0:1], off
	s_movk_i32 s16, 0xff
	v_mov_b32_e32 v7, 0x7e00
	s_mov_b64 s[0:1], 0
	s_waitcnt vmcnt(0)
	v_lshlrev_b32_e32 v6, 23, v4
	v_cvt_f16_f32_e32 v6, v6
	v_cmp_ne_u32_e32 vcc, s16, v4
	s_mov_b64 s[16:17], -1
	v_cndmask_b32_e32 v6, v7, v6, vcc
	v_cmp_ne_u32_e32 vcc, 0, v4
	v_cndmask_b32_e32 v4, 0, v6, vcc
	s_branch .LBB55_1173
.LBB55_1172:
	s_mov_b64 s[0:1], -1
                                        ; implicit-def: $vgpr4
.LBB55_1173:
	s_mov_b64 s[18:19], 0
.LBB55_1174:
	s_and_b64 vcc, exec, s[18:19]
	s_cbranch_vccz .LBB55_1178
; %bb.1175:
	s_cmp_eq_u32 s22, 29
	s_cbranch_scc0 .LBB55_1177
; %bb.1176:
	global_load_dwordx2 v[6:7], v[0:1], off
	s_mov_b64 s[0:1], 0
	s_mov_b64 s[16:17], -1
	s_mov_b64 s[18:19], 0
	s_waitcnt vmcnt(0)
	v_ffbh_u32_e32 v4, v7
	v_min_u32_e32 v4, 32, v4
	v_lshlrev_b64 v[6:7], v4, v[6:7]
	v_sub_u32_e32 v4, 32, v4
	v_min_u32_e32 v6, 1, v6
	v_or_b32_e32 v6, v7, v6
	v_cvt_f32_u32_e32 v6, v6
	v_ldexp_f32 v4, v6, v4
	v_cvt_f16_f32_e32 v4, v4
	s_branch .LBB55_1179
.LBB55_1177:
	s_mov_b64 s[0:1], -1
                                        ; implicit-def: $vgpr4
.LBB55_1178:
	s_mov_b64 s[18:19], 0
.LBB55_1179:
	s_and_b64 vcc, exec, s[18:19]
	s_cbranch_vccz .LBB55_1197
; %bb.1180:
	s_cmp_lt_i32 s22, 27
	s_cbranch_scc1 .LBB55_1183
; %bb.1181:
	s_cmp_gt_i32 s22, 27
	s_cbranch_scc0 .LBB55_1184
; %bb.1182:
	global_load_dword v4, v[0:1], off
	s_mov_b64 s[16:17], 0
	s_waitcnt vmcnt(0)
	v_cvt_f32_u32_e32 v4, v4
	v_cvt_f16_f32_e32 v4, v4
	s_branch .LBB55_1185
.LBB55_1183:
	s_mov_b64 s[16:17], -1
                                        ; implicit-def: $vgpr4
	s_branch .LBB55_1188
.LBB55_1184:
	s_mov_b64 s[16:17], -1
                                        ; implicit-def: $vgpr4
.LBB55_1185:
	s_andn2_b64 vcc, exec, s[16:17]
	s_cbranch_vccnz .LBB55_1187
; %bb.1186:
	global_load_ushort v4, v[0:1], off
	s_waitcnt vmcnt(0)
	v_cvt_f16_u16_e32 v4, v4
.LBB55_1187:
	s_mov_b64 s[16:17], 0
.LBB55_1188:
	s_andn2_b64 vcc, exec, s[16:17]
	s_cbranch_vccnz .LBB55_1196
; %bb.1189:
	global_load_ubyte v6, v[0:1], off
	s_movk_i32 s16, 0x7f
	s_waitcnt vmcnt(0)
	v_cmp_lt_i16_e32 vcc, s16, v6
	s_mov_b64 s[16:17], 0
	s_and_saveexec_b64 s[18:19], vcc
	s_xor_b64 s[18:19], exec, s[18:19]
	s_cbranch_execz .LBB55_1209
; %bb.1190:
	s_movk_i32 s16, 0x80
	v_cmp_eq_u16_e32 vcc, s16, v6
	s_mov_b64 s[16:17], -1
	s_and_saveexec_b64 s[20:21], vcc
; %bb.1191:
	s_xor_b64 s[16:17], exec, -1
; %bb.1192:
	s_or_b64 exec, exec, s[20:21]
	s_and_b64 s[16:17], s[16:17], exec
	s_or_saveexec_b64 s[18:19], s[18:19]
	v_mov_b32_e32 v4, 0x7e00
	s_xor_b64 exec, exec, s[18:19]
	s_cbranch_execnz .LBB55_1210
.LBB55_1193:
	s_or_b64 exec, exec, s[18:19]
	s_and_saveexec_b64 s[18:19], s[16:17]
	s_cbranch_execz .LBB55_1195
.LBB55_1194:
	v_lshlrev_b32_e32 v4, 24, v6
	v_and_b32_e32 v6, 0xffff, v6
	v_and_b32_e32 v7, 7, v6
	v_ffbh_u32_e32 v9, v7
	v_min_u32_e32 v9, 32, v9
	v_subrev_u32_e32 v10, 28, v9
	v_bfe_u32 v8, v6, 3, 4
	v_lshlrev_b32_e32 v6, v10, v6
	v_sub_u32_e32 v9, 29, v9
	v_and_b32_e32 v6, 7, v6
	v_cmp_eq_u32_e32 vcc, 0, v8
	v_cndmask_b32_e32 v8, v8, v9, vcc
	v_cndmask_b32_e32 v6, v7, v6, vcc
	v_mov_b32_e32 v7, 0x3b800000
	v_lshlrev_b32_e32 v6, 20, v6
	v_and_b32_e32 v4, 0x80000000, v4
	v_lshl_add_u32 v7, v8, 23, v7
	v_or3_b32 v4, v4, v7, v6
	v_cvt_f16_f32_e32 v4, v4
.LBB55_1195:
	s_or_b64 exec, exec, s[18:19]
.LBB55_1196:
	s_mov_b64 s[16:17], -1
.LBB55_1197:
	s_branch .LBB55_1230
.LBB55_1198:
	s_cmp_gt_i32 s22, 22
	s_cbranch_scc0 .LBB55_1208
; %bb.1199:
	s_cmp_lt_i32 s22, 24
	s_cbranch_scc1 .LBB55_1211
; %bb.1200:
	s_cmp_gt_i32 s22, 24
	s_cbranch_scc0 .LBB55_1212
; %bb.1201:
	global_load_ubyte v6, v[0:1], off
	s_movk_i32 s12, 0x7f
	s_waitcnt vmcnt(0)
	v_cmp_lt_i16_e32 vcc, s12, v6
	s_mov_b64 s[12:13], 0
	s_and_saveexec_b64 s[16:17], vcc
	s_xor_b64 s[16:17], exec, s[16:17]
	s_cbranch_execz .LBB55_1224
; %bb.1202:
	s_movk_i32 s12, 0x80
	v_cmp_eq_u16_e32 vcc, s12, v6
	s_mov_b64 s[12:13], -1
	s_and_saveexec_b64 s[18:19], vcc
; %bb.1203:
	s_xor_b64 s[12:13], exec, -1
; %bb.1204:
	s_or_b64 exec, exec, s[18:19]
	s_and_b64 s[12:13], s[12:13], exec
	s_or_saveexec_b64 s[16:17], s[16:17]
	v_mov_b32_e32 v4, 0x7e00
	s_xor_b64 exec, exec, s[16:17]
	s_cbranch_execnz .LBB55_1225
.LBB55_1205:
	s_or_b64 exec, exec, s[16:17]
	s_and_saveexec_b64 s[16:17], s[12:13]
	s_cbranch_execz .LBB55_1207
.LBB55_1206:
	v_lshlrev_b32_e32 v4, 24, v6
	v_and_b32_e32 v6, 0xffff, v6
	v_and_b32_e32 v7, 3, v6
	v_ffbh_u32_e32 v9, v7
	v_min_u32_e32 v9, 32, v9
	v_subrev_u32_e32 v10, 29, v9
	v_bfe_u32 v8, v6, 2, 5
	v_lshlrev_b32_e32 v6, v10, v6
	v_sub_u32_e32 v9, 30, v9
	v_and_b32_e32 v6, 3, v6
	v_cmp_eq_u32_e32 vcc, 0, v8
	v_cndmask_b32_e32 v8, v8, v9, vcc
	v_cndmask_b32_e32 v6, v7, v6, vcc
	v_mov_b32_e32 v7, 0x37800000
	v_lshlrev_b32_e32 v6, 21, v6
	v_and_b32_e32 v4, 0x80000000, v4
	v_lshl_add_u32 v7, v8, 23, v7
	v_or3_b32 v4, v4, v7, v6
	v_cvt_f16_f32_e32 v4, v4
.LBB55_1207:
	s_or_b64 exec, exec, s[16:17]
	s_mov_b64 s[12:13], 0
	s_branch .LBB55_1213
.LBB55_1208:
	s_mov_b64 s[12:13], -1
                                        ; implicit-def: $vgpr4
	s_branch .LBB55_1219
.LBB55_1209:
	s_or_saveexec_b64 s[18:19], s[18:19]
	v_mov_b32_e32 v4, 0x7e00
	s_xor_b64 exec, exec, s[18:19]
	s_cbranch_execz .LBB55_1193
.LBB55_1210:
	v_cmp_ne_u16_e32 vcc, 0, v6
	s_andn2_b64 s[16:17], s[16:17], exec
	s_and_b64 s[20:21], vcc, exec
	s_or_b64 s[16:17], s[16:17], s[20:21]
	v_mov_b32_e32 v4, v6
	s_or_b64 exec, exec, s[18:19]
	s_and_saveexec_b64 s[18:19], s[16:17]
	s_cbranch_execnz .LBB55_1194
	s_branch .LBB55_1195
.LBB55_1211:
	s_mov_b64 s[12:13], -1
                                        ; implicit-def: $vgpr4
	s_branch .LBB55_1216
.LBB55_1212:
	s_mov_b64 s[12:13], -1
                                        ; implicit-def: $vgpr4
.LBB55_1213:
	s_and_b64 vcc, exec, s[12:13]
	s_cbranch_vccz .LBB55_1215
; %bb.1214:
	global_load_ubyte v4, v[0:1], off
	s_mov_b32 s12, 0x7f800000
	s_waitcnt vmcnt(0)
	v_lshlrev_b32_e32 v4, 24, v4
	v_and_b32_e32 v6, 0x7f000000, v4
	v_ffbh_u32_e32 v7, v6
	v_min_u32_e32 v7, 32, v7
	v_sub_u32_e64 v7, v7, 4 clamp
	v_lshlrev_b32_e32 v9, v7, v6
	v_lshlrev_b32_e32 v7, 23, v7
	v_lshrrev_b32_e32 v9, 4, v9
	v_add_u32_e32 v8, 0x1000000, v6
	v_sub_u32_e32 v7, v9, v7
	v_ashrrev_i32_e32 v8, 8, v8
	v_add_u32_e32 v7, 0x3c000000, v7
	v_and_or_b32 v7, v8, s12, v7
	v_cmp_ne_u32_e32 vcc, 0, v6
	v_cndmask_b32_e32 v6, 0, v7, vcc
	s_brev_b32 s12, 1
	v_and_or_b32 v4, v4, s12, v6
	v_cvt_f16_f32_e32 v4, v4
.LBB55_1215:
	s_mov_b64 s[12:13], 0
.LBB55_1216:
	s_andn2_b64 vcc, exec, s[12:13]
	s_cbranch_vccnz .LBB55_1218
; %bb.1217:
	global_load_ubyte v4, v[0:1], off
	s_movk_i32 s12, 0x7f00
	s_brev_b32 s13, 16
	s_waitcnt vmcnt(0)
	v_lshlrev_b16_e32 v6, 8, v4
	v_lshlrev_b32_e32 v4, 25, v4
	v_lshrrev_b32_e32 v7, 4, v4
	v_and_or_b32 v8, v6, s12, 0.5
	v_or_b32_e32 v7, 0x70000000, v7
	v_add_f32_e32 v8, -0.5, v8
	v_mul_f32_e32 v7, 0x7800000, v7
	v_cmp_gt_u32_e32 vcc, s13, v4
	v_bfe_i32 v6, v6, 0, 16
	v_cndmask_b32_e32 v4, v7, v8, vcc
	s_brev_b32 s12, 1
	v_and_or_b32 v4, v6, s12, v4
	v_cvt_f16_f32_e32 v4, v4
.LBB55_1218:
	s_mov_b64 s[12:13], 0
	s_mov_b64 s[16:17], -1
.LBB55_1219:
	s_andn2_b64 vcc, exec, s[12:13]
	s_mov_b64 s[12:13], 0
	s_cbranch_vccnz .LBB55_1230
; %bb.1220:
	s_cmp_gt_i32 s22, 14
	s_cbranch_scc0 .LBB55_1223
; %bb.1221:
	s_cmp_eq_u32 s22, 15
	s_cbranch_scc0 .LBB55_1226
; %bb.1222:
	global_load_ushort v4, v[0:1], off
	s_mov_b64 s[0:1], 0
	s_mov_b64 s[16:17], -1
	s_waitcnt vmcnt(0)
	v_lshlrev_b32_e32 v4, 16, v4
	v_cvt_f16_f32_e32 v4, v4
	s_branch .LBB55_1227
.LBB55_1223:
	s_mov_b64 s[18:19], -1
                                        ; implicit-def: $vgpr4
	s_branch .LBB55_1228
.LBB55_1224:
	s_or_saveexec_b64 s[16:17], s[16:17]
	v_mov_b32_e32 v4, 0x7e00
	s_xor_b64 exec, exec, s[16:17]
	s_cbranch_execz .LBB55_1205
.LBB55_1225:
	v_cmp_ne_u16_e32 vcc, 0, v6
	s_andn2_b64 s[12:13], s[12:13], exec
	s_and_b64 s[18:19], vcc, exec
	s_or_b64 s[12:13], s[12:13], s[18:19]
	v_mov_b32_e32 v4, v6
	s_or_b64 exec, exec, s[16:17]
	s_and_saveexec_b64 s[16:17], s[12:13]
	s_cbranch_execnz .LBB55_1206
	s_branch .LBB55_1207
.LBB55_1226:
	s_mov_b64 s[0:1], -1
                                        ; implicit-def: $vgpr4
.LBB55_1227:
	s_mov_b64 s[18:19], 0
.LBB55_1228:
	s_and_b64 vcc, exec, s[18:19]
	s_cbranch_vccz .LBB55_1230
; %bb.1229:
	s_cmp_lg_u32 s22, 11
	s_mov_b64 s[12:13], -1
	s_cselect_b64 s[0:1], -1, 0
.LBB55_1230:
	s_and_b64 vcc, exec, s[0:1]
	s_cbranch_vccnz .LBB55_1293
; %bb.1231:
	s_andn2_b64 vcc, exec, s[12:13]
	s_cbranch_vccnz .LBB55_1233
.LBB55_1232:
	global_load_ubyte v4, v[0:1], off
	v_mov_b32_e32 v6, 0x3c00
	s_mov_b64 s[16:17], -1
	s_waitcnt vmcnt(0)
	v_cmp_ne_u16_e32 vcc, 0, v4
	v_cndmask_b32_e32 v4, 0, v6, vcc
.LBB55_1233:
	s_branch .LBB55_1160
.LBB55_1234:
	s_cmp_lt_i32 s22, 5
	s_cbranch_scc1 .LBB55_1239
; %bb.1235:
	s_cmp_lt_i32 s22, 8
	s_cbranch_scc1 .LBB55_1240
; %bb.1236:
	;; [unrolled: 3-line block ×3, first 2 shown]
	s_cmp_gt_i32 s22, 9
	s_cbranch_scc0 .LBB55_1242
; %bb.1238:
	global_load_dwordx2 v[6:7], v[0:1], off
	s_movk_i32 s0, 0x1ff
	s_movk_i32 s1, 0xffe
	v_mov_b32_e32 v4, 0x7c00
	v_mov_b32_e32 v8, 0x7e00
	s_movk_i32 s12, 0x40f
	s_mov_b32 s13, 0x8000
	s_waitcnt vmcnt(0)
	v_and_or_b32 v6, v7, s0, v6
	v_cmp_ne_u32_e32 vcc, 0, v6
	v_lshrrev_b32_e32 v9, 8, v7
	v_bfe_u32 v10, v7, 20, 11
	v_cndmask_b32_e64 v6, 0, 1, vcc
	v_sub_u32_e32 v11, 0x3f1, v10
	v_and_or_b32 v6, v9, s1, v6
	v_add_u32_e32 v10, 0xfffffc10, v10
	v_med3_i32 v9, v11, 0, 13
	v_or_b32_e32 v11, 0x1000, v6
	v_cmp_ne_u32_e32 vcc, 0, v6
	v_lshl_or_b32 v12, v10, 12, v6
	v_cndmask_b32_e32 v6, v4, v8, vcc
	v_lshrrev_b32_e32 v8, v9, v11
	v_lshlrev_b32_e32 v9, v9, v8
	v_cmp_ne_u32_e32 vcc, v9, v11
	v_cndmask_b32_e64 v9, 0, 1, vcc
	v_or_b32_e32 v8, v8, v9
	v_cmp_gt_i32_e32 vcc, 1, v10
	v_cndmask_b32_e32 v8, v12, v8, vcc
	v_and_b32_e32 v9, 7, v8
	v_cmp_lt_i32_e32 vcc, 5, v9
	v_cndmask_b32_e64 v11, 0, 1, vcc
	v_cmp_eq_u32_e32 vcc, 3, v9
	v_cndmask_b32_e64 v9, 0, 1, vcc
	v_lshrrev_b32_e32 v8, 2, v8
	v_or_b32_e32 v9, v9, v11
	v_add_u32_e32 v8, v8, v9
	v_cmp_gt_i32_e32 vcc, 31, v10
	v_cndmask_b32_e32 v4, v4, v8, vcc
	v_cmp_eq_u32_e32 vcc, s12, v10
	v_lshrrev_b32_e32 v7, 16, v7
	v_cndmask_b32_e32 v4, v4, v6, vcc
	v_and_or_b32 v4, v7, s13, v4
	s_mov_b64 s[0:1], 0
	s_branch .LBB55_1243
.LBB55_1239:
                                        ; implicit-def: $vgpr4
	s_branch .LBB55_1261
.LBB55_1240:
	s_mov_b64 s[0:1], -1
                                        ; implicit-def: $vgpr4
	s_branch .LBB55_1249
.LBB55_1241:
	s_mov_b64 s[0:1], -1
                                        ; implicit-def: $vgpr4
	s_branch .LBB55_1246
.LBB55_1242:
	s_mov_b64 s[0:1], -1
                                        ; implicit-def: $vgpr4
.LBB55_1243:
	s_andn2_b64 vcc, exec, s[0:1]
	s_cbranch_vccnz .LBB55_1245
; %bb.1244:
	global_load_dword v4, v[0:1], off
	s_waitcnt vmcnt(0)
	v_cvt_f16_f32_e32 v4, v4
.LBB55_1245:
	s_mov_b64 s[0:1], 0
.LBB55_1246:
	s_andn2_b64 vcc, exec, s[0:1]
	s_cbranch_vccnz .LBB55_1248
; %bb.1247:
	global_load_dword v4, v[0:1], off
.LBB55_1248:
	s_mov_b64 s[0:1], 0
.LBB55_1249:
	s_andn2_b64 vcc, exec, s[0:1]
	s_cbranch_vccnz .LBB55_1260
; %bb.1250:
	s_cmp_lt_i32 s22, 6
	s_cbranch_scc1 .LBB55_1253
; %bb.1251:
	s_cmp_gt_i32 s22, 6
	s_cbranch_scc0 .LBB55_1254
; %bb.1252:
	global_load_dwordx2 v[6:7], v[0:1], off
	s_movk_i32 s0, 0x1ff
	s_movk_i32 s1, 0xffe
	s_waitcnt vmcnt(1)
	v_mov_b32_e32 v4, 0x7c00
	v_mov_b32_e32 v8, 0x7e00
	s_movk_i32 s12, 0x40f
	s_mov_b32 s13, 0x8000
	s_waitcnt vmcnt(0)
	v_and_or_b32 v6, v7, s0, v6
	v_cmp_ne_u32_e32 vcc, 0, v6
	v_lshrrev_b32_e32 v9, 8, v7
	v_bfe_u32 v10, v7, 20, 11
	v_cndmask_b32_e64 v6, 0, 1, vcc
	v_sub_u32_e32 v11, 0x3f1, v10
	v_and_or_b32 v6, v9, s1, v6
	v_add_u32_e32 v10, 0xfffffc10, v10
	v_med3_i32 v9, v11, 0, 13
	v_or_b32_e32 v11, 0x1000, v6
	v_cmp_ne_u32_e32 vcc, 0, v6
	v_lshl_or_b32 v12, v10, 12, v6
	v_cndmask_b32_e32 v6, v4, v8, vcc
	v_lshrrev_b32_e32 v8, v9, v11
	v_lshlrev_b32_e32 v9, v9, v8
	v_cmp_ne_u32_e32 vcc, v9, v11
	v_cndmask_b32_e64 v9, 0, 1, vcc
	v_or_b32_e32 v8, v8, v9
	v_cmp_gt_i32_e32 vcc, 1, v10
	v_cndmask_b32_e32 v8, v12, v8, vcc
	v_and_b32_e32 v9, 7, v8
	v_cmp_lt_i32_e32 vcc, 5, v9
	v_cndmask_b32_e64 v11, 0, 1, vcc
	v_cmp_eq_u32_e32 vcc, 3, v9
	v_cndmask_b32_e64 v9, 0, 1, vcc
	v_lshrrev_b32_e32 v8, 2, v8
	v_or_b32_e32 v9, v9, v11
	v_add_u32_e32 v8, v8, v9
	v_cmp_gt_i32_e32 vcc, 31, v10
	v_cndmask_b32_e32 v4, v4, v8, vcc
	v_cmp_eq_u32_e32 vcc, s12, v10
	v_lshrrev_b32_e32 v7, 16, v7
	v_cndmask_b32_e32 v4, v4, v6, vcc
	v_and_or_b32 v4, v7, s13, v4
	s_mov_b64 s[0:1], 0
	s_branch .LBB55_1255
.LBB55_1253:
	s_mov_b64 s[0:1], -1
                                        ; implicit-def: $vgpr4
	s_branch .LBB55_1258
.LBB55_1254:
	s_mov_b64 s[0:1], -1
                                        ; implicit-def: $vgpr4
.LBB55_1255:
	s_andn2_b64 vcc, exec, s[0:1]
	s_cbranch_vccnz .LBB55_1257
; %bb.1256:
	global_load_dword v4, v[0:1], off
	s_waitcnt vmcnt(0)
	v_cvt_f16_f32_e32 v4, v4
.LBB55_1257:
	s_mov_b64 s[0:1], 0
.LBB55_1258:
	s_andn2_b64 vcc, exec, s[0:1]
	s_cbranch_vccnz .LBB55_1260
; %bb.1259:
	global_load_ushort v4, v[0:1], off
.LBB55_1260:
	s_cbranch_execnz .LBB55_1280
.LBB55_1261:
	s_cmp_lt_i32 s22, 2
	s_cbranch_scc1 .LBB55_1265
; %bb.1262:
	s_cmp_lt_i32 s22, 3
	s_cbranch_scc1 .LBB55_1266
; %bb.1263:
	s_cmp_gt_i32 s22, 3
	s_cbranch_scc0 .LBB55_1267
; %bb.1264:
	global_load_dwordx2 v[6:7], v[0:1], off
	s_mov_b64 s[0:1], 0
	s_waitcnt vmcnt(0)
	v_xor_b32_e32 v8, v6, v7
	v_ffbh_i32_e32 v4, v7
	v_ashrrev_i32_e32 v8, 31, v8
	v_add_u32_e32 v4, -1, v4
	v_add_u32_e32 v8, 32, v8
	v_min_u32_e32 v4, v4, v8
	v_lshlrev_b64 v[6:7], v4, v[6:7]
	v_sub_u32_e32 v4, 32, v4
	v_min_u32_e32 v6, 1, v6
	v_or_b32_e32 v6, v7, v6
	v_cvt_f32_i32_e32 v6, v6
	v_ldexp_f32 v4, v6, v4
	v_cvt_f16_f32_e32 v4, v4
	s_branch .LBB55_1268
.LBB55_1265:
	s_mov_b64 s[0:1], -1
                                        ; implicit-def: $vgpr4
	s_branch .LBB55_1274
.LBB55_1266:
	s_mov_b64 s[0:1], -1
                                        ; implicit-def: $vgpr4
	s_branch .LBB55_1271
.LBB55_1267:
	s_mov_b64 s[0:1], -1
                                        ; implicit-def: $vgpr4
.LBB55_1268:
	s_andn2_b64 vcc, exec, s[0:1]
	s_cbranch_vccnz .LBB55_1270
; %bb.1269:
	global_load_dword v4, v[0:1], off
	s_waitcnt vmcnt(0)
	v_cvt_f32_i32_e32 v4, v4
	v_cvt_f16_f32_e32 v4, v4
.LBB55_1270:
	s_mov_b64 s[0:1], 0
.LBB55_1271:
	s_andn2_b64 vcc, exec, s[0:1]
	s_cbranch_vccnz .LBB55_1273
; %bb.1272:
	global_load_ushort v4, v[0:1], off
	s_waitcnt vmcnt(0)
	v_cvt_f16_i16_e32 v4, v4
.LBB55_1273:
	s_mov_b64 s[0:1], 0
.LBB55_1274:
	s_andn2_b64 vcc, exec, s[0:1]
	s_cbranch_vccnz .LBB55_1280
; %bb.1275:
	s_cmp_gt_i32 s22, 0
	s_cbranch_scc0 .LBB55_1277
; %bb.1276:
	global_load_sbyte v4, v[0:1], off
	s_mov_b64 s[0:1], 0
	s_waitcnt vmcnt(0)
	v_cvt_f16_i16_e32 v4, v4
	s_branch .LBB55_1278
.LBB55_1277:
	s_mov_b64 s[0:1], -1
                                        ; implicit-def: $vgpr4
.LBB55_1278:
	s_andn2_b64 vcc, exec, s[0:1]
	s_cbranch_vccnz .LBB55_1280
; %bb.1279:
	global_load_ubyte v0, v[0:1], off
	s_waitcnt vmcnt(0)
	v_cvt_f16_u16_e32 v4, v0
.LBB55_1280:
.LBB55_1281:
	v_add_u32_e32 v6, s3, v5
	v_ashrrev_i32_e32 v1, 31, v6
	v_mov_b32_e32 v5, s11
	v_add_co_u32_e32 v0, vcc, s10, v6
	s_cmp_lt_i32 s22, 11
	v_addc_co_u32_e32 v1, vcc, v5, v1, vcc
	s_cbranch_scc1 .LBB55_1288
; %bb.1282:
	s_cmp_gt_i32 s22, 25
	s_mov_b64 s[12:13], 0
	s_cbranch_scc0 .LBB55_1290
; %bb.1283:
	s_cmp_gt_i32 s22, 28
	s_cbranch_scc0 .LBB55_1291
; %bb.1284:
	s_cmp_gt_i32 s22, 43
	;; [unrolled: 3-line block ×3, first 2 shown]
	s_cbranch_scc0 .LBB55_1294
; %bb.1286:
	s_cmp_eq_u32 s22, 46
	s_mov_b64 s[18:19], 0
	s_cbranch_scc0 .LBB55_1295
; %bb.1287:
	global_load_dword v5, v[0:1], off
	s_mov_b64 s[0:1], 0
	s_mov_b64 s[16:17], -1
	s_waitcnt vmcnt(0)
	v_lshlrev_b32_e32 v5, 16, v5
	v_cvt_f16_f32_e32 v5, v5
	s_branch .LBB55_1296
.LBB55_1288:
	s_mov_b64 s[16:17], 0
                                        ; implicit-def: $vgpr5
	s_cbranch_execnz .LBB55_1362
.LBB55_1289:
	s_andn2_b64 vcc, exec, s[16:17]
	s_cbranch_vccnz .LBB55_1973
	s_branch .LBB55_1410
.LBB55_1290:
	s_mov_b64 s[18:19], -1
	s_mov_b64 s[16:17], 0
	s_mov_b64 s[0:1], 0
                                        ; implicit-def: $vgpr5
	s_branch .LBB55_1325
.LBB55_1291:
	s_mov_b64 s[18:19], -1
	s_mov_b64 s[16:17], 0
	s_mov_b64 s[0:1], 0
                                        ; implicit-def: $vgpr5
	s_branch .LBB55_1306
.LBB55_1292:
	s_mov_b64 s[18:19], -1
	s_mov_b64 s[16:17], 0
	s_mov_b64 s[0:1], 0
                                        ; implicit-def: $vgpr5
	s_branch .LBB55_1301
.LBB55_1293:
	s_trap 2
	s_or_b64 s[14:15], s[14:15], exec
	s_cbranch_execz .LBB55_1232
	s_branch .LBB55_1233
.LBB55_1294:
	s_mov_b64 s[18:19], -1
	s_mov_b64 s[16:17], 0
	s_mov_b64 s[0:1], 0
                                        ; implicit-def: $vgpr5
	s_branch .LBB55_1296
.LBB55_1295:
	s_mov_b64 s[0:1], -1
                                        ; implicit-def: $vgpr5
	s_mov_b64 s[16:17], 0
.LBB55_1296:
	s_and_b64 vcc, exec, s[18:19]
	s_cbranch_vccz .LBB55_1300
; %bb.1297:
	s_cmp_eq_u32 s22, 44
	s_cbranch_scc0 .LBB55_1299
; %bb.1298:
	global_load_ubyte v5, v[0:1], off
	s_movk_i32 s16, 0xff
	v_mov_b32_e32 v8, 0x7e00
	s_mov_b64 s[0:1], 0
	s_waitcnt vmcnt(0)
	v_lshlrev_b32_e32 v7, 23, v5
	v_cvt_f16_f32_e32 v7, v7
	v_cmp_ne_u32_e32 vcc, s16, v5
	s_mov_b64 s[16:17], -1
	v_cndmask_b32_e32 v7, v8, v7, vcc
	v_cmp_ne_u32_e32 vcc, 0, v5
	v_cndmask_b32_e32 v5, 0, v7, vcc
	s_branch .LBB55_1300
.LBB55_1299:
	s_mov_b64 s[0:1], -1
                                        ; implicit-def: $vgpr5
.LBB55_1300:
	s_mov_b64 s[18:19], 0
.LBB55_1301:
	s_and_b64 vcc, exec, s[18:19]
	s_cbranch_vccz .LBB55_1305
; %bb.1302:
	s_cmp_eq_u32 s22, 29
	s_cbranch_scc0 .LBB55_1304
; %bb.1303:
	global_load_dwordx2 v[7:8], v[0:1], off
	s_mov_b64 s[0:1], 0
	s_mov_b64 s[16:17], -1
	s_mov_b64 s[18:19], 0
	s_waitcnt vmcnt(0)
	v_ffbh_u32_e32 v5, v8
	v_min_u32_e32 v5, 32, v5
	v_lshlrev_b64 v[7:8], v5, v[7:8]
	v_sub_u32_e32 v5, 32, v5
	v_min_u32_e32 v7, 1, v7
	v_or_b32_e32 v7, v8, v7
	v_cvt_f32_u32_e32 v7, v7
	v_ldexp_f32 v5, v7, v5
	v_cvt_f16_f32_e32 v5, v5
	s_branch .LBB55_1306
.LBB55_1304:
	s_mov_b64 s[0:1], -1
                                        ; implicit-def: $vgpr5
.LBB55_1305:
	s_mov_b64 s[18:19], 0
.LBB55_1306:
	s_and_b64 vcc, exec, s[18:19]
	s_cbranch_vccz .LBB55_1324
; %bb.1307:
	s_cmp_lt_i32 s22, 27
	s_cbranch_scc1 .LBB55_1310
; %bb.1308:
	s_cmp_gt_i32 s22, 27
	s_cbranch_scc0 .LBB55_1311
; %bb.1309:
	global_load_dword v5, v[0:1], off
	s_mov_b64 s[16:17], 0
	s_waitcnt vmcnt(0)
	v_cvt_f32_u32_e32 v5, v5
	v_cvt_f16_f32_e32 v5, v5
	s_branch .LBB55_1312
.LBB55_1310:
	s_mov_b64 s[16:17], -1
                                        ; implicit-def: $vgpr5
	s_branch .LBB55_1315
.LBB55_1311:
	s_mov_b64 s[16:17], -1
                                        ; implicit-def: $vgpr5
.LBB55_1312:
	s_andn2_b64 vcc, exec, s[16:17]
	s_cbranch_vccnz .LBB55_1314
; %bb.1313:
	global_load_ushort v5, v[0:1], off
	s_waitcnt vmcnt(0)
	v_cvt_f16_u16_e32 v5, v5
.LBB55_1314:
	s_mov_b64 s[16:17], 0
.LBB55_1315:
	s_andn2_b64 vcc, exec, s[16:17]
	s_cbranch_vccnz .LBB55_1323
; %bb.1316:
	global_load_ubyte v7, v[0:1], off
	s_movk_i32 s16, 0x7f
	s_waitcnt vmcnt(0)
	v_cmp_lt_i16_e32 vcc, s16, v7
	s_mov_b64 s[16:17], 0
	s_and_saveexec_b64 s[18:19], vcc
	s_xor_b64 s[18:19], exec, s[18:19]
	s_cbranch_execz .LBB55_1337
; %bb.1317:
	s_movk_i32 s16, 0x80
	v_cmp_eq_u16_e32 vcc, s16, v7
	s_mov_b64 s[16:17], -1
	s_and_saveexec_b64 s[20:21], vcc
; %bb.1318:
	s_xor_b64 s[16:17], exec, -1
; %bb.1319:
	s_or_b64 exec, exec, s[20:21]
	s_and_b64 s[16:17], s[16:17], exec
	s_or_saveexec_b64 s[18:19], s[18:19]
	v_mov_b32_e32 v5, 0x7e00
	s_xor_b64 exec, exec, s[18:19]
	s_cbranch_execnz .LBB55_1338
.LBB55_1320:
	s_or_b64 exec, exec, s[18:19]
	s_and_saveexec_b64 s[18:19], s[16:17]
	s_cbranch_execz .LBB55_1322
.LBB55_1321:
	v_lshlrev_b32_e32 v5, 24, v7
	v_and_b32_e32 v7, 0xffff, v7
	v_and_b32_e32 v8, 7, v7
	v_ffbh_u32_e32 v10, v8
	v_min_u32_e32 v10, 32, v10
	v_subrev_u32_e32 v11, 28, v10
	v_bfe_u32 v9, v7, 3, 4
	v_lshlrev_b32_e32 v7, v11, v7
	v_sub_u32_e32 v10, 29, v10
	v_and_b32_e32 v7, 7, v7
	v_cmp_eq_u32_e32 vcc, 0, v9
	v_cndmask_b32_e32 v9, v9, v10, vcc
	v_cndmask_b32_e32 v7, v8, v7, vcc
	v_mov_b32_e32 v8, 0x3b800000
	v_lshlrev_b32_e32 v7, 20, v7
	v_and_b32_e32 v5, 0x80000000, v5
	v_lshl_add_u32 v8, v9, 23, v8
	v_or3_b32 v5, v5, v8, v7
	v_cvt_f16_f32_e32 v5, v5
.LBB55_1322:
	s_or_b64 exec, exec, s[18:19]
.LBB55_1323:
	s_mov_b64 s[16:17], -1
.LBB55_1324:
	s_mov_b64 s[18:19], 0
.LBB55_1325:
	s_and_b64 vcc, exec, s[18:19]
	s_cbranch_vccz .LBB55_1358
; %bb.1326:
	s_cmp_gt_i32 s22, 22
	s_cbranch_scc0 .LBB55_1336
; %bb.1327:
	s_cmp_lt_i32 s22, 24
	s_cbranch_scc1 .LBB55_1339
; %bb.1328:
	s_cmp_gt_i32 s22, 24
	s_cbranch_scc0 .LBB55_1340
; %bb.1329:
	global_load_ubyte v7, v[0:1], off
	s_movk_i32 s12, 0x7f
	s_waitcnt vmcnt(0)
	v_cmp_lt_i16_e32 vcc, s12, v7
	s_mov_b64 s[12:13], 0
	s_and_saveexec_b64 s[16:17], vcc
	s_xor_b64 s[16:17], exec, s[16:17]
	s_cbranch_execz .LBB55_1352
; %bb.1330:
	s_movk_i32 s12, 0x80
	v_cmp_eq_u16_e32 vcc, s12, v7
	s_mov_b64 s[12:13], -1
	s_and_saveexec_b64 s[18:19], vcc
; %bb.1331:
	s_xor_b64 s[12:13], exec, -1
; %bb.1332:
	s_or_b64 exec, exec, s[18:19]
	s_and_b64 s[12:13], s[12:13], exec
	s_or_saveexec_b64 s[16:17], s[16:17]
	v_mov_b32_e32 v5, 0x7e00
	s_xor_b64 exec, exec, s[16:17]
	s_cbranch_execnz .LBB55_1353
.LBB55_1333:
	s_or_b64 exec, exec, s[16:17]
	s_and_saveexec_b64 s[16:17], s[12:13]
	s_cbranch_execz .LBB55_1335
.LBB55_1334:
	v_lshlrev_b32_e32 v5, 24, v7
	v_and_b32_e32 v7, 0xffff, v7
	v_and_b32_e32 v8, 3, v7
	v_ffbh_u32_e32 v10, v8
	v_min_u32_e32 v10, 32, v10
	v_subrev_u32_e32 v11, 29, v10
	v_bfe_u32 v9, v7, 2, 5
	v_lshlrev_b32_e32 v7, v11, v7
	v_sub_u32_e32 v10, 30, v10
	v_and_b32_e32 v7, 3, v7
	v_cmp_eq_u32_e32 vcc, 0, v9
	v_cndmask_b32_e32 v9, v9, v10, vcc
	v_cndmask_b32_e32 v7, v8, v7, vcc
	v_mov_b32_e32 v8, 0x37800000
	v_lshlrev_b32_e32 v7, 21, v7
	v_and_b32_e32 v5, 0x80000000, v5
	v_lshl_add_u32 v8, v9, 23, v8
	v_or3_b32 v5, v5, v8, v7
	v_cvt_f16_f32_e32 v5, v5
.LBB55_1335:
	s_or_b64 exec, exec, s[16:17]
	s_mov_b64 s[12:13], 0
	s_branch .LBB55_1341
.LBB55_1336:
	s_mov_b64 s[12:13], -1
                                        ; implicit-def: $vgpr5
	s_branch .LBB55_1347
.LBB55_1337:
	s_or_saveexec_b64 s[18:19], s[18:19]
	v_mov_b32_e32 v5, 0x7e00
	s_xor_b64 exec, exec, s[18:19]
	s_cbranch_execz .LBB55_1320
.LBB55_1338:
	v_cmp_ne_u16_e32 vcc, 0, v7
	s_andn2_b64 s[16:17], s[16:17], exec
	s_and_b64 s[20:21], vcc, exec
	s_or_b64 s[16:17], s[16:17], s[20:21]
	v_mov_b32_e32 v5, v7
	s_or_b64 exec, exec, s[18:19]
	s_and_saveexec_b64 s[18:19], s[16:17]
	s_cbranch_execnz .LBB55_1321
	s_branch .LBB55_1322
.LBB55_1339:
	s_mov_b64 s[12:13], -1
                                        ; implicit-def: $vgpr5
	s_branch .LBB55_1344
.LBB55_1340:
	s_mov_b64 s[12:13], -1
                                        ; implicit-def: $vgpr5
.LBB55_1341:
	s_and_b64 vcc, exec, s[12:13]
	s_cbranch_vccz .LBB55_1343
; %bb.1342:
	global_load_ubyte v5, v[0:1], off
	s_mov_b32 s12, 0x7f800000
	s_waitcnt vmcnt(0)
	v_lshlrev_b32_e32 v5, 24, v5
	v_and_b32_e32 v7, 0x7f000000, v5
	v_ffbh_u32_e32 v8, v7
	v_min_u32_e32 v8, 32, v8
	v_sub_u32_e64 v8, v8, 4 clamp
	v_lshlrev_b32_e32 v10, v8, v7
	v_lshlrev_b32_e32 v8, 23, v8
	v_lshrrev_b32_e32 v10, 4, v10
	v_add_u32_e32 v9, 0x1000000, v7
	v_sub_u32_e32 v8, v10, v8
	v_ashrrev_i32_e32 v9, 8, v9
	v_add_u32_e32 v8, 0x3c000000, v8
	v_and_or_b32 v8, v9, s12, v8
	v_cmp_ne_u32_e32 vcc, 0, v7
	v_cndmask_b32_e32 v7, 0, v8, vcc
	s_brev_b32 s12, 1
	v_and_or_b32 v5, v5, s12, v7
	v_cvt_f16_f32_e32 v5, v5
.LBB55_1343:
	s_mov_b64 s[12:13], 0
.LBB55_1344:
	s_andn2_b64 vcc, exec, s[12:13]
	s_cbranch_vccnz .LBB55_1346
; %bb.1345:
	global_load_ubyte v5, v[0:1], off
	s_movk_i32 s12, 0x7f00
	s_brev_b32 s13, 16
	s_waitcnt vmcnt(0)
	v_lshlrev_b16_e32 v7, 8, v5
	v_lshlrev_b32_e32 v5, 25, v5
	v_lshrrev_b32_e32 v8, 4, v5
	v_and_or_b32 v9, v7, s12, 0.5
	v_or_b32_e32 v8, 0x70000000, v8
	v_add_f32_e32 v9, -0.5, v9
	v_mul_f32_e32 v8, 0x7800000, v8
	v_cmp_gt_u32_e32 vcc, s13, v5
	v_bfe_i32 v7, v7, 0, 16
	v_cndmask_b32_e32 v5, v8, v9, vcc
	s_brev_b32 s12, 1
	v_and_or_b32 v5, v7, s12, v5
	v_cvt_f16_f32_e32 v5, v5
.LBB55_1346:
	s_mov_b64 s[12:13], 0
	s_mov_b64 s[16:17], -1
.LBB55_1347:
	s_andn2_b64 vcc, exec, s[12:13]
	s_mov_b64 s[12:13], 0
	s_cbranch_vccnz .LBB55_1358
; %bb.1348:
	s_cmp_gt_i32 s22, 14
	s_cbranch_scc0 .LBB55_1351
; %bb.1349:
	s_cmp_eq_u32 s22, 15
	s_cbranch_scc0 .LBB55_1354
; %bb.1350:
	global_load_ushort v5, v[0:1], off
	s_mov_b64 s[0:1], 0
	s_mov_b64 s[16:17], -1
	s_waitcnt vmcnt(0)
	v_lshlrev_b32_e32 v5, 16, v5
	v_cvt_f16_f32_e32 v5, v5
	s_branch .LBB55_1355
.LBB55_1351:
	s_mov_b64 s[18:19], -1
                                        ; implicit-def: $vgpr5
	s_branch .LBB55_1356
.LBB55_1352:
	s_or_saveexec_b64 s[16:17], s[16:17]
	v_mov_b32_e32 v5, 0x7e00
	s_xor_b64 exec, exec, s[16:17]
	s_cbranch_execz .LBB55_1333
.LBB55_1353:
	v_cmp_ne_u16_e32 vcc, 0, v7
	s_andn2_b64 s[12:13], s[12:13], exec
	s_and_b64 s[18:19], vcc, exec
	s_or_b64 s[12:13], s[12:13], s[18:19]
	v_mov_b32_e32 v5, v7
	s_or_b64 exec, exec, s[16:17]
	s_and_saveexec_b64 s[16:17], s[12:13]
	s_cbranch_execnz .LBB55_1334
	s_branch .LBB55_1335
.LBB55_1354:
	s_mov_b64 s[0:1], -1
                                        ; implicit-def: $vgpr5
.LBB55_1355:
	s_mov_b64 s[18:19], 0
.LBB55_1356:
	s_and_b64 vcc, exec, s[18:19]
	s_cbranch_vccz .LBB55_1358
; %bb.1357:
	s_cmp_lg_u32 s22, 11
	s_mov_b64 s[12:13], -1
	s_cselect_b64 s[0:1], -1, 0
.LBB55_1358:
	s_and_b64 vcc, exec, s[0:1]
	s_cbranch_vccnz .LBB55_1421
; %bb.1359:
	s_andn2_b64 vcc, exec, s[12:13]
	s_cbranch_vccnz .LBB55_1361
.LBB55_1360:
	global_load_ubyte v5, v[0:1], off
	v_mov_b32_e32 v7, 0x3c00
	s_mov_b64 s[16:17], -1
	s_waitcnt vmcnt(0)
	v_cmp_ne_u16_e32 vcc, 0, v5
	v_cndmask_b32_e32 v5, 0, v7, vcc
.LBB55_1361:
	s_branch .LBB55_1289
.LBB55_1362:
	s_cmp_lt_i32 s22, 5
	s_cbranch_scc1 .LBB55_1367
; %bb.1363:
	s_cmp_lt_i32 s22, 8
	s_cbranch_scc1 .LBB55_1368
; %bb.1364:
	;; [unrolled: 3-line block ×3, first 2 shown]
	s_cmp_gt_i32 s22, 9
	s_cbranch_scc0 .LBB55_1370
; %bb.1366:
	global_load_dwordx2 v[7:8], v[0:1], off
	s_movk_i32 s0, 0x1ff
	s_movk_i32 s1, 0xffe
	v_mov_b32_e32 v5, 0x7c00
	v_mov_b32_e32 v9, 0x7e00
	s_movk_i32 s12, 0x40f
	s_mov_b32 s13, 0x8000
	s_waitcnt vmcnt(0)
	v_and_or_b32 v7, v8, s0, v7
	v_cmp_ne_u32_e32 vcc, 0, v7
	v_lshrrev_b32_e32 v10, 8, v8
	v_bfe_u32 v11, v8, 20, 11
	v_cndmask_b32_e64 v7, 0, 1, vcc
	v_sub_u32_e32 v12, 0x3f1, v11
	v_and_or_b32 v7, v10, s1, v7
	v_add_u32_e32 v11, 0xfffffc10, v11
	v_med3_i32 v10, v12, 0, 13
	v_or_b32_e32 v12, 0x1000, v7
	v_cmp_ne_u32_e32 vcc, 0, v7
	v_lshl_or_b32 v13, v11, 12, v7
	v_cndmask_b32_e32 v7, v5, v9, vcc
	v_lshrrev_b32_e32 v9, v10, v12
	v_lshlrev_b32_e32 v10, v10, v9
	v_cmp_ne_u32_e32 vcc, v10, v12
	v_cndmask_b32_e64 v10, 0, 1, vcc
	v_or_b32_e32 v9, v9, v10
	v_cmp_gt_i32_e32 vcc, 1, v11
	v_cndmask_b32_e32 v9, v13, v9, vcc
	v_and_b32_e32 v10, 7, v9
	v_cmp_lt_i32_e32 vcc, 5, v10
	v_cndmask_b32_e64 v12, 0, 1, vcc
	v_cmp_eq_u32_e32 vcc, 3, v10
	v_cndmask_b32_e64 v10, 0, 1, vcc
	v_lshrrev_b32_e32 v9, 2, v9
	v_or_b32_e32 v10, v10, v12
	v_add_u32_e32 v9, v9, v10
	v_cmp_gt_i32_e32 vcc, 31, v11
	v_cndmask_b32_e32 v5, v5, v9, vcc
	v_cmp_eq_u32_e32 vcc, s12, v11
	v_lshrrev_b32_e32 v8, 16, v8
	v_cndmask_b32_e32 v5, v5, v7, vcc
	v_and_or_b32 v5, v8, s13, v5
	s_mov_b64 s[0:1], 0
	s_branch .LBB55_1371
.LBB55_1367:
	s_mov_b64 s[0:1], -1
                                        ; implicit-def: $vgpr5
	s_branch .LBB55_1389
.LBB55_1368:
	s_mov_b64 s[0:1], -1
                                        ; implicit-def: $vgpr5
	s_branch .LBB55_1377
.LBB55_1369:
	s_mov_b64 s[0:1], -1
                                        ; implicit-def: $vgpr5
	s_branch .LBB55_1374
.LBB55_1370:
	s_mov_b64 s[0:1], -1
                                        ; implicit-def: $vgpr5
.LBB55_1371:
	s_andn2_b64 vcc, exec, s[0:1]
	s_cbranch_vccnz .LBB55_1373
; %bb.1372:
	global_load_dword v5, v[0:1], off
	s_waitcnt vmcnt(0)
	v_cvt_f16_f32_e32 v5, v5
.LBB55_1373:
	s_mov_b64 s[0:1], 0
.LBB55_1374:
	s_andn2_b64 vcc, exec, s[0:1]
	s_cbranch_vccnz .LBB55_1376
; %bb.1375:
	global_load_dword v5, v[0:1], off
.LBB55_1376:
	s_mov_b64 s[0:1], 0
.LBB55_1377:
	s_andn2_b64 vcc, exec, s[0:1]
	s_cbranch_vccnz .LBB55_1388
; %bb.1378:
	s_cmp_lt_i32 s22, 6
	s_cbranch_scc1 .LBB55_1381
; %bb.1379:
	s_cmp_gt_i32 s22, 6
	s_cbranch_scc0 .LBB55_1382
; %bb.1380:
	global_load_dwordx2 v[7:8], v[0:1], off
	s_movk_i32 s0, 0x1ff
	s_movk_i32 s1, 0xffe
	s_waitcnt vmcnt(1)
	v_mov_b32_e32 v5, 0x7c00
	v_mov_b32_e32 v9, 0x7e00
	s_movk_i32 s12, 0x40f
	s_mov_b32 s13, 0x8000
	s_waitcnt vmcnt(0)
	v_and_or_b32 v7, v8, s0, v7
	v_cmp_ne_u32_e32 vcc, 0, v7
	v_lshrrev_b32_e32 v10, 8, v8
	v_bfe_u32 v11, v8, 20, 11
	v_cndmask_b32_e64 v7, 0, 1, vcc
	v_sub_u32_e32 v12, 0x3f1, v11
	v_and_or_b32 v7, v10, s1, v7
	v_add_u32_e32 v11, 0xfffffc10, v11
	v_med3_i32 v10, v12, 0, 13
	v_or_b32_e32 v12, 0x1000, v7
	v_cmp_ne_u32_e32 vcc, 0, v7
	v_lshl_or_b32 v13, v11, 12, v7
	v_cndmask_b32_e32 v7, v5, v9, vcc
	v_lshrrev_b32_e32 v9, v10, v12
	v_lshlrev_b32_e32 v10, v10, v9
	v_cmp_ne_u32_e32 vcc, v10, v12
	v_cndmask_b32_e64 v10, 0, 1, vcc
	v_or_b32_e32 v9, v9, v10
	v_cmp_gt_i32_e32 vcc, 1, v11
	v_cndmask_b32_e32 v9, v13, v9, vcc
	v_and_b32_e32 v10, 7, v9
	v_cmp_lt_i32_e32 vcc, 5, v10
	v_cndmask_b32_e64 v12, 0, 1, vcc
	v_cmp_eq_u32_e32 vcc, 3, v10
	v_cndmask_b32_e64 v10, 0, 1, vcc
	v_lshrrev_b32_e32 v9, 2, v9
	v_or_b32_e32 v10, v10, v12
	v_add_u32_e32 v9, v9, v10
	v_cmp_gt_i32_e32 vcc, 31, v11
	v_cndmask_b32_e32 v5, v5, v9, vcc
	v_cmp_eq_u32_e32 vcc, s12, v11
	v_lshrrev_b32_e32 v8, 16, v8
	v_cndmask_b32_e32 v5, v5, v7, vcc
	v_and_or_b32 v5, v8, s13, v5
	s_mov_b64 s[0:1], 0
	s_branch .LBB55_1383
.LBB55_1381:
	s_mov_b64 s[0:1], -1
                                        ; implicit-def: $vgpr5
	s_branch .LBB55_1386
.LBB55_1382:
	s_mov_b64 s[0:1], -1
                                        ; implicit-def: $vgpr5
.LBB55_1383:
	s_andn2_b64 vcc, exec, s[0:1]
	s_cbranch_vccnz .LBB55_1385
; %bb.1384:
	global_load_dword v5, v[0:1], off
	s_waitcnt vmcnt(0)
	v_cvt_f16_f32_e32 v5, v5
.LBB55_1385:
	s_mov_b64 s[0:1], 0
.LBB55_1386:
	s_andn2_b64 vcc, exec, s[0:1]
	s_cbranch_vccnz .LBB55_1388
; %bb.1387:
	global_load_ushort v5, v[0:1], off
.LBB55_1388:
	s_mov_b64 s[0:1], 0
.LBB55_1389:
	s_andn2_b64 vcc, exec, s[0:1]
	s_cbranch_vccnz .LBB55_1409
; %bb.1390:
	s_cmp_lt_i32 s22, 2
	s_cbranch_scc1 .LBB55_1394
; %bb.1391:
	s_cmp_lt_i32 s22, 3
	s_cbranch_scc1 .LBB55_1395
; %bb.1392:
	s_cmp_gt_i32 s22, 3
	s_cbranch_scc0 .LBB55_1396
; %bb.1393:
	global_load_dwordx2 v[7:8], v[0:1], off
	s_mov_b64 s[0:1], 0
	s_waitcnt vmcnt(0)
	v_xor_b32_e32 v9, v7, v8
	v_ffbh_i32_e32 v5, v8
	v_ashrrev_i32_e32 v9, 31, v9
	v_add_u32_e32 v5, -1, v5
	v_add_u32_e32 v9, 32, v9
	v_min_u32_e32 v5, v5, v9
	v_lshlrev_b64 v[7:8], v5, v[7:8]
	v_sub_u32_e32 v5, 32, v5
	v_min_u32_e32 v7, 1, v7
	v_or_b32_e32 v7, v8, v7
	v_cvt_f32_i32_e32 v7, v7
	v_ldexp_f32 v5, v7, v5
	v_cvt_f16_f32_e32 v5, v5
	s_branch .LBB55_1397
.LBB55_1394:
	s_mov_b64 s[0:1], -1
                                        ; implicit-def: $vgpr5
	s_branch .LBB55_1403
.LBB55_1395:
	s_mov_b64 s[0:1], -1
                                        ; implicit-def: $vgpr5
	s_branch .LBB55_1400
.LBB55_1396:
	s_mov_b64 s[0:1], -1
                                        ; implicit-def: $vgpr5
.LBB55_1397:
	s_andn2_b64 vcc, exec, s[0:1]
	s_cbranch_vccnz .LBB55_1399
; %bb.1398:
	global_load_dword v5, v[0:1], off
	s_waitcnt vmcnt(0)
	v_cvt_f32_i32_e32 v5, v5
	v_cvt_f16_f32_e32 v5, v5
.LBB55_1399:
	s_mov_b64 s[0:1], 0
.LBB55_1400:
	s_andn2_b64 vcc, exec, s[0:1]
	s_cbranch_vccnz .LBB55_1402
; %bb.1401:
	global_load_ushort v5, v[0:1], off
	s_waitcnt vmcnt(0)
	v_cvt_f16_i16_e32 v5, v5
.LBB55_1402:
	s_mov_b64 s[0:1], 0
.LBB55_1403:
	s_andn2_b64 vcc, exec, s[0:1]
	s_cbranch_vccnz .LBB55_1409
; %bb.1404:
	s_cmp_gt_i32 s22, 0
	s_cbranch_scc0 .LBB55_1406
; %bb.1405:
	global_load_sbyte v5, v[0:1], off
	s_mov_b64 s[0:1], 0
	s_waitcnt vmcnt(0)
	v_cvt_f16_i16_e32 v5, v5
	s_branch .LBB55_1407
.LBB55_1406:
	s_mov_b64 s[0:1], -1
                                        ; implicit-def: $vgpr5
.LBB55_1407:
	s_andn2_b64 vcc, exec, s[0:1]
	s_cbranch_vccnz .LBB55_1409
; %bb.1408:
	global_load_ubyte v0, v[0:1], off
	s_waitcnt vmcnt(0)
	v_cvt_f16_u16_e32 v5, v0
.LBB55_1409:
.LBB55_1410:
	v_add_u32_e32 v0, s3, v6
	v_ashrrev_i32_e32 v1, 31, v0
	v_mov_b32_e32 v6, s11
	v_add_co_u32_e32 v0, vcc, s10, v0
	s_cmp_lt_i32 s22, 11
	v_addc_co_u32_e32 v1, vcc, v6, v1, vcc
	s_cbranch_scc1 .LBB55_1417
; %bb.1411:
	s_cmp_gt_i32 s22, 25
	s_mov_b64 s[10:11], 0
	s_cbranch_scc0 .LBB55_1418
; %bb.1412:
	s_cmp_gt_i32 s22, 28
	s_cbranch_scc0 .LBB55_1419
; %bb.1413:
	s_cmp_gt_i32 s22, 43
	;; [unrolled: 3-line block ×3, first 2 shown]
	s_cbranch_scc0 .LBB55_1422
; %bb.1415:
	s_cmp_eq_u32 s22, 46
	s_mov_b64 s[16:17], 0
	s_cbranch_scc0 .LBB55_1423
; %bb.1416:
	global_load_dword v6, v[0:1], off
	s_mov_b64 s[0:1], 0
	s_mov_b64 s[12:13], -1
	s_waitcnt vmcnt(0)
	v_lshlrev_b32_e32 v6, 16, v6
	v_cvt_f16_f32_e32 v6, v6
	s_branch .LBB55_1424
.LBB55_1417:
	s_mov_b64 s[0:1], -1
	s_mov_b64 s[12:13], 0
                                        ; implicit-def: $vgpr6
	s_branch .LBB55_1490
.LBB55_1418:
	s_mov_b64 s[16:17], -1
	s_mov_b64 s[12:13], 0
	s_mov_b64 s[0:1], 0
                                        ; implicit-def: $vgpr6
	s_branch .LBB55_1453
.LBB55_1419:
	s_mov_b64 s[16:17], -1
	s_mov_b64 s[12:13], 0
	s_mov_b64 s[0:1], 0
                                        ; implicit-def: $vgpr6
	s_branch .LBB55_1434
.LBB55_1420:
	s_mov_b64 s[16:17], -1
	s_mov_b64 s[12:13], 0
	s_mov_b64 s[0:1], 0
                                        ; implicit-def: $vgpr6
	s_branch .LBB55_1429
.LBB55_1421:
	s_trap 2
	s_or_b64 s[14:15], s[14:15], exec
	s_cbranch_execz .LBB55_1360
	s_branch .LBB55_1361
.LBB55_1422:
	s_mov_b64 s[16:17], -1
	s_mov_b64 s[12:13], 0
	s_mov_b64 s[0:1], 0
                                        ; implicit-def: $vgpr6
	s_branch .LBB55_1424
.LBB55_1423:
	s_mov_b64 s[0:1], -1
                                        ; implicit-def: $vgpr6
	s_mov_b64 s[12:13], 0
.LBB55_1424:
	s_and_b64 vcc, exec, s[16:17]
	s_cbranch_vccz .LBB55_1428
; %bb.1425:
	s_cmp_eq_u32 s22, 44
	s_cbranch_scc0 .LBB55_1427
; %bb.1426:
	global_load_ubyte v6, v[0:1], off
	s_movk_i32 s3, 0xff
	v_mov_b32_e32 v8, 0x7e00
	s_mov_b64 s[0:1], 0
	s_mov_b64 s[12:13], -1
	s_waitcnt vmcnt(0)
	v_lshlrev_b32_e32 v7, 23, v6
	v_cvt_f16_f32_e32 v7, v7
	v_cmp_ne_u32_e32 vcc, s3, v6
	v_cndmask_b32_e32 v7, v8, v7, vcc
	v_cmp_ne_u32_e32 vcc, 0, v6
	v_cndmask_b32_e32 v6, 0, v7, vcc
	s_branch .LBB55_1428
.LBB55_1427:
	s_mov_b64 s[0:1], -1
                                        ; implicit-def: $vgpr6
.LBB55_1428:
	s_mov_b64 s[16:17], 0
.LBB55_1429:
	s_and_b64 vcc, exec, s[16:17]
	s_cbranch_vccz .LBB55_1433
; %bb.1430:
	s_cmp_eq_u32 s22, 29
	s_cbranch_scc0 .LBB55_1432
; %bb.1431:
	global_load_dwordx2 v[6:7], v[0:1], off
	s_mov_b64 s[0:1], 0
	s_mov_b64 s[12:13], -1
	s_mov_b64 s[16:17], 0
	s_waitcnt vmcnt(0)
	v_ffbh_u32_e32 v8, v7
	v_min_u32_e32 v8, 32, v8
	v_lshlrev_b64 v[6:7], v8, v[6:7]
	v_min_u32_e32 v6, 1, v6
	v_or_b32_e32 v6, v7, v6
	v_cvt_f32_u32_e32 v6, v6
	v_sub_u32_e32 v7, 32, v8
	v_ldexp_f32 v6, v6, v7
	v_cvt_f16_f32_e32 v6, v6
	s_branch .LBB55_1434
.LBB55_1432:
	s_mov_b64 s[0:1], -1
                                        ; implicit-def: $vgpr6
.LBB55_1433:
	s_mov_b64 s[16:17], 0
.LBB55_1434:
	s_and_b64 vcc, exec, s[16:17]
	s_cbranch_vccz .LBB55_1452
; %bb.1435:
	s_cmp_lt_i32 s22, 27
	s_cbranch_scc1 .LBB55_1438
; %bb.1436:
	s_cmp_gt_i32 s22, 27
	s_cbranch_scc0 .LBB55_1439
; %bb.1437:
	global_load_dword v6, v[0:1], off
	s_mov_b64 s[12:13], 0
	s_waitcnt vmcnt(0)
	v_cvt_f32_u32_e32 v6, v6
	v_cvt_f16_f32_e32 v6, v6
	s_branch .LBB55_1440
.LBB55_1438:
	s_mov_b64 s[12:13], -1
                                        ; implicit-def: $vgpr6
	s_branch .LBB55_1443
.LBB55_1439:
	s_mov_b64 s[12:13], -1
                                        ; implicit-def: $vgpr6
.LBB55_1440:
	s_andn2_b64 vcc, exec, s[12:13]
	s_cbranch_vccnz .LBB55_1442
; %bb.1441:
	global_load_ushort v6, v[0:1], off
	s_waitcnt vmcnt(0)
	v_cvt_f16_u16_e32 v6, v6
.LBB55_1442:
	s_mov_b64 s[12:13], 0
.LBB55_1443:
	s_andn2_b64 vcc, exec, s[12:13]
	s_cbranch_vccnz .LBB55_1451
; %bb.1444:
	global_load_ubyte v7, v[0:1], off
	s_movk_i32 s3, 0x7f
	s_mov_b64 s[12:13], 0
	s_waitcnt vmcnt(0)
	v_cmp_lt_i16_e32 vcc, s3, v7
	s_and_saveexec_b64 s[16:17], vcc
	s_xor_b64 s[16:17], exec, s[16:17]
	s_cbranch_execz .LBB55_1465
; %bb.1445:
	s_movk_i32 s3, 0x80
	v_cmp_eq_u16_e32 vcc, s3, v7
	s_mov_b64 s[12:13], -1
	s_and_saveexec_b64 s[18:19], vcc
; %bb.1446:
	s_xor_b64 s[12:13], exec, -1
; %bb.1447:
	s_or_b64 exec, exec, s[18:19]
	s_and_b64 s[12:13], s[12:13], exec
	s_or_saveexec_b64 s[16:17], s[16:17]
	v_mov_b32_e32 v6, 0x7e00
	s_xor_b64 exec, exec, s[16:17]
	s_cbranch_execnz .LBB55_1466
.LBB55_1448:
	s_or_b64 exec, exec, s[16:17]
	s_and_saveexec_b64 s[16:17], s[12:13]
	s_cbranch_execz .LBB55_1450
.LBB55_1449:
	v_lshlrev_b32_e32 v6, 24, v7
	v_and_b32_e32 v7, 0xffff, v7
	v_and_b32_e32 v8, 7, v7
	v_ffbh_u32_e32 v10, v8
	v_min_u32_e32 v10, 32, v10
	v_subrev_u32_e32 v11, 28, v10
	v_bfe_u32 v9, v7, 3, 4
	v_lshlrev_b32_e32 v7, v11, v7
	v_sub_u32_e32 v10, 29, v10
	v_and_b32_e32 v7, 7, v7
	v_cmp_eq_u32_e32 vcc, 0, v9
	v_cndmask_b32_e32 v9, v9, v10, vcc
	v_cndmask_b32_e32 v7, v8, v7, vcc
	v_mov_b32_e32 v8, 0x3b800000
	v_lshlrev_b32_e32 v7, 20, v7
	v_and_b32_e32 v6, 0x80000000, v6
	v_lshl_add_u32 v8, v9, 23, v8
	v_or3_b32 v6, v6, v8, v7
	v_cvt_f16_f32_e32 v6, v6
.LBB55_1450:
	s_or_b64 exec, exec, s[16:17]
.LBB55_1451:
	s_mov_b64 s[12:13], -1
.LBB55_1452:
	s_mov_b64 s[16:17], 0
.LBB55_1453:
	s_and_b64 vcc, exec, s[16:17]
	s_cbranch_vccz .LBB55_1486
; %bb.1454:
	s_cmp_gt_i32 s22, 22
	s_cbranch_scc0 .LBB55_1464
; %bb.1455:
	s_cmp_lt_i32 s22, 24
	s_cbranch_scc1 .LBB55_1467
; %bb.1456:
	s_cmp_gt_i32 s22, 24
	s_cbranch_scc0 .LBB55_1468
; %bb.1457:
	global_load_ubyte v7, v[0:1], off
	s_movk_i32 s3, 0x7f
	s_waitcnt vmcnt(0)
	v_cmp_lt_i16_e32 vcc, s3, v7
	s_and_saveexec_b64 s[12:13], vcc
	s_xor_b64 s[12:13], exec, s[12:13]
	s_cbranch_execz .LBB55_1480
; %bb.1458:
	s_movk_i32 s3, 0x80
	v_cmp_eq_u16_e32 vcc, s3, v7
	s_mov_b64 s[10:11], -1
	s_and_saveexec_b64 s[16:17], vcc
; %bb.1459:
	s_xor_b64 s[10:11], exec, -1
; %bb.1460:
	s_or_b64 exec, exec, s[16:17]
	s_and_b64 s[10:11], s[10:11], exec
	s_or_saveexec_b64 s[12:13], s[12:13]
	v_mov_b32_e32 v6, 0x7e00
	s_xor_b64 exec, exec, s[12:13]
	s_cbranch_execnz .LBB55_1481
.LBB55_1461:
	s_or_b64 exec, exec, s[12:13]
	s_and_saveexec_b64 s[12:13], s[10:11]
	s_cbranch_execz .LBB55_1463
.LBB55_1462:
	v_lshlrev_b32_e32 v6, 24, v7
	v_and_b32_e32 v7, 0xffff, v7
	v_and_b32_e32 v8, 3, v7
	v_ffbh_u32_e32 v10, v8
	v_min_u32_e32 v10, 32, v10
	v_subrev_u32_e32 v11, 29, v10
	v_bfe_u32 v9, v7, 2, 5
	v_lshlrev_b32_e32 v7, v11, v7
	v_sub_u32_e32 v10, 30, v10
	v_and_b32_e32 v7, 3, v7
	v_cmp_eq_u32_e32 vcc, 0, v9
	v_cndmask_b32_e32 v9, v9, v10, vcc
	v_cndmask_b32_e32 v7, v8, v7, vcc
	v_mov_b32_e32 v8, 0x37800000
	v_lshlrev_b32_e32 v7, 21, v7
	v_and_b32_e32 v6, 0x80000000, v6
	v_lshl_add_u32 v8, v9, 23, v8
	v_or3_b32 v6, v6, v8, v7
	v_cvt_f16_f32_e32 v6, v6
.LBB55_1463:
	s_or_b64 exec, exec, s[12:13]
	s_mov_b64 s[10:11], 0
	s_branch .LBB55_1469
.LBB55_1464:
	s_mov_b64 s[10:11], -1
                                        ; implicit-def: $vgpr6
	s_branch .LBB55_1475
.LBB55_1465:
	s_or_saveexec_b64 s[16:17], s[16:17]
	v_mov_b32_e32 v6, 0x7e00
	s_xor_b64 exec, exec, s[16:17]
	s_cbranch_execz .LBB55_1448
.LBB55_1466:
	v_cmp_ne_u16_e32 vcc, 0, v7
	s_andn2_b64 s[12:13], s[12:13], exec
	s_and_b64 s[18:19], vcc, exec
	s_or_b64 s[12:13], s[12:13], s[18:19]
	v_mov_b32_e32 v6, v7
	s_or_b64 exec, exec, s[16:17]
	s_and_saveexec_b64 s[16:17], s[12:13]
	s_cbranch_execnz .LBB55_1449
	s_branch .LBB55_1450
.LBB55_1467:
	s_mov_b64 s[10:11], -1
                                        ; implicit-def: $vgpr6
	s_branch .LBB55_1472
.LBB55_1468:
	s_mov_b64 s[10:11], -1
                                        ; implicit-def: $vgpr6
.LBB55_1469:
	s_and_b64 vcc, exec, s[10:11]
	s_cbranch_vccz .LBB55_1471
; %bb.1470:
	global_load_ubyte v6, v[0:1], off
	s_mov_b32 s3, 0x7f800000
	s_waitcnt vmcnt(0)
	v_lshlrev_b32_e32 v6, 24, v6
	v_and_b32_e32 v7, 0x7f000000, v6
	v_ffbh_u32_e32 v8, v7
	v_min_u32_e32 v8, 32, v8
	v_sub_u32_e64 v8, v8, 4 clamp
	v_lshlrev_b32_e32 v10, v8, v7
	v_lshlrev_b32_e32 v8, 23, v8
	v_lshrrev_b32_e32 v10, 4, v10
	v_add_u32_e32 v9, 0x1000000, v7
	v_sub_u32_e32 v8, v10, v8
	v_ashrrev_i32_e32 v9, 8, v9
	v_add_u32_e32 v8, 0x3c000000, v8
	v_and_or_b32 v8, v9, s3, v8
	v_cmp_ne_u32_e32 vcc, 0, v7
	v_cndmask_b32_e32 v7, 0, v8, vcc
	s_brev_b32 s3, 1
	v_and_or_b32 v6, v6, s3, v7
	v_cvt_f16_f32_e32 v6, v6
.LBB55_1471:
	s_mov_b64 s[10:11], 0
.LBB55_1472:
	s_andn2_b64 vcc, exec, s[10:11]
	s_cbranch_vccnz .LBB55_1474
; %bb.1473:
	global_load_ubyte v6, v[0:1], off
	s_movk_i32 s3, 0x7f00
	s_brev_b32 s10, 16
	s_waitcnt vmcnt(0)
	v_lshlrev_b16_e32 v7, 8, v6
	v_lshlrev_b32_e32 v6, 25, v6
	v_lshrrev_b32_e32 v8, 4, v6
	v_and_or_b32 v9, v7, s3, 0.5
	v_or_b32_e32 v8, 0x70000000, v8
	v_add_f32_e32 v9, -0.5, v9
	v_mul_f32_e32 v8, 0x7800000, v8
	v_cmp_gt_u32_e32 vcc, s10, v6
	v_bfe_i32 v7, v7, 0, 16
	v_cndmask_b32_e32 v6, v8, v9, vcc
	s_brev_b32 s3, 1
	v_and_or_b32 v6, v7, s3, v6
	v_cvt_f16_f32_e32 v6, v6
.LBB55_1474:
	s_mov_b64 s[10:11], 0
	s_mov_b64 s[12:13], -1
.LBB55_1475:
	s_andn2_b64 vcc, exec, s[10:11]
	s_mov_b64 s[10:11], 0
	s_cbranch_vccnz .LBB55_1486
; %bb.1476:
	s_cmp_gt_i32 s22, 14
	s_cbranch_scc0 .LBB55_1479
; %bb.1477:
	s_cmp_eq_u32 s22, 15
	s_cbranch_scc0 .LBB55_1482
; %bb.1478:
	global_load_ushort v6, v[0:1], off
	s_mov_b64 s[0:1], 0
	s_mov_b64 s[12:13], -1
	s_waitcnt vmcnt(0)
	v_lshlrev_b32_e32 v6, 16, v6
	v_cvt_f16_f32_e32 v6, v6
	s_branch .LBB55_1483
.LBB55_1479:
	s_mov_b64 s[16:17], -1
                                        ; implicit-def: $vgpr6
	s_branch .LBB55_1484
.LBB55_1480:
	s_or_saveexec_b64 s[12:13], s[12:13]
	v_mov_b32_e32 v6, 0x7e00
	s_xor_b64 exec, exec, s[12:13]
	s_cbranch_execz .LBB55_1461
.LBB55_1481:
	v_cmp_ne_u16_e32 vcc, 0, v7
	s_andn2_b64 s[10:11], s[10:11], exec
	s_and_b64 s[16:17], vcc, exec
	s_or_b64 s[10:11], s[10:11], s[16:17]
	v_mov_b32_e32 v6, v7
	s_or_b64 exec, exec, s[12:13]
	s_and_saveexec_b64 s[12:13], s[10:11]
	s_cbranch_execnz .LBB55_1462
	s_branch .LBB55_1463
.LBB55_1482:
	s_mov_b64 s[0:1], -1
                                        ; implicit-def: $vgpr6
.LBB55_1483:
	s_mov_b64 s[16:17], 0
.LBB55_1484:
	s_and_b64 vcc, exec, s[16:17]
	s_cbranch_vccz .LBB55_1486
; %bb.1485:
	s_cmp_lg_u32 s22, 11
	s_mov_b64 s[10:11], -1
	s_cselect_b64 s[0:1], -1, 0
.LBB55_1486:
	s_and_b64 vcc, exec, s[0:1]
	s_cbranch_vccnz .LBB55_2019
; %bb.1487:
	s_andn2_b64 vcc, exec, s[10:11]
	s_cbranch_vccnz .LBB55_1489
.LBB55_1488:
	global_load_ubyte v6, v[0:1], off
	v_mov_b32_e32 v7, 0x3c00
	s_mov_b64 s[12:13], -1
	s_waitcnt vmcnt(0)
	v_cmp_ne_u16_e32 vcc, 0, v6
	v_cndmask_b32_e32 v6, 0, v7, vcc
.LBB55_1489:
	s_mov_b64 s[0:1], 0
.LBB55_1490:
	s_and_b64 vcc, exec, s[0:1]
	s_cbranch_vccz .LBB55_1539
; %bb.1491:
	s_cmp_lt_i32 s22, 5
	s_cbranch_scc1 .LBB55_1496
; %bb.1492:
	s_cmp_lt_i32 s22, 8
	s_cbranch_scc1 .LBB55_1497
	;; [unrolled: 3-line block ×3, first 2 shown]
; %bb.1494:
	s_cmp_gt_i32 s22, 9
	s_cbranch_scc0 .LBB55_1499
; %bb.1495:
	global_load_dwordx2 v[6:7], v[0:1], off
	s_movk_i32 s0, 0x1ff
	s_movk_i32 s1, 0xffe
	v_mov_b32_e32 v8, 0x7c00
	v_mov_b32_e32 v9, 0x7e00
	s_movk_i32 s3, 0x40f
	s_mov_b32 s10, 0x8000
	s_waitcnt vmcnt(0)
	v_and_or_b32 v6, v7, s0, v6
	v_cmp_ne_u32_e32 vcc, 0, v6
	v_lshrrev_b32_e32 v10, 8, v7
	v_bfe_u32 v11, v7, 20, 11
	v_cndmask_b32_e64 v6, 0, 1, vcc
	v_sub_u32_e32 v12, 0x3f1, v11
	v_and_or_b32 v6, v10, s1, v6
	v_add_u32_e32 v11, 0xfffffc10, v11
	v_med3_i32 v10, v12, 0, 13
	v_or_b32_e32 v12, 0x1000, v6
	v_cmp_ne_u32_e32 vcc, 0, v6
	v_lshl_or_b32 v13, v11, 12, v6
	v_cndmask_b32_e32 v6, v8, v9, vcc
	v_lshrrev_b32_e32 v9, v10, v12
	v_lshlrev_b32_e32 v10, v10, v9
	v_cmp_ne_u32_e32 vcc, v10, v12
	v_cndmask_b32_e64 v10, 0, 1, vcc
	v_or_b32_e32 v9, v9, v10
	v_cmp_gt_i32_e32 vcc, 1, v11
	v_cndmask_b32_e32 v9, v13, v9, vcc
	v_and_b32_e32 v10, 7, v9
	v_cmp_lt_i32_e32 vcc, 5, v10
	v_cndmask_b32_e64 v12, 0, 1, vcc
	v_cmp_eq_u32_e32 vcc, 3, v10
	v_cndmask_b32_e64 v10, 0, 1, vcc
	v_lshrrev_b32_e32 v9, 2, v9
	v_or_b32_e32 v10, v10, v12
	v_add_u32_e32 v9, v9, v10
	v_cmp_gt_i32_e32 vcc, 31, v11
	v_cndmask_b32_e32 v8, v8, v9, vcc
	v_cmp_eq_u32_e32 vcc, s3, v11
	v_lshrrev_b32_e32 v7, 16, v7
	v_cndmask_b32_e32 v6, v8, v6, vcc
	v_and_or_b32 v6, v7, s10, v6
	s_mov_b64 s[0:1], 0
	s_branch .LBB55_1500
.LBB55_1496:
	s_mov_b64 s[0:1], -1
                                        ; implicit-def: $vgpr6
	s_branch .LBB55_1518
.LBB55_1497:
	s_mov_b64 s[0:1], -1
                                        ; implicit-def: $vgpr6
	s_branch .LBB55_1506
.LBB55_1498:
	s_mov_b64 s[0:1], -1
                                        ; implicit-def: $vgpr6
	s_branch .LBB55_1503
.LBB55_1499:
	s_mov_b64 s[0:1], -1
                                        ; implicit-def: $vgpr6
.LBB55_1500:
	s_andn2_b64 vcc, exec, s[0:1]
	s_cbranch_vccnz .LBB55_1502
; %bb.1501:
	global_load_dword v6, v[0:1], off
	s_waitcnt vmcnt(0)
	v_cvt_f16_f32_e32 v6, v6
.LBB55_1502:
	s_mov_b64 s[0:1], 0
.LBB55_1503:
	s_andn2_b64 vcc, exec, s[0:1]
	s_cbranch_vccnz .LBB55_1505
; %bb.1504:
	global_load_dword v6, v[0:1], off
.LBB55_1505:
	s_mov_b64 s[0:1], 0
.LBB55_1506:
	s_andn2_b64 vcc, exec, s[0:1]
	s_cbranch_vccnz .LBB55_1517
; %bb.1507:
	s_cmp_lt_i32 s22, 6
	s_cbranch_scc1 .LBB55_1510
; %bb.1508:
	s_cmp_gt_i32 s22, 6
	s_cbranch_scc0 .LBB55_1511
; %bb.1509:
	global_load_dwordx2 v[6:7], v[0:1], off
	s_movk_i32 s0, 0x1ff
	s_movk_i32 s1, 0xffe
	v_mov_b32_e32 v8, 0x7c00
	v_mov_b32_e32 v9, 0x7e00
	s_movk_i32 s3, 0x40f
	s_mov_b32 s10, 0x8000
	s_waitcnt vmcnt(0)
	v_and_or_b32 v6, v7, s0, v6
	v_cmp_ne_u32_e32 vcc, 0, v6
	v_lshrrev_b32_e32 v10, 8, v7
	v_bfe_u32 v11, v7, 20, 11
	v_cndmask_b32_e64 v6, 0, 1, vcc
	v_sub_u32_e32 v12, 0x3f1, v11
	v_and_or_b32 v6, v10, s1, v6
	v_add_u32_e32 v11, 0xfffffc10, v11
	v_med3_i32 v10, v12, 0, 13
	v_or_b32_e32 v12, 0x1000, v6
	v_cmp_ne_u32_e32 vcc, 0, v6
	v_lshl_or_b32 v13, v11, 12, v6
	v_cndmask_b32_e32 v6, v8, v9, vcc
	v_lshrrev_b32_e32 v9, v10, v12
	v_lshlrev_b32_e32 v10, v10, v9
	v_cmp_ne_u32_e32 vcc, v10, v12
	v_cndmask_b32_e64 v10, 0, 1, vcc
	v_or_b32_e32 v9, v9, v10
	v_cmp_gt_i32_e32 vcc, 1, v11
	v_cndmask_b32_e32 v9, v13, v9, vcc
	v_and_b32_e32 v10, 7, v9
	v_cmp_lt_i32_e32 vcc, 5, v10
	v_cndmask_b32_e64 v12, 0, 1, vcc
	v_cmp_eq_u32_e32 vcc, 3, v10
	v_cndmask_b32_e64 v10, 0, 1, vcc
	v_lshrrev_b32_e32 v9, 2, v9
	v_or_b32_e32 v10, v10, v12
	v_add_u32_e32 v9, v9, v10
	v_cmp_gt_i32_e32 vcc, 31, v11
	v_cndmask_b32_e32 v8, v8, v9, vcc
	v_cmp_eq_u32_e32 vcc, s3, v11
	v_lshrrev_b32_e32 v7, 16, v7
	v_cndmask_b32_e32 v6, v8, v6, vcc
	v_and_or_b32 v6, v7, s10, v6
	s_mov_b64 s[0:1], 0
	s_branch .LBB55_1512
.LBB55_1510:
	s_mov_b64 s[0:1], -1
                                        ; implicit-def: $vgpr6
	s_branch .LBB55_1515
.LBB55_1511:
	s_mov_b64 s[0:1], -1
                                        ; implicit-def: $vgpr6
.LBB55_1512:
	s_andn2_b64 vcc, exec, s[0:1]
	s_cbranch_vccnz .LBB55_1514
; %bb.1513:
	global_load_dword v6, v[0:1], off
	s_waitcnt vmcnt(0)
	v_cvt_f16_f32_e32 v6, v6
.LBB55_1514:
	s_mov_b64 s[0:1], 0
.LBB55_1515:
	s_andn2_b64 vcc, exec, s[0:1]
	s_cbranch_vccnz .LBB55_1517
; %bb.1516:
	global_load_ushort v6, v[0:1], off
.LBB55_1517:
	s_mov_b64 s[0:1], 0
.LBB55_1518:
	s_andn2_b64 vcc, exec, s[0:1]
	s_cbranch_vccnz .LBB55_1538
; %bb.1519:
	s_cmp_lt_i32 s22, 2
	s_cbranch_scc1 .LBB55_1523
; %bb.1520:
	s_cmp_lt_i32 s22, 3
	s_cbranch_scc1 .LBB55_1524
; %bb.1521:
	s_cmp_gt_i32 s22, 3
	s_cbranch_scc0 .LBB55_1525
; %bb.1522:
	global_load_dwordx2 v[6:7], v[0:1], off
	s_mov_b64 s[0:1], 0
	s_waitcnt vmcnt(0)
	v_xor_b32_e32 v9, v6, v7
	v_ffbh_i32_e32 v8, v7
	v_ashrrev_i32_e32 v9, 31, v9
	v_add_u32_e32 v8, -1, v8
	v_add_u32_e32 v9, 32, v9
	v_min_u32_e32 v8, v8, v9
	v_lshlrev_b64 v[6:7], v8, v[6:7]
	v_min_u32_e32 v6, 1, v6
	v_or_b32_e32 v6, v7, v6
	v_cvt_f32_i32_e32 v6, v6
	v_sub_u32_e32 v7, 32, v8
	v_ldexp_f32 v6, v6, v7
	v_cvt_f16_f32_e32 v6, v6
	s_branch .LBB55_1526
.LBB55_1523:
	s_mov_b64 s[0:1], -1
                                        ; implicit-def: $vgpr6
	s_branch .LBB55_1532
.LBB55_1524:
	s_mov_b64 s[0:1], -1
                                        ; implicit-def: $vgpr6
	s_branch .LBB55_1529
.LBB55_1525:
	s_mov_b64 s[0:1], -1
                                        ; implicit-def: $vgpr6
.LBB55_1526:
	s_andn2_b64 vcc, exec, s[0:1]
	s_cbranch_vccnz .LBB55_1528
; %bb.1527:
	global_load_dword v6, v[0:1], off
	s_waitcnt vmcnt(0)
	v_cvt_f32_i32_e32 v6, v6
	v_cvt_f16_f32_e32 v6, v6
.LBB55_1528:
	s_mov_b64 s[0:1], 0
.LBB55_1529:
	s_andn2_b64 vcc, exec, s[0:1]
	s_cbranch_vccnz .LBB55_1531
; %bb.1530:
	global_load_ushort v6, v[0:1], off
	s_waitcnt vmcnt(0)
	v_cvt_f16_i16_e32 v6, v6
.LBB55_1531:
	s_mov_b64 s[0:1], 0
.LBB55_1532:
	s_andn2_b64 vcc, exec, s[0:1]
	s_cbranch_vccnz .LBB55_1538
; %bb.1533:
	s_cmp_gt_i32 s22, 0
	s_cbranch_scc0 .LBB55_1535
; %bb.1534:
	global_load_sbyte v6, v[0:1], off
	s_mov_b64 s[0:1], 0
	s_waitcnt vmcnt(0)
	v_cvt_f16_i16_e32 v6, v6
	s_branch .LBB55_1536
.LBB55_1535:
	s_mov_b64 s[0:1], -1
                                        ; implicit-def: $vgpr6
.LBB55_1536:
	s_andn2_b64 vcc, exec, s[0:1]
	s_cbranch_vccnz .LBB55_1538
; %bb.1537:
	global_load_ubyte v0, v[0:1], off
	s_waitcnt vmcnt(0)
	v_cvt_f16_u16_e32 v6, v0
.LBB55_1538:
	s_mov_b64 s[12:13], -1
.LBB55_1539:
	s_andn2_b64 vcc, exec, s[12:13]
	s_cbranch_vccnz .LBB55_1973
; %bb.1540:
	s_waitcnt vmcnt(0)
	v_cvt_f32_f16_e32 v0, v3
	s_mov_b32 s0, -0.5
	v_mov_b32_e32 v1, 0.5
	v_fma_mix_f32 v1, |v3|, s0, v1 op_sel_hi:[1,0,0]
	v_mul_f32_e32 v7, v0, v0
	v_cmp_ge_f32_e64 vcc, |v0|, 0.5
	v_cndmask_b32_e32 v1, v7, v1, vcc
	v_mov_b32_e32 v7, 0x3c5fc5da
	v_fmac_f32_e32 v7, 0x3d1c21a7, v1
	v_mov_b32_e32 v8, 0x3d034c3c
	v_fmac_f32_e32 v8, v1, v7
	;; [unrolled: 2-line block ×4, first 2 shown]
	v_sqrt_f32_e32 v7, v1
	v_mov_b32_e32 v9, 0x3e2aaaac
	v_fmac_f32_e32 v9, v1, v8
	v_mul_f32_e32 v1, v1, v9
	v_fmac_f32_e32 v7, v7, v1
	v_add_f32_e32 v7, v7, v7
	v_sub_f32_e32 v7, 0x3fc90fdb, v7
	v_fma_mix_f32 v1, |v3|, v1, |v3| op_sel_hi:[1,0,1]
	v_cmp_lt_f32_e64 vcc, |v0|, 0.5
	v_cndmask_b32_e32 v0, v7, v1, vcc
	v_cvt_f16_f32_e32 v0, v0
	v_mul_lo_u32 v2, s2, v2
	s_movk_i32 s0, 0x7fff
	v_mov_b32_e32 v7, s9
	v_bfi_b32 v3, s0, v0, v3
	v_ashrrev_i32_e32 v1, 31, v2
	s_and_b32 s20, s33, 0xff
	v_add_co_u32_e32 v0, vcc, s8, v2
	s_cmp_lt_i32 s20, 11
	v_addc_co_u32_e32 v1, vcc, v7, v1, vcc
	s_cbranch_scc1 .LBB55_1618
; %bb.1541:
	s_and_b32 s3, 0xffff, s20
	s_mov_b64 s[16:17], -1
	s_mov_b64 s[10:11], 0
	s_cmp_gt_i32 s3, 25
	s_mov_b64 s[12:13], 0
	s_mov_b64 s[0:1], 0
	s_cbranch_scc0 .LBB55_1574
; %bb.1542:
	s_cmp_gt_i32 s3, 28
	s_cbranch_scc0 .LBB55_1557
; %bb.1543:
	s_cmp_gt_i32 s3, 43
	;; [unrolled: 3-line block ×3, first 2 shown]
	s_cbranch_scc0 .LBB55_1547
; %bb.1545:
	s_mov_b64 s[0:1], -1
	s_mov_b64 s[16:17], 0
	s_cmp_eq_u32 s3, 46
	s_cbranch_scc0 .LBB55_1547
; %bb.1546:
	v_cvt_f32_f16_e32 v7, v3
	s_movk_i32 s0, 0x7fff
	v_cmp_o_f16_e32 vcc, v3, v3
	v_mov_b32_e32 v8, 0x7fc0
	v_bfe_u32 v9, v7, 16, 1
	v_add3_u32 v7, v7, v9, s0
	v_cndmask_b32_sdwa v7, v8, v7, vcc dst_sel:DWORD dst_unused:UNUSED_PAD src0_sel:DWORD src1_sel:WORD_1
	global_store_dword v[0:1], v7, off
	s_mov_b64 s[0:1], 0
	s_mov_b64 s[12:13], -1
.LBB55_1547:
	s_and_b64 vcc, exec, s[16:17]
	s_cbranch_vccz .LBB55_1552
; %bb.1548:
	s_cmp_eq_u32 s3, 44
	s_mov_b64 s[0:1], -1
	s_cbranch_scc0 .LBB55_1552
; %bb.1549:
	v_cvt_f32_f16_e32 v7, v3
	s_movk_i32 s0, 0xff
	v_mov_b32_e32 v9, 0xff
	v_bfe_u32 v8, v7, 23, 8
	v_cmp_ne_u32_e32 vcc, s0, v8
	s_and_saveexec_b64 s[12:13], vcc
; %bb.1550:
	s_mov_b32 s0, 0x3fffff
	v_lshrrev_b32_e32 v9, 23, v7
	v_and_b32_e32 v10, 0x400000, v7
	v_and_or_b32 v7, v7, s0, v8
	v_cmp_ne_u32_e32 vcc, 0, v10
	v_cmp_ne_u32_e64 s[0:1], 0, v7
	s_and_b64 s[0:1], vcc, s[0:1]
	v_cndmask_b32_e64 v7, 0, 1, s[0:1]
	v_add_u32_e32 v9, v9, v7
; %bb.1551:
	s_or_b64 exec, exec, s[12:13]
	s_mov_b64 s[0:1], 0
	s_mov_b64 s[12:13], -1
	global_store_byte v[0:1], v9, off
.LBB55_1552:
	s_mov_b64 s[16:17], 0
.LBB55_1553:
	s_and_b64 vcc, exec, s[16:17]
	s_cbranch_vccz .LBB55_1556
; %bb.1554:
	s_cmp_eq_u32 s3, 29
	s_mov_b64 s[0:1], -1
	s_cbranch_scc0 .LBB55_1556
; %bb.1555:
	v_cvt_f32_f16_e32 v7, v3
	v_mov_b32_e32 v8, 0
	s_mov_b64 s[0:1], 0
	s_mov_b64 s[12:13], -1
	v_cvt_u32_f32_e32 v7, v7
	global_store_dwordx2 v[0:1], v[7:8], off
.LBB55_1556:
	s_mov_b64 s[16:17], 0
.LBB55_1557:
	s_and_b64 vcc, exec, s[16:17]
	s_cbranch_vccz .LBB55_1573
; %bb.1558:
	s_cmp_lt_i32 s3, 27
	s_mov_b64 s[12:13], -1
	s_cbranch_scc1 .LBB55_1564
; %bb.1559:
	s_cmp_gt_i32 s3, 27
	s_cbranch_scc0 .LBB55_1561
; %bb.1560:
	v_cvt_f32_f16_e32 v7, v3
	s_mov_b64 s[12:13], 0
	v_cvt_u32_f32_e32 v7, v7
	global_store_dword v[0:1], v7, off
.LBB55_1561:
	s_andn2_b64 vcc, exec, s[12:13]
	s_cbranch_vccnz .LBB55_1563
; %bb.1562:
	v_cvt_u16_f16_e32 v7, v3
	global_store_short v[0:1], v7, off
.LBB55_1563:
	s_mov_b64 s[12:13], 0
.LBB55_1564:
	s_andn2_b64 vcc, exec, s[12:13]
	s_cbranch_vccnz .LBB55_1572
; %bb.1565:
	v_cvt_f32_f16_e32 v7, v3
	s_mov_b32 s12, 0x43800000
	v_mov_b32_e32 v9, 0x80
	v_and_b32_e32 v8, 0x7fffffff, v7
	v_cmp_gt_u32_e32 vcc, s12, v8
	s_and_saveexec_b64 s[12:13], vcc
	s_cbranch_execz .LBB55_1571
; %bb.1566:
	s_mov_b32 s16, 0x3bffffff
	v_cmp_lt_u32_e32 vcc, s16, v8
	s_mov_b64 s[16:17], 0
                                        ; implicit-def: $vgpr8
	s_and_saveexec_b64 s[18:19], vcc
	s_xor_b64 s[18:19], exec, s[18:19]
	s_cbranch_execz .LBB55_2020
; %bb.1567:
	v_bfe_u32 v8, v7, 20, 1
	s_mov_b32 s21, 0x487ffff
	v_add3_u32 v8, v7, v8, s21
	s_mov_b64 s[16:17], exec
	v_lshrrev_b32_e32 v8, 20, v8
	s_andn2_saveexec_b64 s[18:19], s[18:19]
	s_cbranch_execnz .LBB55_2021
.LBB55_1568:
	s_or_b64 exec, exec, s[18:19]
	v_mov_b32_e32 v9, 0
	s_and_saveexec_b64 s[18:19], s[16:17]
.LBB55_1569:
	v_lshrrev_b32_e32 v7, 24, v7
	s_movk_i32 s16, 0x80
	v_and_or_b32 v9, v7, s16, v8
.LBB55_1570:
	s_or_b64 exec, exec, s[18:19]
.LBB55_1571:
	s_or_b64 exec, exec, s[12:13]
	global_store_byte v[0:1], v9, off
.LBB55_1572:
	s_mov_b64 s[12:13], -1
.LBB55_1573:
	s_mov_b64 s[16:17], 0
.LBB55_1574:
	s_and_b64 vcc, exec, s[16:17]
	s_cbranch_vccz .LBB55_1614
; %bb.1575:
	s_cmp_gt_i32 s3, 22
	s_mov_b64 s[10:11], -1
	s_cbranch_scc0 .LBB55_1607
; %bb.1576:
	s_cmp_lt_i32 s3, 24
	s_cbranch_scc1 .LBB55_1596
; %bb.1577:
	s_cmp_gt_i32 s3, 24
	s_cbranch_scc0 .LBB55_1585
; %bb.1578:
	v_cvt_f32_f16_e32 v7, v3
	s_mov_b32 s10, 0x47800000
	v_mov_b32_e32 v9, 0x80
	v_and_b32_e32 v8, 0x7fffffff, v7
	v_cmp_gt_u32_e32 vcc, s10, v8
	s_and_saveexec_b64 s[10:11], vcc
	s_cbranch_execz .LBB55_1584
; %bb.1579:
	s_mov_b32 s12, 0x37ffffff
	v_cmp_lt_u32_e32 vcc, s12, v8
	s_mov_b64 s[12:13], 0
                                        ; implicit-def: $vgpr8
	s_and_saveexec_b64 s[16:17], vcc
	s_xor_b64 s[16:17], exec, s[16:17]
	s_cbranch_execz .LBB55_2023
; %bb.1580:
	v_bfe_u32 v8, v7, 21, 1
	s_mov_b32 s18, 0x88fffff
	v_add3_u32 v8, v7, v8, s18
	s_mov_b64 s[12:13], exec
	v_lshrrev_b32_e32 v8, 21, v8
	s_andn2_saveexec_b64 s[16:17], s[16:17]
	s_cbranch_execnz .LBB55_2024
.LBB55_1581:
	s_or_b64 exec, exec, s[16:17]
	v_mov_b32_e32 v9, 0
	s_and_saveexec_b64 s[16:17], s[12:13]
.LBB55_1582:
	v_lshrrev_b32_e32 v7, 24, v7
	s_movk_i32 s12, 0x80
	v_and_or_b32 v9, v7, s12, v8
.LBB55_1583:
	s_or_b64 exec, exec, s[16:17]
.LBB55_1584:
	s_or_b64 exec, exec, s[10:11]
	s_mov_b64 s[10:11], 0
	global_store_byte v[0:1], v9, off
.LBB55_1585:
	s_and_b64 vcc, exec, s[10:11]
	s_cbranch_vccz .LBB55_1595
; %bb.1586:
	v_cvt_f32_f16_e32 v7, v3
	s_mov_b32 s10, 0x43f00000
                                        ; implicit-def: $vgpr8
	v_and_b32_e32 v9, 0x7fffffff, v7
	v_cmp_gt_u32_e32 vcc, s10, v9
	s_and_saveexec_b64 s[10:11], vcc
	s_xor_b64 s[10:11], exec, s[10:11]
	s_cbranch_execz .LBB55_1592
; %bb.1587:
	s_mov_b32 s12, 0x3c7fffff
	v_cmp_lt_u32_e32 vcc, s12, v9
                                        ; implicit-def: $vgpr8
	s_and_saveexec_b64 s[12:13], vcc
	s_xor_b64 s[12:13], exec, s[12:13]
; %bb.1588:
	v_bfe_u32 v8, v7, 20, 1
	s_mov_b32 s16, 0x407ffff
	v_add3_u32 v8, v7, v8, s16
	v_lshrrev_b32_e32 v9, 20, v8
	v_and_b32_e32 v8, 0xff00000, v8
	s_mov_b32 s16, 0x7f00000
	v_mov_b32_e32 v10, 0x7e
	v_cmp_ne_u32_e32 vcc, s16, v8
	v_cndmask_b32_e32 v8, v10, v9, vcc
; %bb.1589:
	s_andn2_saveexec_b64 s[12:13], s[12:13]
; %bb.1590:
	s_mov_b32 s16, 0x46800000
	v_add_f32_e64 v8, |v7|, s16
; %bb.1591:
	s_or_b64 exec, exec, s[12:13]
                                        ; implicit-def: $vgpr9
.LBB55_1592:
	s_andn2_saveexec_b64 s[10:11], s[10:11]
; %bb.1593:
	s_mov_b32 s12, 0x7f800000
	v_mov_b32_e32 v8, 0x7e
	v_mov_b32_e32 v10, 0x7f
	v_cmp_lt_u32_e32 vcc, s12, v9
	v_cndmask_b32_e32 v8, v8, v10, vcc
; %bb.1594:
	s_or_b64 exec, exec, s[10:11]
	v_lshrrev_b32_e32 v7, 24, v7
	s_movk_i32 s10, 0x80
	v_and_or_b32 v7, v7, s10, v8
	global_store_byte v[0:1], v7, off
.LBB55_1595:
	s_mov_b64 s[10:11], 0
.LBB55_1596:
	s_andn2_b64 vcc, exec, s[10:11]
	s_cbranch_vccnz .LBB55_1606
; %bb.1597:
	v_cvt_f32_f16_e32 v7, v3
	s_mov_b32 s10, 0x47800000
                                        ; implicit-def: $vgpr8
	v_and_b32_e32 v9, 0x7fffffff, v7
	v_cmp_gt_u32_e32 vcc, s10, v9
	s_and_saveexec_b64 s[10:11], vcc
	s_xor_b64 s[10:11], exec, s[10:11]
	s_cbranch_execz .LBB55_1603
; %bb.1598:
	s_mov_b32 s12, 0x387fffff
	v_cmp_lt_u32_e32 vcc, s12, v9
                                        ; implicit-def: $vgpr8
	s_and_saveexec_b64 s[12:13], vcc
	s_xor_b64 s[12:13], exec, s[12:13]
; %bb.1599:
	v_bfe_u32 v8, v7, 21, 1
	s_mov_b32 s16, 0x80fffff
	v_add3_u32 v8, v7, v8, s16
	v_lshrrev_b32_e32 v8, 21, v8
; %bb.1600:
	s_andn2_saveexec_b64 s[12:13], s[12:13]
; %bb.1601:
	s_mov_b32 s16, 0x43000000
	v_add_f32_e64 v8, |v7|, s16
; %bb.1602:
	s_or_b64 exec, exec, s[12:13]
                                        ; implicit-def: $vgpr9
.LBB55_1603:
	s_andn2_saveexec_b64 s[10:11], s[10:11]
; %bb.1604:
	s_mov_b32 s12, 0x7f800000
	v_mov_b32_e32 v8, 0x7c
	v_mov_b32_e32 v10, 0x7f
	v_cmp_lt_u32_e32 vcc, s12, v9
	v_cndmask_b32_e32 v8, v8, v10, vcc
; %bb.1605:
	s_or_b64 exec, exec, s[10:11]
	v_lshrrev_b32_e32 v7, 24, v7
	s_movk_i32 s10, 0x80
	v_and_or_b32 v7, v7, s10, v8
	global_store_byte v[0:1], v7, off
.LBB55_1606:
	s_mov_b64 s[10:11], 0
	s_mov_b64 s[12:13], -1
.LBB55_1607:
	s_andn2_b64 vcc, exec, s[10:11]
	s_mov_b64 s[10:11], 0
	s_cbranch_vccnz .LBB55_1614
; %bb.1608:
	s_cmp_gt_i32 s3, 14
	s_mov_b64 s[16:17], -1
	s_cbranch_scc0 .LBB55_1612
; %bb.1609:
	s_cmp_eq_u32 s3, 15
	s_mov_b64 s[0:1], -1
	s_cbranch_scc0 .LBB55_1611
; %bb.1610:
	v_cvt_f32_f16_e32 v7, v3
	s_movk_i32 s0, 0x7fff
	v_cmp_o_f16_e32 vcc, v3, v3
	v_mov_b32_e32 v8, 0x7fc0
	v_bfe_u32 v9, v7, 16, 1
	v_add3_u32 v7, v7, v9, s0
	v_cndmask_b32_sdwa v7, v8, v7, vcc dst_sel:DWORD dst_unused:UNUSED_PAD src0_sel:DWORD src1_sel:WORD_1
	global_store_short v[0:1], v7, off
	s_mov_b64 s[0:1], 0
	s_mov_b64 s[12:13], -1
.LBB55_1611:
	s_mov_b64 s[16:17], 0
.LBB55_1612:
	s_and_b64 vcc, exec, s[16:17]
	s_cbranch_vccz .LBB55_1614
; %bb.1613:
	s_cmp_lg_u32 s3, 11
	s_mov_b64 s[10:11], -1
	s_cselect_b64 s[0:1], -1, 0
.LBB55_1614:
	s_and_b64 vcc, exec, s[0:1]
	s_cbranch_vccnz .LBB55_2022
; %bb.1615:
	s_andn2_b64 vcc, exec, s[10:11]
	s_cbranch_vccnz .LBB55_1617
.LBB55_1616:
	v_cmp_neq_f16_e32 vcc, 0, v3
	v_cndmask_b32_e64 v7, 0, 1, vcc
	s_mov_b64 s[12:13], -1
	global_store_byte v[0:1], v7, off
.LBB55_1617:
	s_mov_b64 s[0:1], 0
	s_branch .LBB55_1619
.LBB55_1618:
	s_mov_b64 s[0:1], -1
	s_mov_b64 s[12:13], 0
.LBB55_1619:
	s_and_b64 vcc, exec, s[0:1]
	s_cbranch_vccz .LBB55_1658
; %bb.1620:
	s_and_b32 s3, 0xffff, s20
	s_cmp_lt_i32 s3, 5
	s_mov_b64 s[0:1], -1
	s_cbranch_scc1 .LBB55_1641
; %bb.1621:
	s_cmp_lt_i32 s3, 8
	s_cbranch_scc1 .LBB55_1631
; %bb.1622:
	s_cmp_lt_i32 s3, 9
	s_cbranch_scc1 .LBB55_1628
; %bb.1623:
	s_cmp_gt_i32 s3, 9
	s_cbranch_scc0 .LBB55_1625
; %bb.1624:
	v_cvt_f32_f16_e32 v7, v3
	v_mov_b32_e32 v9, 0
	v_mov_b32_e32 v10, v9
	s_mov_b64 s[0:1], 0
	v_cvt_f64_f32_e32 v[7:8], v7
	global_store_dwordx4 v[0:1], v[7:10], off
.LBB55_1625:
	s_andn2_b64 vcc, exec, s[0:1]
	s_cbranch_vccnz .LBB55_1627
; %bb.1626:
	v_cvt_f32_f16_e32 v7, v3
	v_mov_b32_e32 v8, 0
	global_store_dwordx2 v[0:1], v[7:8], off
.LBB55_1627:
	s_mov_b64 s[0:1], 0
.LBB55_1628:
	s_andn2_b64 vcc, exec, s[0:1]
	s_cbranch_vccnz .LBB55_1630
; %bb.1629:
	v_and_b32_e32 v7, 0xffff, v3
	global_store_dword v[0:1], v7, off
.LBB55_1630:
	s_mov_b64 s[0:1], 0
.LBB55_1631:
	s_andn2_b64 vcc, exec, s[0:1]
	s_cbranch_vccnz .LBB55_1640
; %bb.1632:
	s_cmp_lt_i32 s3, 6
	s_mov_b64 s[0:1], -1
	s_cbranch_scc1 .LBB55_1638
; %bb.1633:
	s_cmp_gt_i32 s3, 6
	s_cbranch_scc0 .LBB55_1635
; %bb.1634:
	v_cvt_f32_f16_e32 v7, v3
	s_mov_b64 s[0:1], 0
	v_cvt_f64_f32_e32 v[7:8], v7
	global_store_dwordx2 v[0:1], v[7:8], off
.LBB55_1635:
	s_andn2_b64 vcc, exec, s[0:1]
	s_cbranch_vccnz .LBB55_1637
; %bb.1636:
	v_cvt_f32_f16_e32 v7, v3
	global_store_dword v[0:1], v7, off
.LBB55_1637:
	s_mov_b64 s[0:1], 0
.LBB55_1638:
	s_andn2_b64 vcc, exec, s[0:1]
	s_cbranch_vccnz .LBB55_1640
; %bb.1639:
	global_store_short v[0:1], v3, off
.LBB55_1640:
	s_mov_b64 s[0:1], 0
.LBB55_1641:
	s_andn2_b64 vcc, exec, s[0:1]
	s_cbranch_vccnz .LBB55_1657
; %bb.1642:
	s_cmp_lt_i32 s3, 2
	s_mov_b64 s[0:1], -1
	s_cbranch_scc1 .LBB55_1652
; %bb.1643:
	s_cmp_lt_i32 s3, 3
	s_cbranch_scc1 .LBB55_1649
; %bb.1644:
	s_cmp_gt_i32 s3, 3
	s_cbranch_scc0 .LBB55_1646
; %bb.1645:
	v_cvt_f32_f16_e32 v7, v3
	s_mov_b64 s[0:1], 0
	v_cvt_i32_f32_e32 v7, v7
	v_ashrrev_i32_e32 v8, 31, v7
	global_store_dwordx2 v[0:1], v[7:8], off
.LBB55_1646:
	s_andn2_b64 vcc, exec, s[0:1]
	s_cbranch_vccnz .LBB55_1648
; %bb.1647:
	v_cvt_f32_f16_e32 v7, v3
	v_cvt_i32_f32_e32 v7, v7
	global_store_dword v[0:1], v7, off
.LBB55_1648:
	s_mov_b64 s[0:1], 0
.LBB55_1649:
	s_andn2_b64 vcc, exec, s[0:1]
	s_cbranch_vccnz .LBB55_1651
; %bb.1650:
	v_cvt_i16_f16_e32 v7, v3
	global_store_short v[0:1], v7, off
.LBB55_1651:
	s_mov_b64 s[0:1], 0
.LBB55_1652:
	s_andn2_b64 vcc, exec, s[0:1]
	s_cbranch_vccnz .LBB55_1657
; %bb.1653:
	s_cmp_gt_i32 s3, 0
	s_mov_b64 s[0:1], -1
	s_cbranch_scc0 .LBB55_1655
; %bb.1654:
	v_cvt_i16_f16_e32 v7, v3
	global_store_byte v[0:1], v7, off
	s_mov_b64 s[0:1], 0
.LBB55_1655:
	s_andn2_b64 vcc, exec, s[0:1]
	s_cbranch_vccnz .LBB55_1657
; %bb.1656:
	v_cvt_f32_f16_e32 v3, v3
	v_cvt_i32_f32_e32 v3, v3
	global_store_byte v[0:1], v3, off
.LBB55_1657:
	s_mov_b64 s[12:13], -1
.LBB55_1658:
	s_andn2_b64 vcc, exec, s[12:13]
	s_cbranch_vccnz .LBB55_1973
; %bb.1659:
	v_cvt_f32_f16_e32 v0, v4
	s_mov_b32 s0, -0.5
	v_mov_b32_e32 v1, 0.5
	v_fma_mix_f32 v1, |v4|, s0, v1 op_sel_hi:[1,0,0]
	v_mul_f32_e32 v3, v0, v0
	v_cmp_ge_f32_e64 vcc, |v0|, 0.5
	v_cndmask_b32_e32 v1, v3, v1, vcc
	v_mov_b32_e32 v3, 0x3c5fc5da
	v_fmac_f32_e32 v3, 0x3d1c21a7, v1
	v_mov_b32_e32 v7, 0x3d034c3c
	v_fmac_f32_e32 v7, v1, v3
	;; [unrolled: 2-line block ×4, first 2 shown]
	v_sqrt_f32_e32 v3, v1
	v_mov_b32_e32 v8, 0x3e2aaaac
	v_fmac_f32_e32 v8, v1, v7
	v_mul_f32_e32 v1, v1, v8
	v_fmac_f32_e32 v3, v3, v1
	v_add_f32_e32 v3, v3, v3
	v_sub_f32_e32 v3, 0x3fc90fdb, v3
	v_fma_mix_f32 v1, |v4|, v1, |v4| op_sel_hi:[1,0,1]
	v_cmp_lt_f32_e64 vcc, |v0|, 0.5
	v_cndmask_b32_e32 v0, v3, v1, vcc
	v_cvt_f16_f32_e32 v0, v0
	s_lshl_b32 s18, s2, 7
	s_movk_i32 s0, 0x7fff
	v_add_u32_e32 v2, s18, v2
	v_bfi_b32 v3, s0, v0, v4
	v_ashrrev_i32_e32 v1, 31, v2
	v_mov_b32_e32 v4, s9
	v_add_co_u32_e32 v0, vcc, s8, v2
	s_cmp_lt_i32 s20, 11
	v_addc_co_u32_e32 v1, vcc, v4, v1, vcc
	s_cbranch_scc1 .LBB55_1737
; %bb.1660:
	s_and_b32 s19, 0xffff, s20
	s_mov_b64 s[12:13], -1
	s_mov_b64 s[2:3], 0
	s_cmp_gt_i32 s19, 25
	s_mov_b64 s[10:11], 0
	s_mov_b64 s[0:1], 0
	s_cbranch_scc0 .LBB55_1693
; %bb.1661:
	s_cmp_gt_i32 s19, 28
	s_cbranch_scc0 .LBB55_1676
; %bb.1662:
	s_cmp_gt_i32 s19, 43
	;; [unrolled: 3-line block ×3, first 2 shown]
	s_cbranch_scc0 .LBB55_1666
; %bb.1664:
	s_mov_b64 s[0:1], -1
	s_mov_b64 s[12:13], 0
	s_cmp_eq_u32 s19, 46
	s_cbranch_scc0 .LBB55_1666
; %bb.1665:
	v_cvt_f32_f16_e32 v4, v3
	s_movk_i32 s0, 0x7fff
	v_cmp_o_f16_e32 vcc, v3, v3
	v_mov_b32_e32 v7, 0x7fc0
	v_bfe_u32 v8, v4, 16, 1
	v_add3_u32 v4, v4, v8, s0
	v_cndmask_b32_sdwa v4, v7, v4, vcc dst_sel:DWORD dst_unused:UNUSED_PAD src0_sel:DWORD src1_sel:WORD_1
	global_store_dword v[0:1], v4, off
	s_mov_b64 s[0:1], 0
	s_mov_b64 s[10:11], -1
.LBB55_1666:
	s_and_b64 vcc, exec, s[12:13]
	s_cbranch_vccz .LBB55_1671
; %bb.1667:
	s_cmp_eq_u32 s19, 44
	s_mov_b64 s[0:1], -1
	s_cbranch_scc0 .LBB55_1671
; %bb.1668:
	v_cvt_f32_f16_e32 v4, v3
	s_movk_i32 s0, 0xff
	v_mov_b32_e32 v8, 0xff
	v_bfe_u32 v7, v4, 23, 8
	v_cmp_ne_u32_e32 vcc, s0, v7
	s_and_saveexec_b64 s[10:11], vcc
; %bb.1669:
	s_mov_b32 s0, 0x3fffff
	v_lshrrev_b32_e32 v8, 23, v4
	v_and_b32_e32 v9, 0x400000, v4
	v_and_or_b32 v4, v4, s0, v7
	v_cmp_ne_u32_e32 vcc, 0, v9
	v_cmp_ne_u32_e64 s[0:1], 0, v4
	s_and_b64 s[0:1], vcc, s[0:1]
	v_cndmask_b32_e64 v4, 0, 1, s[0:1]
	v_add_u32_e32 v8, v8, v4
; %bb.1670:
	s_or_b64 exec, exec, s[10:11]
	s_mov_b64 s[0:1], 0
	s_mov_b64 s[10:11], -1
	global_store_byte v[0:1], v8, off
.LBB55_1671:
	s_mov_b64 s[12:13], 0
.LBB55_1672:
	s_and_b64 vcc, exec, s[12:13]
	s_cbranch_vccz .LBB55_1675
; %bb.1673:
	s_cmp_eq_u32 s19, 29
	s_mov_b64 s[0:1], -1
	s_cbranch_scc0 .LBB55_1675
; %bb.1674:
	v_cvt_f32_f16_e32 v4, v3
	v_mov_b32_e32 v8, 0
	s_mov_b64 s[0:1], 0
	s_mov_b64 s[10:11], -1
	v_cvt_u32_f32_e32 v7, v4
	global_store_dwordx2 v[0:1], v[7:8], off
.LBB55_1675:
	s_mov_b64 s[12:13], 0
.LBB55_1676:
	s_and_b64 vcc, exec, s[12:13]
	s_cbranch_vccz .LBB55_1692
; %bb.1677:
	s_cmp_lt_i32 s19, 27
	s_mov_b64 s[10:11], -1
	s_cbranch_scc1 .LBB55_1683
; %bb.1678:
	s_cmp_gt_i32 s19, 27
	s_cbranch_scc0 .LBB55_1680
; %bb.1679:
	v_cvt_f32_f16_e32 v4, v3
	s_mov_b64 s[10:11], 0
	v_cvt_u32_f32_e32 v4, v4
	global_store_dword v[0:1], v4, off
.LBB55_1680:
	s_andn2_b64 vcc, exec, s[10:11]
	s_cbranch_vccnz .LBB55_1682
; %bb.1681:
	v_cvt_u16_f16_e32 v4, v3
	global_store_short v[0:1], v4, off
.LBB55_1682:
	s_mov_b64 s[10:11], 0
.LBB55_1683:
	s_andn2_b64 vcc, exec, s[10:11]
	s_cbranch_vccnz .LBB55_1691
; %bb.1684:
	v_cvt_f32_f16_e32 v4, v3
	s_mov_b32 s10, 0x43800000
	v_mov_b32_e32 v8, 0x80
	v_and_b32_e32 v7, 0x7fffffff, v4
	v_cmp_gt_u32_e32 vcc, s10, v7
	s_and_saveexec_b64 s[10:11], vcc
	s_cbranch_execz .LBB55_1690
; %bb.1685:
	s_mov_b32 s12, 0x3bffffff
	v_cmp_lt_u32_e32 vcc, s12, v7
	s_mov_b64 s[12:13], 0
                                        ; implicit-def: $vgpr7
	s_and_saveexec_b64 s[16:17], vcc
	s_xor_b64 s[16:17], exec, s[16:17]
	s_cbranch_execz .LBB55_2025
; %bb.1686:
	v_bfe_u32 v7, v4, 20, 1
	s_mov_b32 s21, 0x487ffff
	v_add3_u32 v7, v4, v7, s21
	s_mov_b64 s[12:13], exec
	v_lshrrev_b32_e32 v7, 20, v7
	s_andn2_saveexec_b64 s[16:17], s[16:17]
	s_cbranch_execnz .LBB55_2026
.LBB55_1687:
	s_or_b64 exec, exec, s[16:17]
	v_mov_b32_e32 v8, 0
	s_and_saveexec_b64 s[16:17], s[12:13]
.LBB55_1688:
	v_lshrrev_b32_e32 v4, 24, v4
	s_movk_i32 s12, 0x80
	v_and_or_b32 v8, v4, s12, v7
.LBB55_1689:
	s_or_b64 exec, exec, s[16:17]
.LBB55_1690:
	s_or_b64 exec, exec, s[10:11]
	global_store_byte v[0:1], v8, off
.LBB55_1691:
	s_mov_b64 s[10:11], -1
.LBB55_1692:
	s_mov_b64 s[12:13], 0
.LBB55_1693:
	s_and_b64 vcc, exec, s[12:13]
	s_cbranch_vccz .LBB55_1733
; %bb.1694:
	s_cmp_gt_i32 s19, 22
	s_mov_b64 s[2:3], -1
	s_cbranch_scc0 .LBB55_1726
; %bb.1695:
	s_cmp_lt_i32 s19, 24
	s_cbranch_scc1 .LBB55_1715
; %bb.1696:
	s_cmp_gt_i32 s19, 24
	s_cbranch_scc0 .LBB55_1704
; %bb.1697:
	v_cvt_f32_f16_e32 v4, v3
	s_mov_b32 s2, 0x47800000
	v_mov_b32_e32 v8, 0x80
	v_and_b32_e32 v7, 0x7fffffff, v4
	v_cmp_gt_u32_e32 vcc, s2, v7
	s_and_saveexec_b64 s[2:3], vcc
	s_cbranch_execz .LBB55_1703
; %bb.1698:
	s_mov_b32 s10, 0x37ffffff
	v_cmp_lt_u32_e32 vcc, s10, v7
	s_mov_b64 s[10:11], 0
                                        ; implicit-def: $vgpr7
	s_and_saveexec_b64 s[12:13], vcc
	s_xor_b64 s[12:13], exec, s[12:13]
	s_cbranch_execz .LBB55_2028
; %bb.1699:
	v_bfe_u32 v7, v4, 21, 1
	s_mov_b32 s16, 0x88fffff
	v_add3_u32 v7, v4, v7, s16
	s_mov_b64 s[10:11], exec
	v_lshrrev_b32_e32 v7, 21, v7
	s_andn2_saveexec_b64 s[12:13], s[12:13]
	s_cbranch_execnz .LBB55_2029
.LBB55_1700:
	s_or_b64 exec, exec, s[12:13]
	v_mov_b32_e32 v8, 0
	s_and_saveexec_b64 s[12:13], s[10:11]
.LBB55_1701:
	v_lshrrev_b32_e32 v4, 24, v4
	s_movk_i32 s10, 0x80
	v_and_or_b32 v8, v4, s10, v7
.LBB55_1702:
	s_or_b64 exec, exec, s[12:13]
.LBB55_1703:
	s_or_b64 exec, exec, s[2:3]
	s_mov_b64 s[2:3], 0
	global_store_byte v[0:1], v8, off
.LBB55_1704:
	s_and_b64 vcc, exec, s[2:3]
	s_cbranch_vccz .LBB55_1714
; %bb.1705:
	v_cvt_f32_f16_e32 v4, v3
	s_mov_b32 s2, 0x43f00000
                                        ; implicit-def: $vgpr7
	v_and_b32_e32 v8, 0x7fffffff, v4
	v_cmp_gt_u32_e32 vcc, s2, v8
	s_and_saveexec_b64 s[2:3], vcc
	s_xor_b64 s[2:3], exec, s[2:3]
	s_cbranch_execz .LBB55_1711
; %bb.1706:
	s_mov_b32 s10, 0x3c7fffff
	v_cmp_lt_u32_e32 vcc, s10, v8
                                        ; implicit-def: $vgpr7
	s_and_saveexec_b64 s[10:11], vcc
	s_xor_b64 s[10:11], exec, s[10:11]
; %bb.1707:
	v_bfe_u32 v7, v4, 20, 1
	s_mov_b32 s12, 0x407ffff
	v_add3_u32 v7, v4, v7, s12
	v_lshrrev_b32_e32 v8, 20, v7
	v_and_b32_e32 v7, 0xff00000, v7
	s_mov_b32 s12, 0x7f00000
	v_mov_b32_e32 v9, 0x7e
	v_cmp_ne_u32_e32 vcc, s12, v7
	v_cndmask_b32_e32 v7, v9, v8, vcc
; %bb.1708:
	s_andn2_saveexec_b64 s[10:11], s[10:11]
; %bb.1709:
	s_mov_b32 s12, 0x46800000
	v_add_f32_e64 v7, |v4|, s12
; %bb.1710:
	s_or_b64 exec, exec, s[10:11]
                                        ; implicit-def: $vgpr8
.LBB55_1711:
	s_andn2_saveexec_b64 s[2:3], s[2:3]
; %bb.1712:
	s_mov_b32 s10, 0x7f800000
	v_mov_b32_e32 v7, 0x7e
	v_mov_b32_e32 v9, 0x7f
	v_cmp_lt_u32_e32 vcc, s10, v8
	v_cndmask_b32_e32 v7, v7, v9, vcc
; %bb.1713:
	s_or_b64 exec, exec, s[2:3]
	v_lshrrev_b32_e32 v4, 24, v4
	s_movk_i32 s2, 0x80
	v_and_or_b32 v4, v4, s2, v7
	global_store_byte v[0:1], v4, off
.LBB55_1714:
	s_mov_b64 s[2:3], 0
.LBB55_1715:
	s_andn2_b64 vcc, exec, s[2:3]
	s_cbranch_vccnz .LBB55_1725
; %bb.1716:
	v_cvt_f32_f16_e32 v4, v3
	s_mov_b32 s2, 0x47800000
                                        ; implicit-def: $vgpr7
	v_and_b32_e32 v8, 0x7fffffff, v4
	v_cmp_gt_u32_e32 vcc, s2, v8
	s_and_saveexec_b64 s[2:3], vcc
	s_xor_b64 s[2:3], exec, s[2:3]
	s_cbranch_execz .LBB55_1722
; %bb.1717:
	s_mov_b32 s10, 0x387fffff
	v_cmp_lt_u32_e32 vcc, s10, v8
                                        ; implicit-def: $vgpr7
	s_and_saveexec_b64 s[10:11], vcc
	s_xor_b64 s[10:11], exec, s[10:11]
; %bb.1718:
	v_bfe_u32 v7, v4, 21, 1
	s_mov_b32 s12, 0x80fffff
	v_add3_u32 v7, v4, v7, s12
	v_lshrrev_b32_e32 v7, 21, v7
; %bb.1719:
	s_andn2_saveexec_b64 s[10:11], s[10:11]
; %bb.1720:
	s_mov_b32 s12, 0x43000000
	v_add_f32_e64 v7, |v4|, s12
; %bb.1721:
	s_or_b64 exec, exec, s[10:11]
                                        ; implicit-def: $vgpr8
.LBB55_1722:
	s_andn2_saveexec_b64 s[2:3], s[2:3]
; %bb.1723:
	s_mov_b32 s10, 0x7f800000
	v_mov_b32_e32 v7, 0x7c
	v_mov_b32_e32 v9, 0x7f
	v_cmp_lt_u32_e32 vcc, s10, v8
	v_cndmask_b32_e32 v7, v7, v9, vcc
; %bb.1724:
	s_or_b64 exec, exec, s[2:3]
	v_lshrrev_b32_e32 v4, 24, v4
	s_movk_i32 s2, 0x80
	v_and_or_b32 v4, v4, s2, v7
	global_store_byte v[0:1], v4, off
.LBB55_1725:
	s_mov_b64 s[2:3], 0
	s_mov_b64 s[10:11], -1
.LBB55_1726:
	s_andn2_b64 vcc, exec, s[2:3]
	s_mov_b64 s[2:3], 0
	s_cbranch_vccnz .LBB55_1733
; %bb.1727:
	s_cmp_gt_i32 s19, 14
	s_mov_b64 s[12:13], -1
	s_cbranch_scc0 .LBB55_1731
; %bb.1728:
	s_cmp_eq_u32 s19, 15
	s_mov_b64 s[0:1], -1
	s_cbranch_scc0 .LBB55_1730
; %bb.1729:
	v_cvt_f32_f16_e32 v4, v3
	s_movk_i32 s0, 0x7fff
	v_cmp_o_f16_e32 vcc, v3, v3
	v_mov_b32_e32 v7, 0x7fc0
	v_bfe_u32 v8, v4, 16, 1
	v_add3_u32 v4, v4, v8, s0
	v_cndmask_b32_sdwa v4, v7, v4, vcc dst_sel:DWORD dst_unused:UNUSED_PAD src0_sel:DWORD src1_sel:WORD_1
	global_store_short v[0:1], v4, off
	s_mov_b64 s[0:1], 0
	s_mov_b64 s[10:11], -1
.LBB55_1730:
	s_mov_b64 s[12:13], 0
.LBB55_1731:
	s_and_b64 vcc, exec, s[12:13]
	s_cbranch_vccz .LBB55_1733
; %bb.1732:
	s_cmp_lg_u32 s19, 11
	s_mov_b64 s[2:3], -1
	s_cselect_b64 s[0:1], -1, 0
.LBB55_1733:
	s_and_b64 vcc, exec, s[0:1]
	s_cbranch_vccnz .LBB55_2027
; %bb.1734:
	s_andn2_b64 vcc, exec, s[2:3]
	s_cbranch_vccnz .LBB55_1736
.LBB55_1735:
	v_cmp_neq_f16_e32 vcc, 0, v3
	v_cndmask_b32_e64 v4, 0, 1, vcc
	s_mov_b64 s[10:11], -1
	global_store_byte v[0:1], v4, off
.LBB55_1736:
	s_mov_b64 s[0:1], 0
	s_branch .LBB55_1738
.LBB55_1737:
	s_mov_b64 s[0:1], -1
	s_mov_b64 s[10:11], 0
.LBB55_1738:
	s_and_b64 vcc, exec, s[0:1]
	s_cbranch_vccz .LBB55_1777
; %bb.1739:
	s_and_b32 s2, 0xffff, s20
	s_cmp_lt_i32 s2, 5
	s_mov_b64 s[0:1], -1
	s_cbranch_scc1 .LBB55_1760
; %bb.1740:
	s_cmp_lt_i32 s2, 8
	s_cbranch_scc1 .LBB55_1750
; %bb.1741:
	s_cmp_lt_i32 s2, 9
	s_cbranch_scc1 .LBB55_1747
; %bb.1742:
	s_cmp_gt_i32 s2, 9
	s_cbranch_scc0 .LBB55_1744
; %bb.1743:
	v_cvt_f32_f16_e32 v4, v3
	v_mov_b32_e32 v9, 0
	v_mov_b32_e32 v10, v9
	s_mov_b64 s[0:1], 0
	v_cvt_f64_f32_e32 v[7:8], v4
	global_store_dwordx4 v[0:1], v[7:10], off
.LBB55_1744:
	s_andn2_b64 vcc, exec, s[0:1]
	s_cbranch_vccnz .LBB55_1746
; %bb.1745:
	v_cvt_f32_f16_e32 v7, v3
	v_mov_b32_e32 v8, 0
	global_store_dwordx2 v[0:1], v[7:8], off
.LBB55_1746:
	s_mov_b64 s[0:1], 0
.LBB55_1747:
	s_andn2_b64 vcc, exec, s[0:1]
	s_cbranch_vccnz .LBB55_1749
; %bb.1748:
	v_and_b32_e32 v4, 0xffff, v3
	global_store_dword v[0:1], v4, off
.LBB55_1749:
	s_mov_b64 s[0:1], 0
.LBB55_1750:
	s_andn2_b64 vcc, exec, s[0:1]
	s_cbranch_vccnz .LBB55_1759
; %bb.1751:
	s_cmp_lt_i32 s2, 6
	s_mov_b64 s[0:1], -1
	s_cbranch_scc1 .LBB55_1757
; %bb.1752:
	s_cmp_gt_i32 s2, 6
	s_cbranch_scc0 .LBB55_1754
; %bb.1753:
	v_cvt_f32_f16_e32 v4, v3
	s_mov_b64 s[0:1], 0
	v_cvt_f64_f32_e32 v[7:8], v4
	global_store_dwordx2 v[0:1], v[7:8], off
.LBB55_1754:
	s_andn2_b64 vcc, exec, s[0:1]
	s_cbranch_vccnz .LBB55_1756
; %bb.1755:
	v_cvt_f32_f16_e32 v4, v3
	global_store_dword v[0:1], v4, off
.LBB55_1756:
	s_mov_b64 s[0:1], 0
.LBB55_1757:
	s_andn2_b64 vcc, exec, s[0:1]
	s_cbranch_vccnz .LBB55_1759
; %bb.1758:
	global_store_short v[0:1], v3, off
.LBB55_1759:
	s_mov_b64 s[0:1], 0
.LBB55_1760:
	s_andn2_b64 vcc, exec, s[0:1]
	s_cbranch_vccnz .LBB55_1776
; %bb.1761:
	s_cmp_lt_i32 s2, 2
	s_mov_b64 s[0:1], -1
	s_cbranch_scc1 .LBB55_1771
; %bb.1762:
	s_cmp_lt_i32 s2, 3
	s_cbranch_scc1 .LBB55_1768
; %bb.1763:
	s_cmp_gt_i32 s2, 3
	s_cbranch_scc0 .LBB55_1765
; %bb.1764:
	v_cvt_f32_f16_e32 v4, v3
	s_mov_b64 s[0:1], 0
	v_cvt_i32_f32_e32 v7, v4
	v_ashrrev_i32_e32 v8, 31, v7
	global_store_dwordx2 v[0:1], v[7:8], off
.LBB55_1765:
	s_andn2_b64 vcc, exec, s[0:1]
	s_cbranch_vccnz .LBB55_1767
; %bb.1766:
	v_cvt_f32_f16_e32 v4, v3
	v_cvt_i32_f32_e32 v4, v4
	global_store_dword v[0:1], v4, off
.LBB55_1767:
	s_mov_b64 s[0:1], 0
.LBB55_1768:
	s_andn2_b64 vcc, exec, s[0:1]
	s_cbranch_vccnz .LBB55_1770
; %bb.1769:
	v_cvt_i16_f16_e32 v4, v3
	global_store_short v[0:1], v4, off
.LBB55_1770:
	s_mov_b64 s[0:1], 0
.LBB55_1771:
	s_andn2_b64 vcc, exec, s[0:1]
	s_cbranch_vccnz .LBB55_1776
; %bb.1772:
	s_cmp_gt_i32 s2, 0
	s_mov_b64 s[0:1], -1
	s_cbranch_scc0 .LBB55_1774
; %bb.1773:
	v_cvt_i16_f16_e32 v4, v3
	global_store_byte v[0:1], v4, off
	s_mov_b64 s[0:1], 0
.LBB55_1774:
	s_andn2_b64 vcc, exec, s[0:1]
	s_cbranch_vccnz .LBB55_1776
; %bb.1775:
	v_cvt_f32_f16_e32 v3, v3
	v_cvt_i32_f32_e32 v3, v3
	global_store_byte v[0:1], v3, off
.LBB55_1776:
	s_mov_b64 s[10:11], -1
.LBB55_1777:
	s_andn2_b64 vcc, exec, s[10:11]
	s_cbranch_vccnz .LBB55_1973
; %bb.1778:
	v_cvt_f32_f16_e32 v0, v5
	s_mov_b32 s0, -0.5
	v_mov_b32_e32 v1, 0.5
	v_fma_mix_f32 v1, |v5|, s0, v1 op_sel_hi:[1,0,0]
	v_mul_f32_e32 v3, v0, v0
	v_cmp_ge_f32_e64 vcc, |v0|, 0.5
	v_cndmask_b32_e32 v1, v3, v1, vcc
	v_mov_b32_e32 v3, 0x3c5fc5da
	v_fmac_f32_e32 v3, 0x3d1c21a7, v1
	v_mov_b32_e32 v4, 0x3d034c3c
	v_fmac_f32_e32 v4, v1, v3
	v_mov_b32_e32 v3, 0x3d3641b1
	v_fmac_f32_e32 v3, v1, v4
	v_mov_b32_e32 v4, 0x3d999bc8
	v_fmac_f32_e32 v4, v1, v3
	v_sqrt_f32_e32 v3, v1
	v_mov_b32_e32 v7, 0x3e2aaaac
	v_fmac_f32_e32 v7, v1, v4
	v_mul_f32_e32 v1, v1, v7
	v_fmac_f32_e32 v3, v3, v1
	v_add_f32_e32 v3, v3, v3
	v_sub_f32_e32 v3, 0x3fc90fdb, v3
	v_fma_mix_f32 v1, |v5|, v1, |v5| op_sel_hi:[1,0,1]
	v_cmp_lt_f32_e64 vcc, |v0|, 0.5
	v_cndmask_b32_e32 v0, v3, v1, vcc
	v_cvt_f16_f32_e32 v0, v0
	s_movk_i32 s0, 0x7fff
	v_add_u32_e32 v2, s18, v2
	v_ashrrev_i32_e32 v1, 31, v2
	v_bfi_b32 v3, s0, v0, v5
	v_mov_b32_e32 v4, s9
	v_add_co_u32_e32 v0, vcc, s8, v2
	s_cmp_lt_i32 s20, 11
	v_addc_co_u32_e32 v1, vcc, v4, v1, vcc
	s_cbranch_scc1 .LBB55_1856
; %bb.1779:
	s_and_b32 s19, 0xffff, s20
	s_mov_b64 s[12:13], -1
	s_mov_b64 s[2:3], 0
	s_cmp_gt_i32 s19, 25
	s_mov_b64 s[10:11], 0
	s_mov_b64 s[0:1], 0
	s_cbranch_scc0 .LBB55_1812
; %bb.1780:
	s_cmp_gt_i32 s19, 28
	s_cbranch_scc0 .LBB55_1795
; %bb.1781:
	s_cmp_gt_i32 s19, 43
	;; [unrolled: 3-line block ×3, first 2 shown]
	s_cbranch_scc0 .LBB55_1785
; %bb.1783:
	s_mov_b64 s[0:1], -1
	s_mov_b64 s[12:13], 0
	s_cmp_eq_u32 s19, 46
	s_cbranch_scc0 .LBB55_1785
; %bb.1784:
	v_cvt_f32_f16_e32 v4, v3
	s_movk_i32 s0, 0x7fff
	v_cmp_o_f16_e32 vcc, v3, v3
	v_mov_b32_e32 v5, 0x7fc0
	v_bfe_u32 v7, v4, 16, 1
	v_add3_u32 v4, v4, v7, s0
	v_cndmask_b32_sdwa v4, v5, v4, vcc dst_sel:DWORD dst_unused:UNUSED_PAD src0_sel:DWORD src1_sel:WORD_1
	global_store_dword v[0:1], v4, off
	s_mov_b64 s[0:1], 0
	s_mov_b64 s[10:11], -1
.LBB55_1785:
	s_and_b64 vcc, exec, s[12:13]
	s_cbranch_vccz .LBB55_1790
; %bb.1786:
	s_cmp_eq_u32 s19, 44
	s_mov_b64 s[0:1], -1
	s_cbranch_scc0 .LBB55_1790
; %bb.1787:
	v_cvt_f32_f16_e32 v4, v3
	s_movk_i32 s0, 0xff
	v_mov_b32_e32 v7, 0xff
	v_bfe_u32 v5, v4, 23, 8
	v_cmp_ne_u32_e32 vcc, s0, v5
	s_and_saveexec_b64 s[10:11], vcc
; %bb.1788:
	s_mov_b32 s0, 0x3fffff
	v_lshrrev_b32_e32 v7, 23, v4
	v_and_b32_e32 v8, 0x400000, v4
	v_and_or_b32 v4, v4, s0, v5
	v_cmp_ne_u32_e32 vcc, 0, v8
	v_cmp_ne_u32_e64 s[0:1], 0, v4
	s_and_b64 s[0:1], vcc, s[0:1]
	v_cndmask_b32_e64 v4, 0, 1, s[0:1]
	v_add_u32_e32 v7, v7, v4
; %bb.1789:
	s_or_b64 exec, exec, s[10:11]
	s_mov_b64 s[0:1], 0
	s_mov_b64 s[10:11], -1
	global_store_byte v[0:1], v7, off
.LBB55_1790:
	s_mov_b64 s[12:13], 0
.LBB55_1791:
	s_and_b64 vcc, exec, s[12:13]
	s_cbranch_vccz .LBB55_1794
; %bb.1792:
	s_cmp_eq_u32 s19, 29
	s_mov_b64 s[0:1], -1
	s_cbranch_scc0 .LBB55_1794
; %bb.1793:
	v_cvt_f32_f16_e32 v4, v3
	v_mov_b32_e32 v5, 0
	s_mov_b64 s[0:1], 0
	s_mov_b64 s[10:11], -1
	v_cvt_u32_f32_e32 v4, v4
	global_store_dwordx2 v[0:1], v[4:5], off
.LBB55_1794:
	s_mov_b64 s[12:13], 0
.LBB55_1795:
	s_and_b64 vcc, exec, s[12:13]
	s_cbranch_vccz .LBB55_1811
; %bb.1796:
	s_cmp_lt_i32 s19, 27
	s_mov_b64 s[10:11], -1
	s_cbranch_scc1 .LBB55_1802
; %bb.1797:
	s_cmp_gt_i32 s19, 27
	s_cbranch_scc0 .LBB55_1799
; %bb.1798:
	v_cvt_f32_f16_e32 v4, v3
	s_mov_b64 s[10:11], 0
	v_cvt_u32_f32_e32 v4, v4
	global_store_dword v[0:1], v4, off
.LBB55_1799:
	s_andn2_b64 vcc, exec, s[10:11]
	s_cbranch_vccnz .LBB55_1801
; %bb.1800:
	v_cvt_u16_f16_e32 v4, v3
	global_store_short v[0:1], v4, off
.LBB55_1801:
	s_mov_b64 s[10:11], 0
.LBB55_1802:
	s_andn2_b64 vcc, exec, s[10:11]
	s_cbranch_vccnz .LBB55_1810
; %bb.1803:
	v_cvt_f32_f16_e32 v4, v3
	s_mov_b32 s10, 0x43800000
	v_mov_b32_e32 v7, 0x80
	v_and_b32_e32 v5, 0x7fffffff, v4
	v_cmp_gt_u32_e32 vcc, s10, v5
	s_and_saveexec_b64 s[10:11], vcc
	s_cbranch_execz .LBB55_1809
; %bb.1804:
	s_mov_b32 s12, 0x3bffffff
	v_cmp_lt_u32_e32 vcc, s12, v5
	s_mov_b64 s[12:13], 0
                                        ; implicit-def: $vgpr5
	s_and_saveexec_b64 s[16:17], vcc
	s_xor_b64 s[16:17], exec, s[16:17]
	s_cbranch_execz .LBB55_2030
; %bb.1805:
	v_bfe_u32 v5, v4, 20, 1
	s_mov_b32 s21, 0x487ffff
	v_add3_u32 v5, v4, v5, s21
	s_mov_b64 s[12:13], exec
	v_lshrrev_b32_e32 v5, 20, v5
	s_andn2_saveexec_b64 s[16:17], s[16:17]
	s_cbranch_execnz .LBB55_2031
.LBB55_1806:
	s_or_b64 exec, exec, s[16:17]
	v_mov_b32_e32 v7, 0
	s_and_saveexec_b64 s[16:17], s[12:13]
.LBB55_1807:
	v_lshrrev_b32_e32 v4, 24, v4
	s_movk_i32 s12, 0x80
	v_and_or_b32 v7, v4, s12, v5
.LBB55_1808:
	s_or_b64 exec, exec, s[16:17]
.LBB55_1809:
	s_or_b64 exec, exec, s[10:11]
	global_store_byte v[0:1], v7, off
.LBB55_1810:
	s_mov_b64 s[10:11], -1
.LBB55_1811:
	s_mov_b64 s[12:13], 0
.LBB55_1812:
	s_and_b64 vcc, exec, s[12:13]
	s_cbranch_vccz .LBB55_1852
; %bb.1813:
	s_cmp_gt_i32 s19, 22
	s_mov_b64 s[2:3], -1
	s_cbranch_scc0 .LBB55_1845
; %bb.1814:
	s_cmp_lt_i32 s19, 24
	s_cbranch_scc1 .LBB55_1834
; %bb.1815:
	s_cmp_gt_i32 s19, 24
	s_cbranch_scc0 .LBB55_1823
; %bb.1816:
	v_cvt_f32_f16_e32 v4, v3
	s_mov_b32 s2, 0x47800000
	v_mov_b32_e32 v7, 0x80
	v_and_b32_e32 v5, 0x7fffffff, v4
	v_cmp_gt_u32_e32 vcc, s2, v5
	s_and_saveexec_b64 s[2:3], vcc
	s_cbranch_execz .LBB55_1822
; %bb.1817:
	s_mov_b32 s10, 0x37ffffff
	v_cmp_lt_u32_e32 vcc, s10, v5
	s_mov_b64 s[10:11], 0
                                        ; implicit-def: $vgpr5
	s_and_saveexec_b64 s[12:13], vcc
	s_xor_b64 s[12:13], exec, s[12:13]
	s_cbranch_execz .LBB55_2033
; %bb.1818:
	v_bfe_u32 v5, v4, 21, 1
	s_mov_b32 s16, 0x88fffff
	v_add3_u32 v5, v4, v5, s16
	s_mov_b64 s[10:11], exec
	v_lshrrev_b32_e32 v5, 21, v5
	s_andn2_saveexec_b64 s[12:13], s[12:13]
	s_cbranch_execnz .LBB55_2034
.LBB55_1819:
	s_or_b64 exec, exec, s[12:13]
	v_mov_b32_e32 v7, 0
	s_and_saveexec_b64 s[12:13], s[10:11]
.LBB55_1820:
	v_lshrrev_b32_e32 v4, 24, v4
	s_movk_i32 s10, 0x80
	v_and_or_b32 v7, v4, s10, v5
.LBB55_1821:
	s_or_b64 exec, exec, s[12:13]
.LBB55_1822:
	s_or_b64 exec, exec, s[2:3]
	s_mov_b64 s[2:3], 0
	global_store_byte v[0:1], v7, off
.LBB55_1823:
	s_and_b64 vcc, exec, s[2:3]
	s_cbranch_vccz .LBB55_1833
; %bb.1824:
	v_cvt_f32_f16_e32 v4, v3
	s_mov_b32 s2, 0x43f00000
                                        ; implicit-def: $vgpr5
	v_and_b32_e32 v7, 0x7fffffff, v4
	v_cmp_gt_u32_e32 vcc, s2, v7
	s_and_saveexec_b64 s[2:3], vcc
	s_xor_b64 s[2:3], exec, s[2:3]
	s_cbranch_execz .LBB55_1830
; %bb.1825:
	s_mov_b32 s10, 0x3c7fffff
	v_cmp_lt_u32_e32 vcc, s10, v7
                                        ; implicit-def: $vgpr5
	s_and_saveexec_b64 s[10:11], vcc
	s_xor_b64 s[10:11], exec, s[10:11]
; %bb.1826:
	v_bfe_u32 v5, v4, 20, 1
	s_mov_b32 s12, 0x407ffff
	v_add3_u32 v5, v4, v5, s12
	v_lshrrev_b32_e32 v7, 20, v5
	v_and_b32_e32 v5, 0xff00000, v5
	s_mov_b32 s12, 0x7f00000
	v_mov_b32_e32 v8, 0x7e
	v_cmp_ne_u32_e32 vcc, s12, v5
	v_cndmask_b32_e32 v5, v8, v7, vcc
; %bb.1827:
	s_andn2_saveexec_b64 s[10:11], s[10:11]
; %bb.1828:
	s_mov_b32 s12, 0x46800000
	v_add_f32_e64 v5, |v4|, s12
; %bb.1829:
	s_or_b64 exec, exec, s[10:11]
                                        ; implicit-def: $vgpr7
.LBB55_1830:
	s_andn2_saveexec_b64 s[2:3], s[2:3]
; %bb.1831:
	s_mov_b32 s10, 0x7f800000
	v_mov_b32_e32 v5, 0x7e
	v_mov_b32_e32 v8, 0x7f
	v_cmp_lt_u32_e32 vcc, s10, v7
	v_cndmask_b32_e32 v5, v5, v8, vcc
; %bb.1832:
	s_or_b64 exec, exec, s[2:3]
	v_lshrrev_b32_e32 v4, 24, v4
	s_movk_i32 s2, 0x80
	v_and_or_b32 v4, v4, s2, v5
	global_store_byte v[0:1], v4, off
.LBB55_1833:
	s_mov_b64 s[2:3], 0
.LBB55_1834:
	s_andn2_b64 vcc, exec, s[2:3]
	s_cbranch_vccnz .LBB55_1844
; %bb.1835:
	v_cvt_f32_f16_e32 v4, v3
	s_mov_b32 s2, 0x47800000
                                        ; implicit-def: $vgpr5
	v_and_b32_e32 v7, 0x7fffffff, v4
	v_cmp_gt_u32_e32 vcc, s2, v7
	s_and_saveexec_b64 s[2:3], vcc
	s_xor_b64 s[2:3], exec, s[2:3]
	s_cbranch_execz .LBB55_1841
; %bb.1836:
	s_mov_b32 s10, 0x387fffff
	v_cmp_lt_u32_e32 vcc, s10, v7
                                        ; implicit-def: $vgpr5
	s_and_saveexec_b64 s[10:11], vcc
	s_xor_b64 s[10:11], exec, s[10:11]
; %bb.1837:
	v_bfe_u32 v5, v4, 21, 1
	s_mov_b32 s12, 0x80fffff
	v_add3_u32 v5, v4, v5, s12
	v_lshrrev_b32_e32 v5, 21, v5
; %bb.1838:
	s_andn2_saveexec_b64 s[10:11], s[10:11]
; %bb.1839:
	s_mov_b32 s12, 0x43000000
	v_add_f32_e64 v5, |v4|, s12
; %bb.1840:
	s_or_b64 exec, exec, s[10:11]
                                        ; implicit-def: $vgpr7
.LBB55_1841:
	s_andn2_saveexec_b64 s[2:3], s[2:3]
; %bb.1842:
	s_mov_b32 s10, 0x7f800000
	v_mov_b32_e32 v5, 0x7c
	v_mov_b32_e32 v8, 0x7f
	v_cmp_lt_u32_e32 vcc, s10, v7
	v_cndmask_b32_e32 v5, v5, v8, vcc
; %bb.1843:
	s_or_b64 exec, exec, s[2:3]
	v_lshrrev_b32_e32 v4, 24, v4
	s_movk_i32 s2, 0x80
	v_and_or_b32 v4, v4, s2, v5
	global_store_byte v[0:1], v4, off
.LBB55_1844:
	s_mov_b64 s[2:3], 0
	s_mov_b64 s[10:11], -1
.LBB55_1845:
	s_andn2_b64 vcc, exec, s[2:3]
	s_mov_b64 s[2:3], 0
	s_cbranch_vccnz .LBB55_1852
; %bb.1846:
	s_cmp_gt_i32 s19, 14
	s_mov_b64 s[12:13], -1
	s_cbranch_scc0 .LBB55_1850
; %bb.1847:
	s_cmp_eq_u32 s19, 15
	s_mov_b64 s[0:1], -1
	s_cbranch_scc0 .LBB55_1849
; %bb.1848:
	v_cvt_f32_f16_e32 v4, v3
	s_movk_i32 s0, 0x7fff
	v_cmp_o_f16_e32 vcc, v3, v3
	v_mov_b32_e32 v5, 0x7fc0
	v_bfe_u32 v7, v4, 16, 1
	v_add3_u32 v4, v4, v7, s0
	v_cndmask_b32_sdwa v4, v5, v4, vcc dst_sel:DWORD dst_unused:UNUSED_PAD src0_sel:DWORD src1_sel:WORD_1
	global_store_short v[0:1], v4, off
	s_mov_b64 s[0:1], 0
	s_mov_b64 s[10:11], -1
.LBB55_1849:
	s_mov_b64 s[12:13], 0
.LBB55_1850:
	s_and_b64 vcc, exec, s[12:13]
	s_cbranch_vccz .LBB55_1852
; %bb.1851:
	s_cmp_lg_u32 s19, 11
	s_mov_b64 s[2:3], -1
	s_cselect_b64 s[0:1], -1, 0
.LBB55_1852:
	s_and_b64 vcc, exec, s[0:1]
	s_cbranch_vccnz .LBB55_2032
; %bb.1853:
	s_andn2_b64 vcc, exec, s[2:3]
	s_cbranch_vccnz .LBB55_1855
.LBB55_1854:
	v_cmp_neq_f16_e32 vcc, 0, v3
	v_cndmask_b32_e64 v4, 0, 1, vcc
	s_mov_b64 s[10:11], -1
	global_store_byte v[0:1], v4, off
.LBB55_1855:
	s_mov_b64 s[0:1], 0
	s_branch .LBB55_1857
.LBB55_1856:
	s_mov_b64 s[0:1], -1
	s_mov_b64 s[10:11], 0
.LBB55_1857:
	s_and_b64 vcc, exec, s[0:1]
	s_cbranch_vccz .LBB55_1896
; %bb.1858:
	s_and_b32 s2, 0xffff, s20
	s_cmp_lt_i32 s2, 5
	s_mov_b64 s[0:1], -1
	s_cbranch_scc1 .LBB55_1879
; %bb.1859:
	s_cmp_lt_i32 s2, 8
	s_cbranch_scc1 .LBB55_1869
; %bb.1860:
	s_cmp_lt_i32 s2, 9
	s_cbranch_scc1 .LBB55_1866
; %bb.1861:
	s_cmp_gt_i32 s2, 9
	s_cbranch_scc0 .LBB55_1863
; %bb.1862:
	v_cvt_f32_f16_e32 v4, v3
	v_mov_b32_e32 v9, 0
	v_mov_b32_e32 v10, v9
	s_mov_b64 s[0:1], 0
	v_cvt_f64_f32_e32 v[7:8], v4
	global_store_dwordx4 v[0:1], v[7:10], off
.LBB55_1863:
	s_andn2_b64 vcc, exec, s[0:1]
	s_cbranch_vccnz .LBB55_1865
; %bb.1864:
	v_cvt_f32_f16_e32 v4, v3
	v_mov_b32_e32 v5, 0
	global_store_dwordx2 v[0:1], v[4:5], off
.LBB55_1865:
	s_mov_b64 s[0:1], 0
.LBB55_1866:
	s_andn2_b64 vcc, exec, s[0:1]
	s_cbranch_vccnz .LBB55_1868
; %bb.1867:
	v_and_b32_e32 v4, 0xffff, v3
	global_store_dword v[0:1], v4, off
.LBB55_1868:
	s_mov_b64 s[0:1], 0
.LBB55_1869:
	s_andn2_b64 vcc, exec, s[0:1]
	s_cbranch_vccnz .LBB55_1878
; %bb.1870:
	s_cmp_lt_i32 s2, 6
	s_mov_b64 s[0:1], -1
	s_cbranch_scc1 .LBB55_1876
; %bb.1871:
	s_cmp_gt_i32 s2, 6
	s_cbranch_scc0 .LBB55_1873
; %bb.1872:
	v_cvt_f32_f16_e32 v4, v3
	s_mov_b64 s[0:1], 0
	v_cvt_f64_f32_e32 v[4:5], v4
	global_store_dwordx2 v[0:1], v[4:5], off
.LBB55_1873:
	s_andn2_b64 vcc, exec, s[0:1]
	s_cbranch_vccnz .LBB55_1875
; %bb.1874:
	v_cvt_f32_f16_e32 v4, v3
	global_store_dword v[0:1], v4, off
.LBB55_1875:
	s_mov_b64 s[0:1], 0
.LBB55_1876:
	s_andn2_b64 vcc, exec, s[0:1]
	s_cbranch_vccnz .LBB55_1878
; %bb.1877:
	global_store_short v[0:1], v3, off
.LBB55_1878:
	s_mov_b64 s[0:1], 0
.LBB55_1879:
	s_andn2_b64 vcc, exec, s[0:1]
	s_cbranch_vccnz .LBB55_1895
; %bb.1880:
	s_cmp_lt_i32 s2, 2
	s_mov_b64 s[0:1], -1
	s_cbranch_scc1 .LBB55_1890
; %bb.1881:
	s_cmp_lt_i32 s2, 3
	s_cbranch_scc1 .LBB55_1887
; %bb.1882:
	s_cmp_gt_i32 s2, 3
	s_cbranch_scc0 .LBB55_1884
; %bb.1883:
	v_cvt_f32_f16_e32 v4, v3
	s_mov_b64 s[0:1], 0
	v_cvt_i32_f32_e32 v4, v4
	v_ashrrev_i32_e32 v5, 31, v4
	global_store_dwordx2 v[0:1], v[4:5], off
.LBB55_1884:
	s_andn2_b64 vcc, exec, s[0:1]
	s_cbranch_vccnz .LBB55_1886
; %bb.1885:
	v_cvt_f32_f16_e32 v4, v3
	v_cvt_i32_f32_e32 v4, v4
	global_store_dword v[0:1], v4, off
.LBB55_1886:
	s_mov_b64 s[0:1], 0
.LBB55_1887:
	s_andn2_b64 vcc, exec, s[0:1]
	s_cbranch_vccnz .LBB55_1889
; %bb.1888:
	v_cvt_i16_f16_e32 v4, v3
	global_store_short v[0:1], v4, off
.LBB55_1889:
	s_mov_b64 s[0:1], 0
.LBB55_1890:
	s_andn2_b64 vcc, exec, s[0:1]
	s_cbranch_vccnz .LBB55_1895
; %bb.1891:
	s_cmp_gt_i32 s2, 0
	s_mov_b64 s[0:1], -1
	s_cbranch_scc0 .LBB55_1893
; %bb.1892:
	v_cvt_i16_f16_e32 v4, v3
	global_store_byte v[0:1], v4, off
	s_mov_b64 s[0:1], 0
.LBB55_1893:
	s_andn2_b64 vcc, exec, s[0:1]
	s_cbranch_vccnz .LBB55_1895
; %bb.1894:
	v_cvt_f32_f16_e32 v3, v3
	v_cvt_i32_f32_e32 v3, v3
	global_store_byte v[0:1], v3, off
.LBB55_1895:
	s_mov_b64 s[10:11], -1
.LBB55_1896:
	s_andn2_b64 vcc, exec, s[10:11]
	s_cbranch_vccnz .LBB55_1973
; %bb.1897:
	v_cvt_f32_f16_e32 v0, v6
	s_mov_b32 s0, -0.5
	v_mov_b32_e32 v1, 0.5
	v_fma_mix_f32 v1, |v6|, s0, v1 op_sel_hi:[1,0,0]
	v_mul_f32_e32 v3, v0, v0
	v_cmp_ge_f32_e64 vcc, |v0|, 0.5
	v_cndmask_b32_e32 v1, v3, v1, vcc
	v_mov_b32_e32 v3, 0x3c5fc5da
	v_fmac_f32_e32 v3, 0x3d1c21a7, v1
	v_mov_b32_e32 v4, 0x3d034c3c
	v_fmac_f32_e32 v4, v1, v3
	v_mov_b32_e32 v3, 0x3d3641b1
	v_fmac_f32_e32 v3, v1, v4
	v_mov_b32_e32 v4, 0x3d999bc8
	v_fmac_f32_e32 v4, v1, v3
	v_sqrt_f32_e32 v3, v1
	v_mov_b32_e32 v5, 0x3e2aaaac
	v_fmac_f32_e32 v5, v1, v4
	v_mul_f32_e32 v1, v1, v5
	v_fmac_f32_e32 v3, v3, v1
	v_add_f32_e32 v3, v3, v3
	v_sub_f32_e32 v3, 0x3fc90fdb, v3
	v_fma_mix_f32 v1, |v6|, v1, |v6| op_sel_hi:[1,0,1]
	v_cmp_lt_f32_e64 vcc, |v0|, 0.5
	v_cndmask_b32_e32 v0, v3, v1, vcc
	v_cvt_f16_f32_e32 v0, v0
	s_movk_i32 s0, 0x7fff
	s_cmp_lt_i32 s20, 11
	v_bfi_b32 v3, s0, v0, v6
	v_add_u32_e32 v0, s18, v2
	v_ashrrev_i32_e32 v1, 31, v0
	v_mov_b32_e32 v2, s9
	v_add_co_u32_e32 v0, vcc, s8, v0
	v_addc_co_u32_e32 v1, vcc, v2, v1, vcc
	s_cbranch_scc1 .LBB55_2018
; %bb.1898:
	s_and_b32 s16, 0xffff, s20
	s_mov_b64 s[8:9], -1
	s_mov_b64 s[2:3], 0
	s_cmp_gt_i32 s16, 25
	s_mov_b64 s[0:1], 0
	s_cbranch_scc0 .LBB55_1931
; %bb.1899:
	s_cmp_gt_i32 s16, 28
	s_cbranch_scc0 .LBB55_1915
; %bb.1900:
	s_cmp_gt_i32 s16, 43
	;; [unrolled: 3-line block ×3, first 2 shown]
	s_cbranch_scc0 .LBB55_1905
; %bb.1902:
	s_cmp_eq_u32 s16, 46
	s_mov_b64 s[0:1], -1
	s_cbranch_scc0 .LBB55_1904
; %bb.1903:
	v_cvt_f32_f16_e32 v2, v3
	s_movk_i32 s0, 0x7fff
	v_cmp_o_f16_e32 vcc, v3, v3
	v_mov_b32_e32 v4, 0x7fc0
	v_bfe_u32 v5, v2, 16, 1
	v_add3_u32 v2, v2, v5, s0
	v_cndmask_b32_sdwa v2, v4, v2, vcc dst_sel:DWORD dst_unused:UNUSED_PAD src0_sel:DWORD src1_sel:WORD_1
	global_store_dword v[0:1], v2, off
	s_mov_b64 s[0:1], 0
.LBB55_1904:
	s_mov_b64 s[8:9], 0
.LBB55_1905:
	s_and_b64 vcc, exec, s[8:9]
	s_cbranch_vccz .LBB55_1910
; %bb.1906:
	s_cmp_eq_u32 s16, 44
	s_mov_b64 s[0:1], -1
	s_cbranch_scc0 .LBB55_1910
; %bb.1907:
	v_cvt_f32_f16_e32 v2, v3
	s_movk_i32 s0, 0xff
	v_mov_b32_e32 v5, 0xff
	v_bfe_u32 v4, v2, 23, 8
	v_cmp_ne_u32_e32 vcc, s0, v4
	s_and_saveexec_b64 s[8:9], vcc
; %bb.1908:
	s_mov_b32 s0, 0x3fffff
	v_lshrrev_b32_e32 v5, 23, v2
	v_and_b32_e32 v6, 0x400000, v2
	v_and_or_b32 v2, v2, s0, v4
	v_cmp_ne_u32_e32 vcc, 0, v6
	v_cmp_ne_u32_e64 s[0:1], 0, v2
	s_and_b64 s[0:1], vcc, s[0:1]
	v_cndmask_b32_e64 v2, 0, 1, s[0:1]
	v_add_u32_e32 v5, v5, v2
; %bb.1909:
	s_or_b64 exec, exec, s[8:9]
	s_mov_b64 s[0:1], 0
	global_store_byte v[0:1], v5, off
.LBB55_1910:
	s_mov_b64 s[8:9], 0
.LBB55_1911:
	s_and_b64 vcc, exec, s[8:9]
	s_cbranch_vccz .LBB55_1914
; %bb.1912:
	s_cmp_eq_u32 s16, 29
	s_mov_b64 s[0:1], -1
	s_cbranch_scc0 .LBB55_1914
; %bb.1913:
	v_cvt_f32_f16_e32 v2, v3
	v_mov_b32_e32 v5, 0
	s_mov_b64 s[0:1], 0
	v_cvt_u32_f32_e32 v4, v2
	global_store_dwordx2 v[0:1], v[4:5], off
.LBB55_1914:
	s_mov_b64 s[8:9], 0
.LBB55_1915:
	s_and_b64 vcc, exec, s[8:9]
	s_cbranch_vccz .LBB55_1930
; %bb.1916:
	s_cmp_lt_i32 s16, 27
	s_mov_b64 s[8:9], -1
	s_cbranch_scc1 .LBB55_1922
; %bb.1917:
	s_cmp_gt_i32 s16, 27
	s_cbranch_scc0 .LBB55_1919
; %bb.1918:
	v_cvt_f32_f16_e32 v2, v3
	s_mov_b64 s[8:9], 0
	v_cvt_u32_f32_e32 v2, v2
	global_store_dword v[0:1], v2, off
.LBB55_1919:
	s_andn2_b64 vcc, exec, s[8:9]
	s_cbranch_vccnz .LBB55_1921
; %bb.1920:
	v_cvt_u16_f16_e32 v2, v3
	global_store_short v[0:1], v2, off
.LBB55_1921:
	s_mov_b64 s[8:9], 0
.LBB55_1922:
	s_andn2_b64 vcc, exec, s[8:9]
	s_cbranch_vccnz .LBB55_1930
; %bb.1923:
	v_cvt_f32_f16_e32 v2, v3
	s_mov_b32 s8, 0x43800000
	v_mov_b32_e32 v5, 0x80
	v_and_b32_e32 v4, 0x7fffffff, v2
	v_cmp_gt_u32_e32 vcc, s8, v4
	s_and_saveexec_b64 s[8:9], vcc
	s_cbranch_execz .LBB55_1929
; %bb.1924:
	s_mov_b32 s10, 0x3bffffff
	v_cmp_lt_u32_e32 vcc, s10, v4
	s_mov_b64 s[10:11], 0
                                        ; implicit-def: $vgpr4
	s_and_saveexec_b64 s[12:13], vcc
	s_xor_b64 s[12:13], exec, s[12:13]
	s_cbranch_execz .LBB55_2035
; %bb.1925:
	v_bfe_u32 v4, v2, 20, 1
	s_mov_b32 s17, 0x487ffff
	v_add3_u32 v4, v2, v4, s17
	s_mov_b64 s[10:11], exec
	v_lshrrev_b32_e32 v4, 20, v4
	s_andn2_saveexec_b64 s[12:13], s[12:13]
	s_cbranch_execnz .LBB55_2036
.LBB55_1926:
	s_or_b64 exec, exec, s[12:13]
	v_mov_b32_e32 v5, 0
	s_and_saveexec_b64 s[12:13], s[10:11]
.LBB55_1927:
	v_lshrrev_b32_e32 v2, 24, v2
	s_movk_i32 s10, 0x80
	v_and_or_b32 v5, v2, s10, v4
.LBB55_1928:
	s_or_b64 exec, exec, s[12:13]
.LBB55_1929:
	s_or_b64 exec, exec, s[8:9]
	global_store_byte v[0:1], v5, off
.LBB55_1930:
	s_mov_b64 s[8:9], 0
.LBB55_1931:
	s_and_b64 vcc, exec, s[8:9]
	s_cbranch_vccz .LBB55_1971
; %bb.1932:
	s_cmp_gt_i32 s16, 22
	s_mov_b64 s[2:3], -1
	s_cbranch_scc0 .LBB55_1964
; %bb.1933:
	s_cmp_lt_i32 s16, 24
	s_cbranch_scc1 .LBB55_1953
; %bb.1934:
	s_cmp_gt_i32 s16, 24
	s_cbranch_scc0 .LBB55_1942
; %bb.1935:
	v_cvt_f32_f16_e32 v2, v3
	s_mov_b32 s2, 0x47800000
	v_mov_b32_e32 v5, 0x80
	v_and_b32_e32 v4, 0x7fffffff, v2
	v_cmp_gt_u32_e32 vcc, s2, v4
	s_and_saveexec_b64 s[2:3], vcc
	s_cbranch_execz .LBB55_1941
; %bb.1936:
	s_mov_b32 s8, 0x37ffffff
	v_cmp_lt_u32_e32 vcc, s8, v4
	s_mov_b64 s[8:9], 0
                                        ; implicit-def: $vgpr4
	s_and_saveexec_b64 s[10:11], vcc
	s_xor_b64 s[10:11], exec, s[10:11]
	s_cbranch_execz .LBB55_2038
; %bb.1937:
	v_bfe_u32 v4, v2, 21, 1
	s_mov_b32 s12, 0x88fffff
	v_add3_u32 v4, v2, v4, s12
	s_mov_b64 s[8:9], exec
	v_lshrrev_b32_e32 v4, 21, v4
	s_andn2_saveexec_b64 s[10:11], s[10:11]
	s_cbranch_execnz .LBB55_2039
.LBB55_1938:
	s_or_b64 exec, exec, s[10:11]
	v_mov_b32_e32 v5, 0
	s_and_saveexec_b64 s[10:11], s[8:9]
.LBB55_1939:
	v_lshrrev_b32_e32 v2, 24, v2
	s_movk_i32 s8, 0x80
	v_and_or_b32 v5, v2, s8, v4
.LBB55_1940:
	s_or_b64 exec, exec, s[10:11]
.LBB55_1941:
	s_or_b64 exec, exec, s[2:3]
	s_mov_b64 s[2:3], 0
	global_store_byte v[0:1], v5, off
.LBB55_1942:
	s_and_b64 vcc, exec, s[2:3]
	s_cbranch_vccz .LBB55_1952
; %bb.1943:
	v_cvt_f32_f16_e32 v2, v3
	s_mov_b32 s2, 0x43f00000
                                        ; implicit-def: $vgpr4
	v_and_b32_e32 v5, 0x7fffffff, v2
	v_cmp_gt_u32_e32 vcc, s2, v5
	s_and_saveexec_b64 s[2:3], vcc
	s_xor_b64 s[2:3], exec, s[2:3]
	s_cbranch_execz .LBB55_1949
; %bb.1944:
	s_mov_b32 s8, 0x3c7fffff
	v_cmp_lt_u32_e32 vcc, s8, v5
                                        ; implicit-def: $vgpr4
	s_and_saveexec_b64 s[8:9], vcc
	s_xor_b64 s[8:9], exec, s[8:9]
; %bb.1945:
	v_bfe_u32 v4, v2, 20, 1
	s_mov_b32 s10, 0x407ffff
	v_add3_u32 v4, v2, v4, s10
	v_lshrrev_b32_e32 v5, 20, v4
	v_and_b32_e32 v4, 0xff00000, v4
	s_mov_b32 s10, 0x7f00000
	v_mov_b32_e32 v6, 0x7e
	v_cmp_ne_u32_e32 vcc, s10, v4
	v_cndmask_b32_e32 v4, v6, v5, vcc
; %bb.1946:
	s_andn2_saveexec_b64 s[8:9], s[8:9]
; %bb.1947:
	s_mov_b32 s10, 0x46800000
	v_add_f32_e64 v4, |v2|, s10
; %bb.1948:
	s_or_b64 exec, exec, s[8:9]
                                        ; implicit-def: $vgpr5
.LBB55_1949:
	s_andn2_saveexec_b64 s[2:3], s[2:3]
; %bb.1950:
	s_mov_b32 s8, 0x7f800000
	v_mov_b32_e32 v4, 0x7e
	v_mov_b32_e32 v6, 0x7f
	v_cmp_lt_u32_e32 vcc, s8, v5
	v_cndmask_b32_e32 v4, v4, v6, vcc
; %bb.1951:
	s_or_b64 exec, exec, s[2:3]
	v_lshrrev_b32_e32 v2, 24, v2
	s_movk_i32 s2, 0x80
	v_and_or_b32 v2, v2, s2, v4
	global_store_byte v[0:1], v2, off
.LBB55_1952:
	s_mov_b64 s[2:3], 0
.LBB55_1953:
	s_andn2_b64 vcc, exec, s[2:3]
	s_cbranch_vccnz .LBB55_1963
; %bb.1954:
	v_cvt_f32_f16_e32 v2, v3
	s_mov_b32 s2, 0x47800000
                                        ; implicit-def: $vgpr4
	v_and_b32_e32 v5, 0x7fffffff, v2
	v_cmp_gt_u32_e32 vcc, s2, v5
	s_and_saveexec_b64 s[2:3], vcc
	s_xor_b64 s[2:3], exec, s[2:3]
	s_cbranch_execz .LBB55_1960
; %bb.1955:
	s_mov_b32 s8, 0x387fffff
	v_cmp_lt_u32_e32 vcc, s8, v5
                                        ; implicit-def: $vgpr4
	s_and_saveexec_b64 s[8:9], vcc
	s_xor_b64 s[8:9], exec, s[8:9]
; %bb.1956:
	v_bfe_u32 v4, v2, 21, 1
	s_mov_b32 s10, 0x80fffff
	v_add3_u32 v4, v2, v4, s10
	v_lshrrev_b32_e32 v4, 21, v4
; %bb.1957:
	s_andn2_saveexec_b64 s[8:9], s[8:9]
; %bb.1958:
	s_mov_b32 s10, 0x43000000
	v_add_f32_e64 v4, |v2|, s10
; %bb.1959:
	s_or_b64 exec, exec, s[8:9]
                                        ; implicit-def: $vgpr5
.LBB55_1960:
	s_andn2_saveexec_b64 s[2:3], s[2:3]
; %bb.1961:
	s_mov_b32 s8, 0x7f800000
	v_mov_b32_e32 v4, 0x7c
	v_mov_b32_e32 v6, 0x7f
	v_cmp_lt_u32_e32 vcc, s8, v5
	v_cndmask_b32_e32 v4, v4, v6, vcc
; %bb.1962:
	s_or_b64 exec, exec, s[2:3]
	v_lshrrev_b32_e32 v2, 24, v2
	s_movk_i32 s2, 0x80
	v_and_or_b32 v2, v2, s2, v4
	global_store_byte v[0:1], v2, off
.LBB55_1963:
	s_mov_b64 s[2:3], 0
.LBB55_1964:
	s_andn2_b64 vcc, exec, s[2:3]
	s_mov_b64 s[2:3], 0
	s_cbranch_vccnz .LBB55_1971
; %bb.1965:
	s_cmp_gt_i32 s16, 14
	s_mov_b64 s[8:9], -1
	s_cbranch_scc0 .LBB55_1969
; %bb.1966:
	s_cmp_eq_u32 s16, 15
	s_mov_b64 s[0:1], -1
	s_cbranch_scc0 .LBB55_1968
; %bb.1967:
	v_cvt_f32_f16_e32 v2, v3
	s_movk_i32 s0, 0x7fff
	v_cmp_o_f16_e32 vcc, v3, v3
	v_mov_b32_e32 v4, 0x7fc0
	v_bfe_u32 v5, v2, 16, 1
	v_add3_u32 v2, v2, v5, s0
	v_cndmask_b32_sdwa v2, v4, v2, vcc dst_sel:DWORD dst_unused:UNUSED_PAD src0_sel:DWORD src1_sel:WORD_1
	global_store_short v[0:1], v2, off
	s_mov_b64 s[0:1], 0
.LBB55_1968:
	s_mov_b64 s[8:9], 0
.LBB55_1969:
	s_and_b64 vcc, exec, s[8:9]
	s_cbranch_vccz .LBB55_1971
; %bb.1970:
	s_cmp_lg_u32 s16, 11
	s_mov_b64 s[2:3], -1
	s_cselect_b64 s[0:1], -1, 0
.LBB55_1971:
	s_and_b64 vcc, exec, s[0:1]
	s_cbranch_vccnz .LBB55_2037
.LBB55_1972:
	s_mov_b64 s[0:1], 0
	s_branch .LBB55_1974
.LBB55_1973:
	s_mov_b64 s[0:1], 0
	s_mov_b64 s[2:3], 0
                                        ; implicit-def: $sgpr20
                                        ; implicit-def: $vgpr0_vgpr1
                                        ; implicit-def: $vgpr3
.LBB55_1974:
	s_and_b64 s[12:13], s[2:3], exec
	s_andn2_b64 s[2:3], s[6:7], exec
	s_and_b64 s[6:7], s[14:15], exec
	s_and_b64 s[0:1], s[0:1], exec
	s_or_b64 s[6:7], s[2:3], s[6:7]
.LBB55_1975:
	s_or_b64 exec, exec, s[4:5]
	s_and_saveexec_b64 s[2:3], s[6:7]
	s_cbranch_execz .LBB55_1978
; %bb.1976:
	; divergent unreachable
	s_or_b64 exec, exec, s[2:3]
	s_and_saveexec_b64 s[2:3], s[12:13]
	s_xor_b64 s[2:3], exec, s[2:3]
	s_cbranch_execnz .LBB55_1979
.LBB55_1977:
	s_or_b64 exec, exec, s[2:3]
	s_and_saveexec_b64 s[2:3], s[0:1]
	s_cbranch_execnz .LBB55_1980
	s_branch .LBB55_2017
.LBB55_1978:
	s_or_b64 exec, exec, s[2:3]
	s_and_saveexec_b64 s[2:3], s[12:13]
	s_xor_b64 s[2:3], exec, s[2:3]
	s_cbranch_execz .LBB55_1977
.LBB55_1979:
	s_waitcnt vmcnt(0)
	v_cmp_neq_f16_e32 vcc, 0, v3
	v_cndmask_b32_e64 v2, 0, 1, vcc
	global_store_byte v[0:1], v2, off
	s_or_b64 exec, exec, s[2:3]
	s_and_saveexec_b64 s[2:3], s[0:1]
	s_cbranch_execz .LBB55_2017
.LBB55_1980:
	s_sext_i32_i16 s2, s20
	s_cmp_lt_i32 s2, 5
	s_mov_b64 s[0:1], -1
	s_cbranch_scc1 .LBB55_2001
; %bb.1981:
	s_cmp_lt_i32 s2, 8
	s_cbranch_scc1 .LBB55_1991
; %bb.1982:
	s_cmp_lt_i32 s2, 9
	s_cbranch_scc1 .LBB55_1988
; %bb.1983:
	s_cmp_gt_i32 s2, 9
	s_cbranch_scc0 .LBB55_1985
; %bb.1984:
	s_waitcnt vmcnt(0)
	v_cvt_f32_f16_e32 v2, v3
	v_mov_b32_e32 v6, 0
	v_mov_b32_e32 v7, v6
	s_mov_b64 s[0:1], 0
	v_cvt_f64_f32_e32 v[4:5], v2
	global_store_dwordx4 v[0:1], v[4:7], off
.LBB55_1985:
	s_andn2_b64 vcc, exec, s[0:1]
	s_cbranch_vccnz .LBB55_1987
; %bb.1986:
	s_waitcnt vmcnt(0)
	v_cvt_f32_f16_e32 v4, v3
	v_mov_b32_e32 v5, 0
	global_store_dwordx2 v[0:1], v[4:5], off
.LBB55_1987:
	s_mov_b64 s[0:1], 0
.LBB55_1988:
	s_andn2_b64 vcc, exec, s[0:1]
	s_cbranch_vccnz .LBB55_1990
; %bb.1989:
	s_waitcnt vmcnt(0)
	v_and_b32_e32 v2, 0xffff, v3
	global_store_dword v[0:1], v2, off
.LBB55_1990:
	s_mov_b64 s[0:1], 0
.LBB55_1991:
	s_andn2_b64 vcc, exec, s[0:1]
	s_cbranch_vccnz .LBB55_2000
; %bb.1992:
	s_sext_i32_i16 s2, s20
	s_cmp_lt_i32 s2, 6
	s_mov_b64 s[0:1], -1
	s_cbranch_scc1 .LBB55_1998
; %bb.1993:
	s_cmp_gt_i32 s2, 6
	s_cbranch_scc0 .LBB55_1995
; %bb.1994:
	s_waitcnt vmcnt(0)
	v_cvt_f32_f16_e32 v2, v3
	s_mov_b64 s[0:1], 0
	v_cvt_f64_f32_e32 v[4:5], v2
	global_store_dwordx2 v[0:1], v[4:5], off
.LBB55_1995:
	s_andn2_b64 vcc, exec, s[0:1]
	s_cbranch_vccnz .LBB55_1997
; %bb.1996:
	s_waitcnt vmcnt(0)
	v_cvt_f32_f16_e32 v2, v3
	global_store_dword v[0:1], v2, off
.LBB55_1997:
	s_mov_b64 s[0:1], 0
.LBB55_1998:
	s_andn2_b64 vcc, exec, s[0:1]
	s_cbranch_vccnz .LBB55_2000
; %bb.1999:
	s_waitcnt vmcnt(0)
	global_store_short v[0:1], v3, off
.LBB55_2000:
	s_mov_b64 s[0:1], 0
.LBB55_2001:
	s_andn2_b64 vcc, exec, s[0:1]
	s_cbranch_vccnz .LBB55_2017
; %bb.2002:
	s_sext_i32_i16 s2, s20
	s_cmp_lt_i32 s2, 2
	s_mov_b64 s[0:1], -1
	s_cbranch_scc1 .LBB55_2012
; %bb.2003:
	s_cmp_lt_i32 s2, 3
	s_cbranch_scc1 .LBB55_2009
; %bb.2004:
	s_cmp_gt_i32 s2, 3
	s_cbranch_scc0 .LBB55_2006
; %bb.2005:
	s_waitcnt vmcnt(0)
	v_cvt_f32_f16_e32 v2, v3
	s_mov_b64 s[0:1], 0
	v_cvt_i32_f32_e32 v4, v2
	v_ashrrev_i32_e32 v5, 31, v4
	global_store_dwordx2 v[0:1], v[4:5], off
.LBB55_2006:
	s_andn2_b64 vcc, exec, s[0:1]
	s_cbranch_vccnz .LBB55_2008
; %bb.2007:
	s_waitcnt vmcnt(0)
	v_cvt_f32_f16_e32 v2, v3
	v_cvt_i32_f32_e32 v2, v2
	global_store_dword v[0:1], v2, off
.LBB55_2008:
	s_mov_b64 s[0:1], 0
.LBB55_2009:
	s_andn2_b64 vcc, exec, s[0:1]
	s_cbranch_vccnz .LBB55_2011
; %bb.2010:
	s_waitcnt vmcnt(0)
	v_cvt_i16_f16_e32 v2, v3
	global_store_short v[0:1], v2, off
.LBB55_2011:
	s_mov_b64 s[0:1], 0
.LBB55_2012:
	s_andn2_b64 vcc, exec, s[0:1]
	s_cbranch_vccnz .LBB55_2017
; %bb.2013:
	s_sext_i32_i16 s0, s20
	s_cmp_gt_i32 s0, 0
	s_mov_b64 s[0:1], -1
	s_cbranch_scc0 .LBB55_2015
; %bb.2014:
	s_waitcnt vmcnt(0)
	v_cvt_i16_f16_e32 v2, v3
	global_store_byte v[0:1], v2, off
	s_mov_b64 s[0:1], 0
.LBB55_2015:
	s_andn2_b64 vcc, exec, s[0:1]
	s_cbranch_vccnz .LBB55_2017
; %bb.2016:
	s_waitcnt vmcnt(0)
	v_cvt_f32_f16_e32 v2, v3
	v_cvt_i32_f32_e32 v2, v2
	global_store_byte v[0:1], v2, off
	s_endpgm
.LBB55_2017:
	s_endpgm
.LBB55_2018:
	s_mov_b64 s[2:3], 0
	s_mov_b64 s[0:1], -1
	s_branch .LBB55_1974
.LBB55_2019:
	s_trap 2
	s_or_b64 s[14:15], s[14:15], exec
	s_cbranch_execz .LBB55_1488
	s_branch .LBB55_1489
.LBB55_2020:
	s_andn2_saveexec_b64 s[18:19], s[18:19]
	s_cbranch_execz .LBB55_1568
.LBB55_2021:
	s_mov_b32 s21, 0x46000000
	v_add_f32_e64 v8, |v7|, s21
	v_and_b32_e32 v8, 0xff, v8
	v_cmp_ne_u32_e32 vcc, 0, v8
	s_andn2_b64 s[16:17], s[16:17], exec
	s_and_b64 s[22:23], vcc, exec
	s_or_b64 s[16:17], s[16:17], s[22:23]
	s_or_b64 exec, exec, s[18:19]
	v_mov_b32_e32 v9, 0
	s_and_saveexec_b64 s[18:19], s[16:17]
	s_cbranch_execnz .LBB55_1569
	s_branch .LBB55_1570
.LBB55_2022:
	s_trap 2
	s_or_b64 s[14:15], s[14:15], exec
	s_cbranch_execz .LBB55_1616
	s_branch .LBB55_1617
.LBB55_2023:
	s_andn2_saveexec_b64 s[16:17], s[16:17]
	s_cbranch_execz .LBB55_1581
.LBB55_2024:
	s_mov_b32 s18, 0x42800000
	v_add_f32_e64 v8, |v7|, s18
	v_and_b32_e32 v8, 0xff, v8
	v_cmp_ne_u32_e32 vcc, 0, v8
	s_andn2_b64 s[12:13], s[12:13], exec
	s_and_b64 s[18:19], vcc, exec
	s_or_b64 s[12:13], s[12:13], s[18:19]
	s_or_b64 exec, exec, s[16:17]
	v_mov_b32_e32 v9, 0
	s_and_saveexec_b64 s[16:17], s[12:13]
	s_cbranch_execnz .LBB55_1582
	s_branch .LBB55_1583
.LBB55_2025:
	s_andn2_saveexec_b64 s[16:17], s[16:17]
	s_cbranch_execz .LBB55_1687
.LBB55_2026:
	s_mov_b32 s21, 0x46000000
	v_add_f32_e64 v7, |v4|, s21
	v_and_b32_e32 v7, 0xff, v7
	v_cmp_ne_u32_e32 vcc, 0, v7
	s_andn2_b64 s[12:13], s[12:13], exec
	s_and_b64 s[22:23], vcc, exec
	s_or_b64 s[12:13], s[12:13], s[22:23]
	s_or_b64 exec, exec, s[16:17]
	v_mov_b32_e32 v8, 0
	s_and_saveexec_b64 s[16:17], s[12:13]
	s_cbranch_execnz .LBB55_1688
	s_branch .LBB55_1689
.LBB55_2027:
	s_trap 2
	s_or_b64 s[14:15], s[14:15], exec
	s_cbranch_execz .LBB55_1735
	s_branch .LBB55_1736
.LBB55_2028:
	s_andn2_saveexec_b64 s[12:13], s[12:13]
	s_cbranch_execz .LBB55_1700
.LBB55_2029:
	s_mov_b32 s16, 0x42800000
	v_add_f32_e64 v7, |v4|, s16
	v_and_b32_e32 v7, 0xff, v7
	v_cmp_ne_u32_e32 vcc, 0, v7
	s_andn2_b64 s[10:11], s[10:11], exec
	s_and_b64 s[16:17], vcc, exec
	s_or_b64 s[10:11], s[10:11], s[16:17]
	s_or_b64 exec, exec, s[12:13]
	v_mov_b32_e32 v8, 0
	s_and_saveexec_b64 s[12:13], s[10:11]
	s_cbranch_execnz .LBB55_1701
	s_branch .LBB55_1702
.LBB55_2030:
	s_andn2_saveexec_b64 s[16:17], s[16:17]
	s_cbranch_execz .LBB55_1806
.LBB55_2031:
	s_mov_b32 s21, 0x46000000
	v_add_f32_e64 v5, |v4|, s21
	v_and_b32_e32 v5, 0xff, v5
	v_cmp_ne_u32_e32 vcc, 0, v5
	s_andn2_b64 s[12:13], s[12:13], exec
	s_and_b64 s[22:23], vcc, exec
	s_or_b64 s[12:13], s[12:13], s[22:23]
	s_or_b64 exec, exec, s[16:17]
	v_mov_b32_e32 v7, 0
	s_and_saveexec_b64 s[16:17], s[12:13]
	s_cbranch_execnz .LBB55_1807
	s_branch .LBB55_1808
.LBB55_2032:
	s_trap 2
	s_or_b64 s[14:15], s[14:15], exec
	s_cbranch_execz .LBB55_1854
	s_branch .LBB55_1855
.LBB55_2033:
	s_andn2_saveexec_b64 s[12:13], s[12:13]
	s_cbranch_execz .LBB55_1819
.LBB55_2034:
	s_mov_b32 s16, 0x42800000
	v_add_f32_e64 v5, |v4|, s16
	v_and_b32_e32 v5, 0xff, v5
	v_cmp_ne_u32_e32 vcc, 0, v5
	s_andn2_b64 s[10:11], s[10:11], exec
	s_and_b64 s[16:17], vcc, exec
	s_or_b64 s[10:11], s[10:11], s[16:17]
	s_or_b64 exec, exec, s[12:13]
	v_mov_b32_e32 v7, 0
	s_and_saveexec_b64 s[12:13], s[10:11]
	s_cbranch_execnz .LBB55_1820
	s_branch .LBB55_1821
.LBB55_2035:
	s_andn2_saveexec_b64 s[12:13], s[12:13]
	s_cbranch_execz .LBB55_1926
.LBB55_2036:
	s_mov_b32 s17, 0x46000000
	v_add_f32_e64 v4, |v2|, s17
	v_and_b32_e32 v4, 0xff, v4
	v_cmp_ne_u32_e32 vcc, 0, v4
	s_andn2_b64 s[10:11], s[10:11], exec
	s_and_b64 s[18:19], vcc, exec
	s_or_b64 s[10:11], s[10:11], s[18:19]
	s_or_b64 exec, exec, s[12:13]
	v_mov_b32_e32 v5, 0
	s_and_saveexec_b64 s[12:13], s[10:11]
	s_cbranch_execnz .LBB55_1927
	s_branch .LBB55_1928
.LBB55_2037:
	s_mov_b64 s[2:3], 0
	s_or_b64 s[14:15], s[14:15], exec
	s_trap 2
	s_branch .LBB55_1972
.LBB55_2038:
	s_andn2_saveexec_b64 s[10:11], s[10:11]
	s_cbranch_execz .LBB55_1938
.LBB55_2039:
	s_mov_b32 s12, 0x42800000
	v_add_f32_e64 v4, |v2|, s12
	v_and_b32_e32 v4, 0xff, v4
	v_cmp_ne_u32_e32 vcc, 0, v4
	s_andn2_b64 s[8:9], s[8:9], exec
	s_and_b64 s[12:13], vcc, exec
	s_or_b64 s[8:9], s[8:9], s[12:13]
	s_or_b64 exec, exec, s[10:11]
	v_mov_b32_e32 v5, 0
	s_and_saveexec_b64 s[10:11], s[8:9]
	s_cbranch_execnz .LBB55_1939
	s_branch .LBB55_1940
	.section	.rodata,"a",@progbits
	.p2align	6, 0x0
	.amdhsa_kernel _ZN2at6native32elementwise_kernel_manual_unrollILi128ELi4EZNS0_15gpu_kernel_implIZZZNS0_16asin_kernel_cudaERNS_18TensorIteratorBaseEENKUlvE0_clEvENKUlvE1_clEvEUlN3c104HalfEE_EEvS4_RKT_EUlibE_EEviT1_
		.amdhsa_group_segment_fixed_size 0
		.amdhsa_private_segment_fixed_size 0
		.amdhsa_kernarg_size 40
		.amdhsa_user_sgpr_count 6
		.amdhsa_user_sgpr_private_segment_buffer 1
		.amdhsa_user_sgpr_dispatch_ptr 0
		.amdhsa_user_sgpr_queue_ptr 0
		.amdhsa_user_sgpr_kernarg_segment_ptr 1
		.amdhsa_user_sgpr_dispatch_id 0
		.amdhsa_user_sgpr_flat_scratch_init 0
		.amdhsa_user_sgpr_private_segment_size 0
		.amdhsa_uses_dynamic_stack 0
		.amdhsa_system_sgpr_private_segment_wavefront_offset 0
		.amdhsa_system_sgpr_workgroup_id_x 1
		.amdhsa_system_sgpr_workgroup_id_y 0
		.amdhsa_system_sgpr_workgroup_id_z 0
		.amdhsa_system_sgpr_workgroup_info 0
		.amdhsa_system_vgpr_workitem_id 0
		.amdhsa_next_free_vgpr 14
		.amdhsa_next_free_sgpr 44
		.amdhsa_reserve_vcc 1
		.amdhsa_reserve_flat_scratch 0
		.amdhsa_float_round_mode_32 0
		.amdhsa_float_round_mode_16_64 0
		.amdhsa_float_denorm_mode_32 3
		.amdhsa_float_denorm_mode_16_64 3
		.amdhsa_dx10_clamp 1
		.amdhsa_ieee_mode 1
		.amdhsa_fp16_overflow 0
		.amdhsa_exception_fp_ieee_invalid_op 0
		.amdhsa_exception_fp_denorm_src 0
		.amdhsa_exception_fp_ieee_div_zero 0
		.amdhsa_exception_fp_ieee_overflow 0
		.amdhsa_exception_fp_ieee_underflow 0
		.amdhsa_exception_fp_ieee_inexact 0
		.amdhsa_exception_int_div_zero 0
	.end_amdhsa_kernel
	.section	.text._ZN2at6native32elementwise_kernel_manual_unrollILi128ELi4EZNS0_15gpu_kernel_implIZZZNS0_16asin_kernel_cudaERNS_18TensorIteratorBaseEENKUlvE0_clEvENKUlvE1_clEvEUlN3c104HalfEE_EEvS4_RKT_EUlibE_EEviT1_,"axG",@progbits,_ZN2at6native32elementwise_kernel_manual_unrollILi128ELi4EZNS0_15gpu_kernel_implIZZZNS0_16asin_kernel_cudaERNS_18TensorIteratorBaseEENKUlvE0_clEvENKUlvE1_clEvEUlN3c104HalfEE_EEvS4_RKT_EUlibE_EEviT1_,comdat
.Lfunc_end55:
	.size	_ZN2at6native32elementwise_kernel_manual_unrollILi128ELi4EZNS0_15gpu_kernel_implIZZZNS0_16asin_kernel_cudaERNS_18TensorIteratorBaseEENKUlvE0_clEvENKUlvE1_clEvEUlN3c104HalfEE_EEvS4_RKT_EUlibE_EEviT1_, .Lfunc_end55-_ZN2at6native32elementwise_kernel_manual_unrollILi128ELi4EZNS0_15gpu_kernel_implIZZZNS0_16asin_kernel_cudaERNS_18TensorIteratorBaseEENKUlvE0_clEvENKUlvE1_clEvEUlN3c104HalfEE_EEvS4_RKT_EUlibE_EEviT1_
                                        ; -- End function
	.set _ZN2at6native32elementwise_kernel_manual_unrollILi128ELi4EZNS0_15gpu_kernel_implIZZZNS0_16asin_kernel_cudaERNS_18TensorIteratorBaseEENKUlvE0_clEvENKUlvE1_clEvEUlN3c104HalfEE_EEvS4_RKT_EUlibE_EEviT1_.num_vgpr, 14
	.set _ZN2at6native32elementwise_kernel_manual_unrollILi128ELi4EZNS0_15gpu_kernel_implIZZZNS0_16asin_kernel_cudaERNS_18TensorIteratorBaseEENKUlvE0_clEvENKUlvE1_clEvEUlN3c104HalfEE_EEvS4_RKT_EUlibE_EEviT1_.num_agpr, 0
	.set _ZN2at6native32elementwise_kernel_manual_unrollILi128ELi4EZNS0_15gpu_kernel_implIZZZNS0_16asin_kernel_cudaERNS_18TensorIteratorBaseEENKUlvE0_clEvENKUlvE1_clEvEUlN3c104HalfEE_EEvS4_RKT_EUlibE_EEviT1_.numbered_sgpr, 44
	.set _ZN2at6native32elementwise_kernel_manual_unrollILi128ELi4EZNS0_15gpu_kernel_implIZZZNS0_16asin_kernel_cudaERNS_18TensorIteratorBaseEENKUlvE0_clEvENKUlvE1_clEvEUlN3c104HalfEE_EEvS4_RKT_EUlibE_EEviT1_.num_named_barrier, 0
	.set _ZN2at6native32elementwise_kernel_manual_unrollILi128ELi4EZNS0_15gpu_kernel_implIZZZNS0_16asin_kernel_cudaERNS_18TensorIteratorBaseEENKUlvE0_clEvENKUlvE1_clEvEUlN3c104HalfEE_EEvS4_RKT_EUlibE_EEviT1_.private_seg_size, 0
	.set _ZN2at6native32elementwise_kernel_manual_unrollILi128ELi4EZNS0_15gpu_kernel_implIZZZNS0_16asin_kernel_cudaERNS_18TensorIteratorBaseEENKUlvE0_clEvENKUlvE1_clEvEUlN3c104HalfEE_EEvS4_RKT_EUlibE_EEviT1_.uses_vcc, 1
	.set _ZN2at6native32elementwise_kernel_manual_unrollILi128ELi4EZNS0_15gpu_kernel_implIZZZNS0_16asin_kernel_cudaERNS_18TensorIteratorBaseEENKUlvE0_clEvENKUlvE1_clEvEUlN3c104HalfEE_EEvS4_RKT_EUlibE_EEviT1_.uses_flat_scratch, 0
	.set _ZN2at6native32elementwise_kernel_manual_unrollILi128ELi4EZNS0_15gpu_kernel_implIZZZNS0_16asin_kernel_cudaERNS_18TensorIteratorBaseEENKUlvE0_clEvENKUlvE1_clEvEUlN3c104HalfEE_EEvS4_RKT_EUlibE_EEviT1_.has_dyn_sized_stack, 0
	.set _ZN2at6native32elementwise_kernel_manual_unrollILi128ELi4EZNS0_15gpu_kernel_implIZZZNS0_16asin_kernel_cudaERNS_18TensorIteratorBaseEENKUlvE0_clEvENKUlvE1_clEvEUlN3c104HalfEE_EEvS4_RKT_EUlibE_EEviT1_.has_recursion, 0
	.set _ZN2at6native32elementwise_kernel_manual_unrollILi128ELi4EZNS0_15gpu_kernel_implIZZZNS0_16asin_kernel_cudaERNS_18TensorIteratorBaseEENKUlvE0_clEvENKUlvE1_clEvEUlN3c104HalfEE_EEvS4_RKT_EUlibE_EEviT1_.has_indirect_call, 0
	.section	.AMDGPU.csdata,"",@progbits
; Kernel info:
; codeLenInByte = 36772
; TotalNumSgprs: 48
; NumVgprs: 14
; ScratchSize: 0
; MemoryBound: 0
; FloatMode: 240
; IeeeMode: 1
; LDSByteSize: 0 bytes/workgroup (compile time only)
; SGPRBlocks: 5
; VGPRBlocks: 3
; NumSGPRsForWavesPerEU: 48
; NumVGPRsForWavesPerEU: 14
; Occupancy: 10
; WaveLimiterHint : 0
; COMPUTE_PGM_RSRC2:SCRATCH_EN: 0
; COMPUTE_PGM_RSRC2:USER_SGPR: 6
; COMPUTE_PGM_RSRC2:TRAP_HANDLER: 0
; COMPUTE_PGM_RSRC2:TGID_X_EN: 1
; COMPUTE_PGM_RSRC2:TGID_Y_EN: 0
; COMPUTE_PGM_RSRC2:TGID_Z_EN: 0
; COMPUTE_PGM_RSRC2:TIDIG_COMP_CNT: 0
	.section	.text._ZN2at6native32elementwise_kernel_manual_unrollILi128ELi4EZNS0_15gpu_kernel_implIZZZNS0_16asin_kernel_cudaERNS_18TensorIteratorBaseEENKUlvE0_clEvENKUlvE1_clEvEUlN3c104HalfEE_EEvS4_RKT_EUlibE0_EEviT1_,"axG",@progbits,_ZN2at6native32elementwise_kernel_manual_unrollILi128ELi4EZNS0_15gpu_kernel_implIZZZNS0_16asin_kernel_cudaERNS_18TensorIteratorBaseEENKUlvE0_clEvENKUlvE1_clEvEUlN3c104HalfEE_EEvS4_RKT_EUlibE0_EEviT1_,comdat
	.globl	_ZN2at6native32elementwise_kernel_manual_unrollILi128ELi4EZNS0_15gpu_kernel_implIZZZNS0_16asin_kernel_cudaERNS_18TensorIteratorBaseEENKUlvE0_clEvENKUlvE1_clEvEUlN3c104HalfEE_EEvS4_RKT_EUlibE0_EEviT1_ ; -- Begin function _ZN2at6native32elementwise_kernel_manual_unrollILi128ELi4EZNS0_15gpu_kernel_implIZZZNS0_16asin_kernel_cudaERNS_18TensorIteratorBaseEENKUlvE0_clEvENKUlvE1_clEvEUlN3c104HalfEE_EEvS4_RKT_EUlibE0_EEviT1_
	.p2align	8
	.type	_ZN2at6native32elementwise_kernel_manual_unrollILi128ELi4EZNS0_15gpu_kernel_implIZZZNS0_16asin_kernel_cudaERNS_18TensorIteratorBaseEENKUlvE0_clEvENKUlvE1_clEvEUlN3c104HalfEE_EEvS4_RKT_EUlibE0_EEviT1_,@function
_ZN2at6native32elementwise_kernel_manual_unrollILi128ELi4EZNS0_15gpu_kernel_implIZZZNS0_16asin_kernel_cudaERNS_18TensorIteratorBaseEENKUlvE0_clEvENKUlvE1_clEvEUlN3c104HalfEE_EEvS4_RKT_EUlibE0_EEviT1_: ; @_ZN2at6native32elementwise_kernel_manual_unrollILi128ELi4EZNS0_15gpu_kernel_implIZZZNS0_16asin_kernel_cudaERNS_18TensorIteratorBaseEENKUlvE0_clEvENKUlvE1_clEvEUlN3c104HalfEE_EEvS4_RKT_EUlibE0_EEviT1_
; %bb.0:
	s_load_dword s70, s[4:5], 0x0
	s_load_dword s33, s[4:5], 0x8
	s_add_u32 s34, s4, 8
	s_addc_u32 s35, s5, 0
	v_lshl_or_b32 v8, s6, 9, v0
	v_or_b32_e32 v15, 0x180, v8
	s_waitcnt lgkmcnt(0)
	s_add_i32 s72, s33, -1
	s_cmp_gt_u32 s72, 1
	v_cmp_le_i32_e32 vcc, s70, v15
	s_cselect_b64 s[40:41], -1, 0
	s_mov_b64 s[6:7], 0
	s_mov_b64 s[28:29], 0
	s_and_saveexec_b64 s[0:1], vcc
	s_xor_b64 s[42:43], exec, s[0:1]
	s_cbranch_execz .LBB56_1086
; %bb.1:
	v_mov_b32_e32 v0, 0
	global_load_ushort v0, v0, s[34:35] offset:345
	s_load_dwordx4 s[36:39], s[34:35], 0x4
	s_load_dwordx2 s[44:45], s[34:35], 0x14
	s_load_dwordx4 s[28:31], s[34:35], 0xc4
	s_load_dwordx4 s[24:27], s[34:35], 0x148
	s_cmp_lg_u32 s33, 0
	s_cselect_b64 s[50:51], -1, 0
	s_add_u32 s48, s34, 0xc4
	s_addc_u32 s49, s35, 0
	s_min_u32 s75, s72, 15
	s_cmp_gt_u32 s33, 1
	s_cselect_b64 s[46:47], -1, 0
	v_cmp_gt_i32_e32 vcc, s70, v8
	s_mov_b64 s[2:3], -1
	s_mov_b64 s[60:61], 0
	s_mov_b64 s[54:55], 0
	;; [unrolled: 1-line block ×3, first 2 shown]
	s_waitcnt vmcnt(0)
	v_readfirstlane_b32 s73, v0
	s_and_b32 s0, 0xffff, s73
	s_lshr_b32 s74, s0, 8
	s_and_saveexec_b64 s[56:57], vcc
	s_cbranch_execz .LBB56_266
; %bb.2:
	s_andn2_b64 vcc, exec, s[40:41]
	s_cbranch_vccnz .LBB56_7
; %bb.3:
	s_andn2_b64 vcc, exec, s[50:51]
	s_cbranch_vccnz .LBB56_8
; %bb.4:
	s_add_i32 s59, s75, 1
	s_cmp_eq_u32 s72, 2
	s_cbranch_scc1 .LBB56_9
; %bb.5:
	s_and_b32 s58, s59, 28
	v_mov_b32_e32 v2, 0
	s_mov_b32 s62, 0
	s_mov_b64 s[52:53], s[34:35]
	s_mov_b64 s[54:55], s[48:49]
	v_mov_b32_e32 v0, 0
	v_mov_b32_e32 v1, v8
.LBB56_6:                               ; =>This Inner Loop Header: Depth=1
	s_load_dwordx8 s[16:23], s[52:53], 0x4
	s_load_dwordx4 s[0:3], s[52:53], 0x24
	s_load_dwordx8 s[8:15], s[54:55], 0x0
	s_add_u32 s52, s52, 48
	s_addc_u32 s53, s53, 0
	s_waitcnt lgkmcnt(0)
	v_mul_hi_u32 v3, s17, v1
	s_add_i32 s62, s62, 4
	s_add_u32 s54, s54, 32
	s_addc_u32 s55, s55, 0
	v_add_u32_e32 v3, v1, v3
	v_lshrrev_b32_e32 v3, s18, v3
	v_mul_lo_u32 v4, v3, s16
	v_mul_hi_u32 v5, s20, v3
	s_cmp_lg_u32 s58, s62
	v_sub_u32_e32 v1, v1, v4
	v_add_u32_e32 v4, v3, v5
	v_mul_lo_u32 v5, v1, s8
	v_mul_lo_u32 v6, v1, s9
	v_lshrrev_b32_e32 v1, s21, v4
	v_mul_lo_u32 v4, v1, s19
	v_mul_hi_u32 v7, s23, v1
	v_sub_u32_e32 v3, v3, v4
	v_add_u32_e32 v4, v1, v7
	v_lshrrev_b32_e32 v4, s0, v4
	v_mul_hi_u32 v9, s2, v4
	v_mul_lo_u32 v10, v4, s22
	v_mul_lo_u32 v7, v3, s10
	;; [unrolled: 1-line block ×3, first 2 shown]
	v_sub_u32_e32 v10, v1, v10
	v_add_u32_e32 v1, v4, v9
	v_lshrrev_b32_e32 v1, s3, v1
	v_mul_lo_u32 v9, v1, s1
	v_mul_lo_u32 v11, v10, s12
	v_mul_lo_u32 v10, v10, s13
	v_add3_u32 v0, v5, v0, v7
	v_sub_u32_e32 v4, v4, v9
	v_mul_lo_u32 v9, v4, s14
	v_mul_lo_u32 v4, v4, s15
	v_add3_u32 v2, v6, v2, v3
	v_add3_u32 v0, v11, v0, v9
	;; [unrolled: 1-line block ×3, first 2 shown]
	s_cbranch_scc1 .LBB56_6
	s_branch .LBB56_10
.LBB56_7:
                                        ; implicit-def: $vgpr0
                                        ; implicit-def: $vgpr2
	s_branch .LBB56_14
.LBB56_8:
	v_mov_b32_e32 v0, 0
	v_mov_b32_e32 v2, 0
	s_branch .LBB56_13
.LBB56_9:
	s_mov_b32 s58, 0
	v_mov_b32_e32 v0, 0
	v_mov_b32_e32 v2, 0
	;; [unrolled: 1-line block ×3, first 2 shown]
.LBB56_10:
	s_and_b32 s8, s59, 3
	s_cmp_eq_u32 s8, 0
	s_cbranch_scc1 .LBB56_13
; %bb.11:
	s_lshl_b32 s0, s58, 3
	s_add_u32 s0, s34, s0
	s_addc_u32 s1, s35, 0
	s_add_u32 s0, s0, 0xc4
	s_addc_u32 s1, s1, 0
	s_mul_i32 s2, s58, 12
	s_add_u32 s2, s34, s2
	s_addc_u32 s3, s35, 0
.LBB56_12:                              ; =>This Inner Loop Header: Depth=1
	s_load_dwordx2 s[10:11], s[2:3], 0x4
	s_load_dword s9, s[2:3], 0xc
	s_load_dwordx2 s[12:13], s[0:1], 0x0
	s_add_u32 s2, s2, 12
	s_addc_u32 s3, s3, 0
	s_waitcnt lgkmcnt(0)
	v_mul_hi_u32 v3, s11, v1
	s_add_u32 s0, s0, 8
	s_addc_u32 s1, s1, 0
	s_add_i32 s8, s8, -1
	v_add_u32_e32 v3, v1, v3
	v_lshrrev_b32_e32 v4, s9, v3
	v_mul_lo_u32 v3, v4, s10
	s_cmp_lg_u32 s8, 0
	v_sub_u32_e32 v3, v1, v3
	v_mad_u64_u32 v[0:1], s[10:11], v3, s12, v[0:1]
	v_mad_u64_u32 v[2:3], s[10:11], v3, s13, v[2:3]
	v_mov_b32_e32 v1, v4
	s_cbranch_scc1 .LBB56_12
.LBB56_13:
	s_cbranch_execnz .LBB56_16
.LBB56_14:
	s_waitcnt lgkmcnt(0)
	v_mul_hi_u32 v0, s37, v8
	s_andn2_b64 vcc, exec, s[46:47]
	v_add_u32_e32 v0, v8, v0
	v_lshrrev_b32_e32 v1, s38, v0
	v_mul_lo_u32 v0, v1, s36
	v_sub_u32_e32 v2, v8, v0
	v_mul_lo_u32 v0, v2, s28
	v_mul_lo_u32 v2, v2, s29
	s_cbranch_vccnz .LBB56_16
; %bb.15:
	v_mul_hi_u32 v3, s44, v1
	v_add_u32_e32 v3, v1, v3
	v_lshrrev_b32_e32 v3, s45, v3
	v_mul_lo_u32 v3, v3, s39
	v_sub_u32_e32 v3, v1, v3
	v_mad_u64_u32 v[0:1], s[0:1], v3, s30, v[0:1]
	v_mad_u64_u32 v[2:3], s[0:1], v3, s31, v[2:3]
.LBB56_16:
	s_waitcnt lgkmcnt(0)
	v_mov_b32_e32 v3, s27
	s_and_b32 s12, 0xffff, s74
	v_add_co_u32_e32 v1, vcc, s26, v2
	s_cmp_lt_i32 s12, 11
	v_addc_co_u32_e32 v2, vcc, 0, v3, vcc
	s_cbranch_scc1 .LBB56_23
; %bb.17:
	s_cmp_gt_i32 s12, 25
	s_cbranch_scc0 .LBB56_32
; %bb.18:
	s_cmp_gt_i32 s12, 28
	s_cbranch_scc0 .LBB56_35
	;; [unrolled: 3-line block ×4, first 2 shown]
; %bb.21:
	s_cmp_eq_u32 s12, 46
	s_mov_b64 s[8:9], 0
	s_cbranch_scc0 .LBB56_41
; %bb.22:
	global_load_dword v3, v[1:2], off
	s_mov_b64 s[0:1], -1
	s_mov_b64 s[2:3], 0
	s_waitcnt vmcnt(0)
	v_lshlrev_b32_e32 v3, 16, v3
	v_cvt_f16_f32_e32 v3, v3
	s_branch .LBB56_43
.LBB56_23:
	s_mov_b64 s[2:3], 0
                                        ; implicit-def: $vgpr3
	s_mov_b64 s[0:1], 0
	s_cbranch_execnz .LBB56_216
.LBB56_24:
	s_andn2_b64 vcc, exec, s[0:1]
	s_cbranch_vccnz .LBB56_263
.LBB56_25:
	s_waitcnt vmcnt(0)
	v_cvt_f32_f16_e32 v1, v3
	s_mov_b32 s0, -0.5
	v_mov_b32_e32 v2, 0.5
	v_fma_mix_f32 v2, |v3|, s0, v2 op_sel_hi:[1,0,0]
	v_mul_f32_e32 v4, v1, v1
	v_cmp_ge_f32_e64 vcc, |v1|, 0.5
	v_cndmask_b32_e32 v2, v4, v2, vcc
	v_mov_b32_e32 v4, 0x3c5fc5da
	v_fmac_f32_e32 v4, 0x3d1c21a7, v2
	v_mov_b32_e32 v5, 0x3d034c3c
	v_fmac_f32_e32 v5, v2, v4
	;; [unrolled: 2-line block ×4, first 2 shown]
	v_sqrt_f32_e32 v4, v2
	v_mov_b32_e32 v6, 0x3e2aaaac
	v_fmac_f32_e32 v6, v2, v5
	v_mul_f32_e32 v2, v2, v6
	v_fmac_f32_e32 v4, v4, v2
	v_add_f32_e32 v4, v4, v4
	v_sub_f32_e32 v4, 0x3fc90fdb, v4
	v_fma_mix_f32 v2, |v3|, v2, |v3| op_sel_hi:[1,0,1]
	v_cmp_lt_f32_e64 vcc, |v1|, 0.5
	v_cndmask_b32_e32 v1, v4, v2, vcc
	v_cvt_f16_f32_e32 v1, v1
	s_movk_i32 s0, 0x7fff
	s_and_b32 s14, s73, 0xff
	v_add_co_u32_e32 v0, vcc, s24, v0
	v_bfi_b32 v2, s0, v1, v3
	v_mov_b32_e32 v1, s25
	s_cmp_lt_i32 s14, 11
	v_addc_co_u32_e32 v1, vcc, 0, v1, vcc
	s_cbranch_scc1 .LBB56_33
; %bb.26:
	s_and_b32 s15, 0xffff, s14
	s_cmp_gt_i32 s15, 25
	s_cbranch_scc0 .LBB56_36
; %bb.27:
	s_cmp_gt_i32 s15, 28
	s_cbranch_scc0 .LBB56_38
; %bb.28:
	;; [unrolled: 3-line block ×4, first 2 shown]
	s_mov_b64 s[10:11], 0
	s_mov_b64 s[0:1], -1
	s_cmp_eq_u32 s15, 46
	s_mov_b64 s[8:9], 0
	s_cbranch_scc0 .LBB56_47
; %bb.31:
	v_cvt_f32_f16_e32 v3, v2
	s_movk_i32 s0, 0x7fff
	v_cmp_o_f16_e32 vcc, v2, v2
	v_mov_b32_e32 v4, 0x7fc0
	v_bfe_u32 v5, v3, 16, 1
	v_add3_u32 v3, v3, v5, s0
	v_cndmask_b32_sdwa v3, v4, v3, vcc dst_sel:DWORD dst_unused:UNUSED_PAD src0_sel:DWORD src1_sel:WORD_1
	global_store_dword v[0:1], v3, off
	s_mov_b64 s[8:9], -1
	s_mov_b64 s[0:1], 0
	s_branch .LBB56_47
.LBB56_32:
	s_mov_b64 s[2:3], 0
	s_mov_b64 s[0:1], 0
                                        ; implicit-def: $vgpr3
	s_cbranch_execnz .LBB56_181
	s_branch .LBB56_215
.LBB56_33:
	s_mov_b64 s[0:1], 0
	s_mov_b64 s[8:9], 0
	s_cbranch_execnz .LBB56_116
.LBB56_34:
	s_andn2_b64 vcc, exec, s[8:9]
	s_cbranch_vccnz .LBB56_264
	s_branch .LBB56_154
.LBB56_35:
	s_mov_b64 s[8:9], -1
	s_mov_b64 s[2:3], 0
	s_mov_b64 s[0:1], 0
                                        ; implicit-def: $vgpr3
	s_branch .LBB56_162
.LBB56_36:
	s_mov_b64 s[10:11], -1
	s_mov_b64 s[0:1], 0
	s_mov_b64 s[8:9], 0
	s_branch .LBB56_74
.LBB56_37:
	s_mov_b64 s[8:9], -1
	s_mov_b64 s[2:3], 0
	s_mov_b64 s[0:1], 0
                                        ; implicit-def: $vgpr3
	s_branch .LBB56_157
.LBB56_38:
	s_mov_b64 s[10:11], -1
	s_mov_b64 s[0:1], 0
	s_mov_b64 s[8:9], 0
	s_branch .LBB56_57
.LBB56_39:
	s_mov_b64 s[8:9], -1
	s_mov_b64 s[2:3], 0
	s_branch .LBB56_42
.LBB56_40:
	s_mov_b64 s[10:11], -1
	s_mov_b64 s[0:1], 0
	s_mov_b64 s[8:9], 0
	s_branch .LBB56_53
.LBB56_41:
	s_mov_b64 s[2:3], -1
.LBB56_42:
	s_mov_b64 s[0:1], 0
                                        ; implicit-def: $vgpr3
.LBB56_43:
	s_and_b64 vcc, exec, s[8:9]
	s_cbranch_vccz .LBB56_156
; %bb.44:
	s_cmp_eq_u32 s12, 44
	s_cbranch_scc0 .LBB56_155
; %bb.45:
	global_load_ubyte v3, v[1:2], off
	s_movk_i32 s2, 0xff
	v_mov_b32_e32 v5, 0x7e00
	s_mov_b64 s[0:1], -1
	s_waitcnt vmcnt(0)
	v_lshlrev_b32_e32 v4, 23, v3
	v_cvt_f16_f32_e32 v4, v4
	v_cmp_ne_u32_e32 vcc, s2, v3
	s_mov_b64 s[2:3], 0
	v_cndmask_b32_e32 v4, v5, v4, vcc
	v_cmp_ne_u32_e32 vcc, 0, v3
	v_cndmask_b32_e32 v3, 0, v4, vcc
	s_branch .LBB56_156
.LBB56_46:
	s_mov_b64 s[10:11], -1
	s_mov_b64 s[0:1], 0
	s_mov_b64 s[8:9], 0
.LBB56_47:
	s_and_b64 vcc, exec, s[10:11]
	s_cbranch_vccz .LBB56_52
; %bb.48:
	s_cmp_eq_u32 s15, 44
	s_mov_b64 s[0:1], -1
	s_cbranch_scc0 .LBB56_52
; %bb.49:
	v_cvt_f32_f16_e32 v3, v2
	s_movk_i32 s0, 0xff
	v_mov_b32_e32 v5, 0xff
	v_bfe_u32 v4, v3, 23, 8
	v_cmp_ne_u32_e32 vcc, s0, v4
	s_and_saveexec_b64 s[8:9], vcc
; %bb.50:
	s_mov_b32 s0, 0x3fffff
	v_lshrrev_b32_e32 v5, 23, v3
	v_and_b32_e32 v6, 0x400000, v3
	v_and_or_b32 v3, v3, s0, v4
	v_cmp_ne_u32_e32 vcc, 0, v6
	v_cmp_ne_u32_e64 s[0:1], 0, v3
	s_and_b64 s[0:1], vcc, s[0:1]
	v_cndmask_b32_e64 v3, 0, 1, s[0:1]
	v_add_u32_e32 v5, v5, v3
; %bb.51:
	s_or_b64 exec, exec, s[8:9]
	s_mov_b64 s[8:9], -1
	s_mov_b64 s[0:1], 0
	global_store_byte v[0:1], v5, off
.LBB56_52:
	s_mov_b64 s[10:11], 0
.LBB56_53:
	s_and_b64 vcc, exec, s[10:11]
	s_cbranch_vccz .LBB56_56
; %bb.54:
	s_cmp_eq_u32 s15, 29
	s_mov_b64 s[0:1], -1
	s_cbranch_scc0 .LBB56_56
; %bb.55:
	v_cvt_f32_f16_e32 v3, v2
	v_mov_b32_e32 v4, 0
	s_mov_b64 s[8:9], -1
	s_mov_b64 s[0:1], 0
	v_cvt_u32_f32_e32 v3, v3
	s_mov_b64 s[10:11], 0
	global_store_dwordx2 v[0:1], v[3:4], off
	s_branch .LBB56_57
.LBB56_56:
	s_mov_b64 s[10:11], 0
.LBB56_57:
	s_and_b64 vcc, exec, s[10:11]
	s_cbranch_vccz .LBB56_73
; %bb.58:
	s_cmp_lt_i32 s15, 27
	s_mov_b64 s[8:9], -1
	s_cbranch_scc1 .LBB56_64
; %bb.59:
	s_cmp_gt_i32 s15, 27
	s_cbranch_scc0 .LBB56_61
; %bb.60:
	v_cvt_f32_f16_e32 v3, v2
	s_mov_b64 s[8:9], 0
	v_cvt_u32_f32_e32 v3, v3
	global_store_dword v[0:1], v3, off
.LBB56_61:
	s_andn2_b64 vcc, exec, s[8:9]
	s_cbranch_vccnz .LBB56_63
; %bb.62:
	v_cvt_u16_f16_e32 v3, v2
	global_store_short v[0:1], v3, off
.LBB56_63:
	s_mov_b64 s[8:9], 0
.LBB56_64:
	s_andn2_b64 vcc, exec, s[8:9]
	s_cbranch_vccnz .LBB56_72
; %bb.65:
	v_cvt_f32_f16_e32 v3, v2
	s_mov_b32 s8, 0x43800000
	v_mov_b32_e32 v5, 0x80
	v_and_b32_e32 v4, 0x7fffffff, v3
	v_cmp_gt_u32_e32 vcc, s8, v4
	s_and_saveexec_b64 s[8:9], vcc
	s_cbranch_execz .LBB56_71
; %bb.66:
	s_mov_b32 s10, 0x3bffffff
	v_cmp_lt_u32_e32 vcc, s10, v4
	s_mov_b64 s[10:11], 0
                                        ; implicit-def: $vgpr4
	s_and_saveexec_b64 s[12:13], vcc
	s_xor_b64 s[12:13], exec, s[12:13]
	s_cbranch_execz .LBB56_307
; %bb.67:
	v_bfe_u32 v4, v3, 20, 1
	s_mov_b32 s16, 0x487ffff
	v_add3_u32 v4, v3, v4, s16
	s_mov_b64 s[10:11], exec
	v_lshrrev_b32_e32 v4, 20, v4
	s_andn2_saveexec_b64 s[12:13], s[12:13]
	s_cbranch_execnz .LBB56_308
.LBB56_68:
	s_or_b64 exec, exec, s[12:13]
	v_mov_b32_e32 v5, 0
	s_and_saveexec_b64 s[12:13], s[10:11]
.LBB56_69:
	v_lshrrev_b32_e32 v3, 24, v3
	s_movk_i32 s10, 0x80
	v_and_or_b32 v5, v3, s10, v4
.LBB56_70:
	s_or_b64 exec, exec, s[12:13]
.LBB56_71:
	s_or_b64 exec, exec, s[8:9]
	global_store_byte v[0:1], v5, off
.LBB56_72:
	s_mov_b64 s[8:9], -1
.LBB56_73:
	s_mov_b64 s[10:11], 0
.LBB56_74:
	s_and_b64 vcc, exec, s[10:11]
	s_cbranch_vccz .LBB56_115
; %bb.75:
	s_cmp_gt_i32 s15, 22
	s_mov_b64 s[10:11], -1
	s_cbranch_scc0 .LBB56_107
; %bb.76:
	s_cmp_lt_i32 s15, 24
	s_mov_b64 s[8:9], -1
	s_cbranch_scc1 .LBB56_96
; %bb.77:
	s_cmp_gt_i32 s15, 24
	s_cbranch_scc0 .LBB56_85
; %bb.78:
	v_cvt_f32_f16_e32 v3, v2
	s_mov_b32 s8, 0x47800000
	v_mov_b32_e32 v5, 0x80
	v_and_b32_e32 v4, 0x7fffffff, v3
	v_cmp_gt_u32_e32 vcc, s8, v4
	s_and_saveexec_b64 s[8:9], vcc
	s_cbranch_execz .LBB56_84
; %bb.79:
	s_mov_b32 s10, 0x37ffffff
	v_cmp_lt_u32_e32 vcc, s10, v4
	s_mov_b64 s[10:11], 0
                                        ; implicit-def: $vgpr4
	s_and_saveexec_b64 s[12:13], vcc
	s_xor_b64 s[12:13], exec, s[12:13]
	s_cbranch_execz .LBB56_311
; %bb.80:
	v_bfe_u32 v4, v3, 21, 1
	s_mov_b32 s16, 0x88fffff
	v_add3_u32 v4, v3, v4, s16
	s_mov_b64 s[10:11], exec
	v_lshrrev_b32_e32 v4, 21, v4
	s_andn2_saveexec_b64 s[12:13], s[12:13]
	s_cbranch_execnz .LBB56_312
.LBB56_81:
	s_or_b64 exec, exec, s[12:13]
	v_mov_b32_e32 v5, 0
	s_and_saveexec_b64 s[12:13], s[10:11]
.LBB56_82:
	v_lshrrev_b32_e32 v3, 24, v3
	s_movk_i32 s10, 0x80
	v_and_or_b32 v5, v3, s10, v4
.LBB56_83:
	s_or_b64 exec, exec, s[12:13]
.LBB56_84:
	s_or_b64 exec, exec, s[8:9]
	s_mov_b64 s[8:9], 0
	global_store_byte v[0:1], v5, off
.LBB56_85:
	s_and_b64 vcc, exec, s[8:9]
	s_cbranch_vccz .LBB56_95
; %bb.86:
	v_cvt_f32_f16_e32 v3, v2
	s_mov_b32 s8, 0x43f00000
                                        ; implicit-def: $vgpr4
	v_and_b32_e32 v5, 0x7fffffff, v3
	v_cmp_gt_u32_e32 vcc, s8, v5
	s_and_saveexec_b64 s[8:9], vcc
	s_xor_b64 s[8:9], exec, s[8:9]
	s_cbranch_execz .LBB56_92
; %bb.87:
	s_mov_b32 s10, 0x3c7fffff
	v_cmp_lt_u32_e32 vcc, s10, v5
                                        ; implicit-def: $vgpr4
	s_and_saveexec_b64 s[10:11], vcc
	s_xor_b64 s[10:11], exec, s[10:11]
; %bb.88:
	v_bfe_u32 v4, v3, 20, 1
	s_mov_b32 s12, 0x407ffff
	v_add3_u32 v4, v3, v4, s12
	v_lshrrev_b32_e32 v5, 20, v4
	v_and_b32_e32 v4, 0xff00000, v4
	s_mov_b32 s12, 0x7f00000
	v_mov_b32_e32 v6, 0x7e
	v_cmp_ne_u32_e32 vcc, s12, v4
	v_cndmask_b32_e32 v4, v6, v5, vcc
; %bb.89:
	s_andn2_saveexec_b64 s[10:11], s[10:11]
; %bb.90:
	s_mov_b32 s12, 0x46800000
	v_add_f32_e64 v4, |v3|, s12
; %bb.91:
	s_or_b64 exec, exec, s[10:11]
                                        ; implicit-def: $vgpr5
.LBB56_92:
	s_andn2_saveexec_b64 s[8:9], s[8:9]
; %bb.93:
	s_mov_b32 s10, 0x7f800000
	v_mov_b32_e32 v4, 0x7e
	v_mov_b32_e32 v6, 0x7f
	v_cmp_lt_u32_e32 vcc, s10, v5
	v_cndmask_b32_e32 v4, v4, v6, vcc
; %bb.94:
	s_or_b64 exec, exec, s[8:9]
	v_lshrrev_b32_e32 v3, 24, v3
	s_movk_i32 s8, 0x80
	v_and_or_b32 v3, v3, s8, v4
	global_store_byte v[0:1], v3, off
.LBB56_95:
	s_mov_b64 s[8:9], 0
.LBB56_96:
	s_andn2_b64 vcc, exec, s[8:9]
	s_cbranch_vccnz .LBB56_106
; %bb.97:
	v_cvt_f32_f16_e32 v3, v2
	s_mov_b32 s8, 0x47800000
                                        ; implicit-def: $vgpr4
	v_and_b32_e32 v5, 0x7fffffff, v3
	v_cmp_gt_u32_e32 vcc, s8, v5
	s_and_saveexec_b64 s[8:9], vcc
	s_xor_b64 s[8:9], exec, s[8:9]
	s_cbranch_execz .LBB56_103
; %bb.98:
	s_mov_b32 s10, 0x387fffff
	v_cmp_lt_u32_e32 vcc, s10, v5
                                        ; implicit-def: $vgpr4
	s_and_saveexec_b64 s[10:11], vcc
	s_xor_b64 s[10:11], exec, s[10:11]
; %bb.99:
	v_bfe_u32 v4, v3, 21, 1
	s_mov_b32 s12, 0x80fffff
	v_add3_u32 v4, v3, v4, s12
	v_lshrrev_b32_e32 v4, 21, v4
; %bb.100:
	s_andn2_saveexec_b64 s[10:11], s[10:11]
; %bb.101:
	s_mov_b32 s12, 0x43000000
	v_add_f32_e64 v4, |v3|, s12
; %bb.102:
	s_or_b64 exec, exec, s[10:11]
                                        ; implicit-def: $vgpr5
.LBB56_103:
	s_andn2_saveexec_b64 s[8:9], s[8:9]
; %bb.104:
	s_mov_b32 s10, 0x7f800000
	v_mov_b32_e32 v4, 0x7c
	v_mov_b32_e32 v6, 0x7f
	v_cmp_lt_u32_e32 vcc, s10, v5
	v_cndmask_b32_e32 v4, v4, v6, vcc
; %bb.105:
	s_or_b64 exec, exec, s[8:9]
	v_lshrrev_b32_e32 v3, 24, v3
	s_movk_i32 s8, 0x80
	v_and_or_b32 v3, v3, s8, v4
	global_store_byte v[0:1], v3, off
.LBB56_106:
	s_mov_b64 s[10:11], 0
	s_mov_b64 s[8:9], -1
.LBB56_107:
	s_andn2_b64 vcc, exec, s[10:11]
	s_cbranch_vccnz .LBB56_115
; %bb.108:
	s_cmp_gt_i32 s15, 14
	s_mov_b64 s[10:11], -1
	s_cbranch_scc0 .LBB56_112
; %bb.109:
	s_cmp_eq_u32 s15, 15
	s_mov_b64 s[0:1], -1
	s_cbranch_scc0 .LBB56_111
; %bb.110:
	v_cvt_f32_f16_e32 v3, v2
	s_movk_i32 s0, 0x7fff
	v_cmp_o_f16_e32 vcc, v2, v2
	v_mov_b32_e32 v4, 0x7fc0
	v_bfe_u32 v5, v3, 16, 1
	v_add3_u32 v3, v3, v5, s0
	v_cndmask_b32_sdwa v3, v4, v3, vcc dst_sel:DWORD dst_unused:UNUSED_PAD src0_sel:DWORD src1_sel:WORD_1
	global_store_short v[0:1], v3, off
	s_mov_b64 s[8:9], -1
	s_mov_b64 s[0:1], 0
.LBB56_111:
	s_mov_b64 s[10:11], 0
.LBB56_112:
	s_and_b64 vcc, exec, s[10:11]
	s_cbranch_vccz .LBB56_115
; %bb.113:
	s_cmp_eq_u32 s15, 11
	s_mov_b64 s[0:1], -1
	s_cbranch_scc0 .LBB56_115
; %bb.114:
	v_cmp_neq_f16_e32 vcc, 0, v2
	v_cndmask_b32_e64 v3, 0, 1, vcc
	s_mov_b64 s[8:9], -1
	s_mov_b64 s[0:1], 0
	global_store_byte v[0:1], v3, off
.LBB56_115:
	s_branch .LBB56_34
.LBB56_116:
	s_and_b32 s10, 0xffff, s14
	s_cmp_lt_i32 s10, 5
	s_mov_b64 s[8:9], -1
	s_cbranch_scc1 .LBB56_137
; %bb.117:
	s_cmp_lt_i32 s10, 8
	s_cbranch_scc1 .LBB56_127
; %bb.118:
	s_cmp_lt_i32 s10, 9
	s_cbranch_scc1 .LBB56_124
; %bb.119:
	s_cmp_gt_i32 s10, 9
	s_cbranch_scc0 .LBB56_121
; %bb.120:
	v_cvt_f32_f16_e32 v3, v2
	v_mov_b32_e32 v5, 0
	v_mov_b32_e32 v6, v5
	s_mov_b64 s[8:9], 0
	v_cvt_f64_f32_e32 v[3:4], v3
	global_store_dwordx4 v[0:1], v[3:6], off
.LBB56_121:
	s_andn2_b64 vcc, exec, s[8:9]
	s_cbranch_vccnz .LBB56_123
; %bb.122:
	v_cvt_f32_f16_e32 v3, v2
	v_mov_b32_e32 v4, 0
	global_store_dwordx2 v[0:1], v[3:4], off
.LBB56_123:
	s_mov_b64 s[8:9], 0
.LBB56_124:
	s_andn2_b64 vcc, exec, s[8:9]
	s_cbranch_vccnz .LBB56_126
; %bb.125:
	v_and_b32_e32 v3, 0xffff, v2
	global_store_dword v[0:1], v3, off
.LBB56_126:
	s_mov_b64 s[8:9], 0
.LBB56_127:
	s_andn2_b64 vcc, exec, s[8:9]
	s_cbranch_vccnz .LBB56_136
; %bb.128:
	s_cmp_lt_i32 s10, 6
	s_mov_b64 s[8:9], -1
	s_cbranch_scc1 .LBB56_134
; %bb.129:
	s_cmp_gt_i32 s10, 6
	s_cbranch_scc0 .LBB56_131
; %bb.130:
	v_cvt_f32_f16_e32 v3, v2
	s_mov_b64 s[8:9], 0
	v_cvt_f64_f32_e32 v[3:4], v3
	global_store_dwordx2 v[0:1], v[3:4], off
.LBB56_131:
	s_andn2_b64 vcc, exec, s[8:9]
	s_cbranch_vccnz .LBB56_133
; %bb.132:
	v_cvt_f32_f16_e32 v3, v2
	global_store_dword v[0:1], v3, off
.LBB56_133:
	s_mov_b64 s[8:9], 0
.LBB56_134:
	s_andn2_b64 vcc, exec, s[8:9]
	s_cbranch_vccnz .LBB56_136
; %bb.135:
	global_store_short v[0:1], v2, off
.LBB56_136:
	s_mov_b64 s[8:9], 0
.LBB56_137:
	s_andn2_b64 vcc, exec, s[8:9]
	s_cbranch_vccnz .LBB56_153
; %bb.138:
	s_cmp_lt_i32 s10, 2
	s_mov_b64 s[8:9], -1
	s_cbranch_scc1 .LBB56_148
; %bb.139:
	s_cmp_lt_i32 s10, 3
	s_cbranch_scc1 .LBB56_145
; %bb.140:
	s_cmp_gt_i32 s10, 3
	s_cbranch_scc0 .LBB56_142
; %bb.141:
	v_cvt_f32_f16_e32 v3, v2
	s_mov_b64 s[8:9], 0
	v_cvt_i32_f32_e32 v3, v3
	v_ashrrev_i32_e32 v4, 31, v3
	global_store_dwordx2 v[0:1], v[3:4], off
.LBB56_142:
	s_andn2_b64 vcc, exec, s[8:9]
	s_cbranch_vccnz .LBB56_144
; %bb.143:
	v_cvt_f32_f16_e32 v3, v2
	v_cvt_i32_f32_e32 v3, v3
	global_store_dword v[0:1], v3, off
.LBB56_144:
	s_mov_b64 s[8:9], 0
.LBB56_145:
	s_andn2_b64 vcc, exec, s[8:9]
	s_cbranch_vccnz .LBB56_147
; %bb.146:
	v_cvt_i16_f16_e32 v3, v2
	global_store_short v[0:1], v3, off
.LBB56_147:
	s_mov_b64 s[8:9], 0
.LBB56_148:
	s_andn2_b64 vcc, exec, s[8:9]
	s_cbranch_vccnz .LBB56_153
; %bb.149:
	s_cmp_gt_i32 s10, 0
	s_mov_b64 s[8:9], -1
	s_cbranch_scc0 .LBB56_151
; %bb.150:
	v_cvt_i16_f16_e32 v3, v2
	global_store_byte v[0:1], v3, off
	s_mov_b64 s[8:9], 0
.LBB56_151:
	s_andn2_b64 vcc, exec, s[8:9]
	s_cbranch_vccnz .LBB56_153
; %bb.152:
	v_cvt_f32_f16_e32 v2, v2
	v_cvt_i32_f32_e32 v2, v2
	global_store_byte v[0:1], v2, off
.LBB56_153:
.LBB56_154:
	v_add_u32_e32 v8, 0x80, v8
	s_mov_b64 s[8:9], -1
	s_branch .LBB56_265
.LBB56_155:
	s_mov_b64 s[2:3], -1
                                        ; implicit-def: $vgpr3
.LBB56_156:
	s_mov_b64 s[8:9], 0
.LBB56_157:
	s_and_b64 vcc, exec, s[8:9]
	s_cbranch_vccz .LBB56_161
; %bb.158:
	s_cmp_eq_u32 s12, 29
	s_cbranch_scc0 .LBB56_160
; %bb.159:
	global_load_dwordx2 v[3:4], v[1:2], off
	s_mov_b64 s[0:1], -1
	s_mov_b64 s[2:3], 0
	s_mov_b64 s[8:9], 0
	s_waitcnt vmcnt(0)
	v_ffbh_u32_e32 v5, v4
	v_min_u32_e32 v5, 32, v5
	v_lshlrev_b64 v[3:4], v5, v[3:4]
	v_min_u32_e32 v3, 1, v3
	v_or_b32_e32 v3, v4, v3
	v_cvt_f32_u32_e32 v3, v3
	v_sub_u32_e32 v4, 32, v5
	v_ldexp_f32 v3, v3, v4
	v_cvt_f16_f32_e32 v3, v3
	s_branch .LBB56_162
.LBB56_160:
	s_mov_b64 s[2:3], -1
                                        ; implicit-def: $vgpr3
.LBB56_161:
	s_mov_b64 s[8:9], 0
.LBB56_162:
	s_and_b64 vcc, exec, s[8:9]
	s_cbranch_vccz .LBB56_180
; %bb.163:
	s_cmp_lt_i32 s12, 27
	s_cbranch_scc1 .LBB56_166
; %bb.164:
	s_cmp_gt_i32 s12, 27
	s_cbranch_scc0 .LBB56_167
; %bb.165:
	global_load_dword v3, v[1:2], off
	s_mov_b64 s[0:1], 0
	s_waitcnt vmcnt(0)
	v_cvt_f32_u32_e32 v3, v3
	v_cvt_f16_f32_e32 v3, v3
	s_branch .LBB56_168
.LBB56_166:
	s_mov_b64 s[0:1], -1
                                        ; implicit-def: $vgpr3
	s_branch .LBB56_171
.LBB56_167:
	s_mov_b64 s[0:1], -1
                                        ; implicit-def: $vgpr3
.LBB56_168:
	s_andn2_b64 vcc, exec, s[0:1]
	s_cbranch_vccnz .LBB56_170
; %bb.169:
	global_load_ushort v3, v[1:2], off
	s_waitcnt vmcnt(0)
	v_cvt_f16_u16_e32 v3, v3
.LBB56_170:
	s_mov_b64 s[0:1], 0
.LBB56_171:
	s_andn2_b64 vcc, exec, s[0:1]
	s_cbranch_vccnz .LBB56_179
; %bb.172:
	global_load_ubyte v4, v[1:2], off
	s_movk_i32 s0, 0x7f
	s_waitcnt vmcnt(0)
	v_cmp_lt_i16_e32 vcc, s0, v4
	s_mov_b64 s[0:1], 0
	s_and_saveexec_b64 s[8:9], vcc
	s_xor_b64 s[8:9], exec, s[8:9]
	s_cbranch_execz .LBB56_192
; %bb.173:
	s_movk_i32 s0, 0x80
	v_cmp_eq_u16_e32 vcc, s0, v4
	s_mov_b64 s[0:1], -1
	s_and_saveexec_b64 s[10:11], vcc
; %bb.174:
	s_xor_b64 s[0:1], exec, -1
; %bb.175:
	s_or_b64 exec, exec, s[10:11]
	s_and_b64 s[0:1], s[0:1], exec
	s_or_saveexec_b64 s[8:9], s[8:9]
	v_mov_b32_e32 v3, 0x7e00
	s_xor_b64 exec, exec, s[8:9]
	s_cbranch_execnz .LBB56_193
.LBB56_176:
	s_or_b64 exec, exec, s[8:9]
	s_and_saveexec_b64 s[8:9], s[0:1]
	s_cbranch_execz .LBB56_178
.LBB56_177:
	v_lshlrev_b32_e32 v3, 24, v4
	v_and_b32_e32 v4, 0xffff, v4
	v_and_b32_e32 v5, 7, v4
	v_ffbh_u32_e32 v7, v5
	v_min_u32_e32 v7, 32, v7
	v_subrev_u32_e32 v9, 28, v7
	v_bfe_u32 v6, v4, 3, 4
	v_lshlrev_b32_e32 v4, v9, v4
	v_sub_u32_e32 v7, 29, v7
	v_and_b32_e32 v4, 7, v4
	v_cmp_eq_u32_e32 vcc, 0, v6
	v_cndmask_b32_e32 v6, v6, v7, vcc
	v_cndmask_b32_e32 v4, v5, v4, vcc
	v_mov_b32_e32 v5, 0x3b800000
	v_lshlrev_b32_e32 v4, 20, v4
	v_and_b32_e32 v3, 0x80000000, v3
	v_lshl_add_u32 v5, v6, 23, v5
	v_or3_b32 v3, v3, v5, v4
	v_cvt_f16_f32_e32 v3, v3
.LBB56_178:
	s_or_b64 exec, exec, s[8:9]
.LBB56_179:
	s_mov_b64 s[0:1], -1
.LBB56_180:
	s_branch .LBB56_215
.LBB56_181:
	s_cmp_gt_i32 s12, 22
	s_cbranch_scc0 .LBB56_191
; %bb.182:
	s_cmp_lt_i32 s12, 24
	s_cbranch_scc1 .LBB56_194
; %bb.183:
	s_cmp_gt_i32 s12, 24
	s_cbranch_scc0 .LBB56_195
; %bb.184:
	global_load_ubyte v4, v[1:2], off
	s_movk_i32 s0, 0x7f
	s_waitcnt vmcnt(0)
	v_cmp_lt_i16_e32 vcc, s0, v4
	s_mov_b64 s[0:1], 0
	s_and_saveexec_b64 s[8:9], vcc
	s_xor_b64 s[8:9], exec, s[8:9]
	s_cbranch_execz .LBB56_207
; %bb.185:
	s_movk_i32 s0, 0x80
	v_cmp_eq_u16_e32 vcc, s0, v4
	s_mov_b64 s[0:1], -1
	s_and_saveexec_b64 s[10:11], vcc
; %bb.186:
	s_xor_b64 s[0:1], exec, -1
; %bb.187:
	s_or_b64 exec, exec, s[10:11]
	s_and_b64 s[0:1], s[0:1], exec
	s_or_saveexec_b64 s[8:9], s[8:9]
	v_mov_b32_e32 v3, 0x7e00
	s_xor_b64 exec, exec, s[8:9]
	s_cbranch_execnz .LBB56_208
.LBB56_188:
	s_or_b64 exec, exec, s[8:9]
	s_and_saveexec_b64 s[8:9], s[0:1]
	s_cbranch_execz .LBB56_190
.LBB56_189:
	v_lshlrev_b32_e32 v3, 24, v4
	v_and_b32_e32 v4, 0xffff, v4
	v_and_b32_e32 v5, 3, v4
	v_ffbh_u32_e32 v7, v5
	v_min_u32_e32 v7, 32, v7
	v_subrev_u32_e32 v9, 29, v7
	v_bfe_u32 v6, v4, 2, 5
	v_lshlrev_b32_e32 v4, v9, v4
	v_sub_u32_e32 v7, 30, v7
	v_and_b32_e32 v4, 3, v4
	v_cmp_eq_u32_e32 vcc, 0, v6
	v_cndmask_b32_e32 v6, v6, v7, vcc
	v_cndmask_b32_e32 v4, v5, v4, vcc
	v_mov_b32_e32 v5, 0x37800000
	v_lshlrev_b32_e32 v4, 21, v4
	v_and_b32_e32 v3, 0x80000000, v3
	v_lshl_add_u32 v5, v6, 23, v5
	v_or3_b32 v3, v3, v5, v4
	v_cvt_f16_f32_e32 v3, v3
.LBB56_190:
	s_or_b64 exec, exec, s[8:9]
	s_mov_b64 s[0:1], 0
	s_branch .LBB56_196
.LBB56_191:
	s_mov_b64 s[8:9], -1
                                        ; implicit-def: $vgpr3
	s_branch .LBB56_202
.LBB56_192:
	s_or_saveexec_b64 s[8:9], s[8:9]
	v_mov_b32_e32 v3, 0x7e00
	s_xor_b64 exec, exec, s[8:9]
	s_cbranch_execz .LBB56_176
.LBB56_193:
	v_cmp_ne_u16_e32 vcc, 0, v4
	s_andn2_b64 s[0:1], s[0:1], exec
	s_and_b64 s[10:11], vcc, exec
	s_or_b64 s[0:1], s[0:1], s[10:11]
	v_mov_b32_e32 v3, v4
	s_or_b64 exec, exec, s[8:9]
	s_and_saveexec_b64 s[8:9], s[0:1]
	s_cbranch_execnz .LBB56_177
	s_branch .LBB56_178
.LBB56_194:
	s_mov_b64 s[0:1], -1
                                        ; implicit-def: $vgpr3
	s_branch .LBB56_199
.LBB56_195:
	s_mov_b64 s[0:1], -1
                                        ; implicit-def: $vgpr3
.LBB56_196:
	s_and_b64 vcc, exec, s[0:1]
	s_cbranch_vccz .LBB56_198
; %bb.197:
	global_load_ubyte v3, v[1:2], off
	s_mov_b32 s0, 0x7f800000
	s_waitcnt vmcnt(0)
	v_lshlrev_b32_e32 v3, 24, v3
	v_and_b32_e32 v4, 0x7f000000, v3
	v_ffbh_u32_e32 v5, v4
	v_min_u32_e32 v5, 32, v5
	v_sub_u32_e64 v5, v5, 4 clamp
	v_lshlrev_b32_e32 v7, v5, v4
	v_lshlrev_b32_e32 v5, 23, v5
	v_lshrrev_b32_e32 v7, 4, v7
	v_add_u32_e32 v6, 0x1000000, v4
	v_sub_u32_e32 v5, v7, v5
	v_ashrrev_i32_e32 v6, 8, v6
	v_add_u32_e32 v5, 0x3c000000, v5
	v_and_or_b32 v5, v6, s0, v5
	v_cmp_ne_u32_e32 vcc, 0, v4
	v_cndmask_b32_e32 v4, 0, v5, vcc
	s_brev_b32 s0, 1
	v_and_or_b32 v3, v3, s0, v4
	v_cvt_f16_f32_e32 v3, v3
.LBB56_198:
	s_mov_b64 s[0:1], 0
.LBB56_199:
	s_andn2_b64 vcc, exec, s[0:1]
	s_cbranch_vccnz .LBB56_201
; %bb.200:
	global_load_ubyte v3, v[1:2], off
	s_movk_i32 s0, 0x7f00
	s_brev_b32 s1, 16
	s_waitcnt vmcnt(0)
	v_lshlrev_b16_e32 v4, 8, v3
	v_lshlrev_b32_e32 v3, 25, v3
	v_lshrrev_b32_e32 v5, 4, v3
	v_and_or_b32 v6, v4, s0, 0.5
	v_or_b32_e32 v5, 0x70000000, v5
	v_add_f32_e32 v6, -0.5, v6
	v_mul_f32_e32 v5, 0x7800000, v5
	v_cmp_gt_u32_e32 vcc, s1, v3
	v_bfe_i32 v4, v4, 0, 16
	v_cndmask_b32_e32 v3, v5, v6, vcc
	s_brev_b32 s0, 1
	v_and_or_b32 v3, v4, s0, v3
	v_cvt_f16_f32_e32 v3, v3
.LBB56_201:
	s_mov_b64 s[8:9], 0
	s_mov_b64 s[0:1], -1
.LBB56_202:
	s_andn2_b64 vcc, exec, s[8:9]
	s_cbranch_vccnz .LBB56_215
; %bb.203:
	s_cmp_gt_i32 s12, 14
	s_cbranch_scc0 .LBB56_206
; %bb.204:
	s_cmp_eq_u32 s12, 15
	s_cbranch_scc0 .LBB56_209
; %bb.205:
	global_load_ushort v3, v[1:2], off
	s_mov_b64 s[0:1], -1
	s_mov_b64 s[2:3], 0
	s_waitcnt vmcnt(0)
	v_lshlrev_b32_e32 v3, 16, v3
	v_cvt_f16_f32_e32 v3, v3
	s_branch .LBB56_210
.LBB56_206:
	s_mov_b64 s[8:9], -1
                                        ; implicit-def: $vgpr3
	s_branch .LBB56_211
.LBB56_207:
	s_or_saveexec_b64 s[8:9], s[8:9]
	v_mov_b32_e32 v3, 0x7e00
	s_xor_b64 exec, exec, s[8:9]
	s_cbranch_execz .LBB56_188
.LBB56_208:
	v_cmp_ne_u16_e32 vcc, 0, v4
	s_andn2_b64 s[0:1], s[0:1], exec
	s_and_b64 s[10:11], vcc, exec
	s_or_b64 s[0:1], s[0:1], s[10:11]
	v_mov_b32_e32 v3, v4
	s_or_b64 exec, exec, s[8:9]
	s_and_saveexec_b64 s[8:9], s[0:1]
	s_cbranch_execnz .LBB56_189
	s_branch .LBB56_190
.LBB56_209:
	s_mov_b64 s[2:3], -1
                                        ; implicit-def: $vgpr3
.LBB56_210:
	s_mov_b64 s[8:9], 0
.LBB56_211:
	s_and_b64 vcc, exec, s[8:9]
	s_cbranch_vccz .LBB56_215
; %bb.212:
	s_cmp_eq_u32 s12, 11
	s_cbranch_scc0 .LBB56_214
; %bb.213:
	global_load_ubyte v3, v[1:2], off
	v_mov_b32_e32 v4, 0x3c00
	s_mov_b64 s[0:1], -1
	s_mov_b64 s[2:3], 0
	s_waitcnt vmcnt(0)
	v_cmp_ne_u16_e32 vcc, 0, v3
	v_cndmask_b32_e32 v3, 0, v4, vcc
	s_branch .LBB56_215
.LBB56_214:
	s_mov_b64 s[2:3], -1
                                        ; implicit-def: $vgpr3
.LBB56_215:
	s_branch .LBB56_24
.LBB56_216:
	s_cmp_lt_i32 s12, 5
	s_cbranch_scc1 .LBB56_221
; %bb.217:
	s_cmp_lt_i32 s12, 8
	s_cbranch_scc1 .LBB56_222
; %bb.218:
	;; [unrolled: 3-line block ×3, first 2 shown]
	s_cmp_gt_i32 s12, 9
	s_cbranch_scc0 .LBB56_224
; %bb.220:
	global_load_dwordx2 v[3:4], v[1:2], off
	s_movk_i32 s0, 0x1ff
	s_movk_i32 s1, 0xffe
	v_mov_b32_e32 v5, 0x7c00
	v_mov_b32_e32 v6, 0x7e00
	s_movk_i32 s8, 0x40f
	s_mov_b32 s9, 0x8000
	s_waitcnt vmcnt(0)
	v_and_or_b32 v3, v4, s0, v3
	v_cmp_ne_u32_e32 vcc, 0, v3
	v_lshrrev_b32_e32 v7, 8, v4
	v_bfe_u32 v9, v4, 20, 11
	v_cndmask_b32_e64 v3, 0, 1, vcc
	v_sub_u32_e32 v10, 0x3f1, v9
	v_and_or_b32 v3, v7, s1, v3
	v_add_u32_e32 v9, 0xfffffc10, v9
	v_med3_i32 v7, v10, 0, 13
	v_or_b32_e32 v10, 0x1000, v3
	v_cmp_ne_u32_e32 vcc, 0, v3
	v_lshl_or_b32 v11, v9, 12, v3
	v_cndmask_b32_e32 v3, v5, v6, vcc
	v_lshrrev_b32_e32 v6, v7, v10
	v_lshlrev_b32_e32 v7, v7, v6
	v_cmp_ne_u32_e32 vcc, v7, v10
	v_cndmask_b32_e64 v7, 0, 1, vcc
	v_or_b32_e32 v6, v6, v7
	v_cmp_gt_i32_e32 vcc, 1, v9
	v_cndmask_b32_e32 v6, v11, v6, vcc
	v_and_b32_e32 v7, 7, v6
	v_cmp_lt_i32_e32 vcc, 5, v7
	v_cndmask_b32_e64 v10, 0, 1, vcc
	v_cmp_eq_u32_e32 vcc, 3, v7
	v_cndmask_b32_e64 v7, 0, 1, vcc
	v_lshrrev_b32_e32 v6, 2, v6
	v_or_b32_e32 v7, v7, v10
	v_add_u32_e32 v6, v6, v7
	v_cmp_gt_i32_e32 vcc, 31, v9
	v_cndmask_b32_e32 v5, v5, v6, vcc
	v_cmp_eq_u32_e32 vcc, s8, v9
	v_lshrrev_b32_e32 v4, 16, v4
	v_cndmask_b32_e32 v3, v5, v3, vcc
	v_and_or_b32 v3, v4, s9, v3
	s_mov_b64 s[0:1], 0
	s_branch .LBB56_225
.LBB56_221:
                                        ; implicit-def: $vgpr3
	s_branch .LBB56_243
.LBB56_222:
	s_mov_b64 s[0:1], -1
                                        ; implicit-def: $vgpr3
	s_branch .LBB56_231
.LBB56_223:
	s_mov_b64 s[0:1], -1
                                        ; implicit-def: $vgpr3
	s_branch .LBB56_228
.LBB56_224:
	s_mov_b64 s[0:1], -1
                                        ; implicit-def: $vgpr3
.LBB56_225:
	s_andn2_b64 vcc, exec, s[0:1]
	s_cbranch_vccnz .LBB56_227
; %bb.226:
	global_load_dword v3, v[1:2], off
	s_waitcnt vmcnt(0)
	v_cvt_f16_f32_e32 v3, v3
.LBB56_227:
	s_mov_b64 s[0:1], 0
.LBB56_228:
	s_andn2_b64 vcc, exec, s[0:1]
	s_cbranch_vccnz .LBB56_230
; %bb.229:
	global_load_dword v3, v[1:2], off
.LBB56_230:
	s_mov_b64 s[0:1], 0
.LBB56_231:
	s_andn2_b64 vcc, exec, s[0:1]
	s_cbranch_vccnz .LBB56_242
; %bb.232:
	s_cmp_lt_i32 s12, 6
	s_cbranch_scc1 .LBB56_235
; %bb.233:
	s_cmp_gt_i32 s12, 6
	s_cbranch_scc0 .LBB56_236
; %bb.234:
	global_load_dwordx2 v[3:4], v[1:2], off
	s_movk_i32 s0, 0x1ff
	s_movk_i32 s1, 0xffe
	v_mov_b32_e32 v5, 0x7c00
	v_mov_b32_e32 v6, 0x7e00
	s_movk_i32 s8, 0x40f
	s_mov_b32 s9, 0x8000
	s_waitcnt vmcnt(0)
	v_and_or_b32 v3, v4, s0, v3
	v_cmp_ne_u32_e32 vcc, 0, v3
	v_lshrrev_b32_e32 v7, 8, v4
	v_bfe_u32 v9, v4, 20, 11
	v_cndmask_b32_e64 v3, 0, 1, vcc
	v_sub_u32_e32 v10, 0x3f1, v9
	v_and_or_b32 v3, v7, s1, v3
	v_add_u32_e32 v9, 0xfffffc10, v9
	v_med3_i32 v7, v10, 0, 13
	v_or_b32_e32 v10, 0x1000, v3
	v_cmp_ne_u32_e32 vcc, 0, v3
	v_lshl_or_b32 v11, v9, 12, v3
	v_cndmask_b32_e32 v3, v5, v6, vcc
	v_lshrrev_b32_e32 v6, v7, v10
	v_lshlrev_b32_e32 v7, v7, v6
	v_cmp_ne_u32_e32 vcc, v7, v10
	v_cndmask_b32_e64 v7, 0, 1, vcc
	v_or_b32_e32 v6, v6, v7
	v_cmp_gt_i32_e32 vcc, 1, v9
	v_cndmask_b32_e32 v6, v11, v6, vcc
	v_and_b32_e32 v7, 7, v6
	v_cmp_lt_i32_e32 vcc, 5, v7
	v_cndmask_b32_e64 v10, 0, 1, vcc
	v_cmp_eq_u32_e32 vcc, 3, v7
	v_cndmask_b32_e64 v7, 0, 1, vcc
	v_lshrrev_b32_e32 v6, 2, v6
	v_or_b32_e32 v7, v7, v10
	v_add_u32_e32 v6, v6, v7
	v_cmp_gt_i32_e32 vcc, 31, v9
	v_cndmask_b32_e32 v5, v5, v6, vcc
	v_cmp_eq_u32_e32 vcc, s8, v9
	v_lshrrev_b32_e32 v4, 16, v4
	v_cndmask_b32_e32 v3, v5, v3, vcc
	v_and_or_b32 v3, v4, s9, v3
	s_mov_b64 s[0:1], 0
	s_branch .LBB56_237
.LBB56_235:
	s_mov_b64 s[0:1], -1
                                        ; implicit-def: $vgpr3
	s_branch .LBB56_240
.LBB56_236:
	s_mov_b64 s[0:1], -1
                                        ; implicit-def: $vgpr3
.LBB56_237:
	s_andn2_b64 vcc, exec, s[0:1]
	s_cbranch_vccnz .LBB56_239
; %bb.238:
	global_load_dword v3, v[1:2], off
	s_waitcnt vmcnt(0)
	v_cvt_f16_f32_e32 v3, v3
.LBB56_239:
	s_mov_b64 s[0:1], 0
.LBB56_240:
	s_andn2_b64 vcc, exec, s[0:1]
	s_cbranch_vccnz .LBB56_242
; %bb.241:
	global_load_ushort v3, v[1:2], off
.LBB56_242:
	s_cbranch_execnz .LBB56_262
.LBB56_243:
	s_cmp_lt_i32 s12, 2
	s_cbranch_scc1 .LBB56_247
; %bb.244:
	s_cmp_lt_i32 s12, 3
	s_cbranch_scc1 .LBB56_248
; %bb.245:
	s_cmp_gt_i32 s12, 3
	s_cbranch_scc0 .LBB56_249
; %bb.246:
	global_load_dwordx2 v[3:4], v[1:2], off
	s_mov_b64 s[0:1], 0
	s_waitcnt vmcnt(0)
	v_xor_b32_e32 v6, v3, v4
	v_ffbh_i32_e32 v5, v4
	v_ashrrev_i32_e32 v6, 31, v6
	v_add_u32_e32 v5, -1, v5
	v_add_u32_e32 v6, 32, v6
	v_min_u32_e32 v5, v5, v6
	v_lshlrev_b64 v[3:4], v5, v[3:4]
	v_min_u32_e32 v3, 1, v3
	v_or_b32_e32 v3, v4, v3
	v_cvt_f32_i32_e32 v3, v3
	v_sub_u32_e32 v4, 32, v5
	v_ldexp_f32 v3, v3, v4
	v_cvt_f16_f32_e32 v3, v3
	s_branch .LBB56_250
.LBB56_247:
	s_mov_b64 s[0:1], -1
                                        ; implicit-def: $vgpr3
	s_branch .LBB56_256
.LBB56_248:
	s_mov_b64 s[0:1], -1
                                        ; implicit-def: $vgpr3
	s_branch .LBB56_253
.LBB56_249:
	s_mov_b64 s[0:1], -1
                                        ; implicit-def: $vgpr3
.LBB56_250:
	s_andn2_b64 vcc, exec, s[0:1]
	s_cbranch_vccnz .LBB56_252
; %bb.251:
	global_load_dword v3, v[1:2], off
	s_waitcnt vmcnt(0)
	v_cvt_f32_i32_e32 v3, v3
	v_cvt_f16_f32_e32 v3, v3
.LBB56_252:
	s_mov_b64 s[0:1], 0
.LBB56_253:
	s_andn2_b64 vcc, exec, s[0:1]
	s_cbranch_vccnz .LBB56_255
; %bb.254:
	global_load_ushort v3, v[1:2], off
	s_waitcnt vmcnt(0)
	v_cvt_f16_i16_e32 v3, v3
.LBB56_255:
	s_mov_b64 s[0:1], 0
.LBB56_256:
	s_andn2_b64 vcc, exec, s[0:1]
	s_cbranch_vccnz .LBB56_262
; %bb.257:
	s_cmp_gt_i32 s12, 0
	s_cbranch_scc0 .LBB56_259
; %bb.258:
	global_load_sbyte v3, v[1:2], off
	s_mov_b64 s[0:1], 0
	s_waitcnt vmcnt(0)
	v_cvt_f16_i16_e32 v3, v3
	s_branch .LBB56_260
.LBB56_259:
	s_mov_b64 s[0:1], -1
                                        ; implicit-def: $vgpr3
.LBB56_260:
	s_andn2_b64 vcc, exec, s[0:1]
	s_cbranch_vccnz .LBB56_262
; %bb.261:
	global_load_ubyte v1, v[1:2], off
	s_waitcnt vmcnt(0)
	v_cvt_f16_u16_e32 v3, v1
.LBB56_262:
	s_branch .LBB56_25
.LBB56_263:
	s_mov_b64 s[0:1], 0
.LBB56_264:
	s_mov_b64 s[8:9], 0
                                        ; implicit-def: $vgpr8
.LBB56_265:
	s_and_b64 s[52:53], s[0:1], exec
	s_and_b64 s[54:55], s[2:3], exec
	s_orn2_b64 s[2:3], s[8:9], exec
.LBB56_266:
	s_or_b64 exec, exec, s[56:57]
	s_mov_b64 s[10:11], 0
	s_mov_b64 s[0:1], 0
                                        ; implicit-def: $vgpr1_vgpr2
                                        ; implicit-def: $vgpr0
                                        ; implicit-def: $vgpr4
	s_and_saveexec_b64 s[56:57], s[2:3]
	s_cbranch_execz .LBB56_273
; %bb.267:
	v_cmp_gt_i32_e32 vcc, s70, v8
	s_mov_b64 s[0:1], -1
	s_mov_b64 s[58:59], s[54:55]
	s_mov_b64 s[60:61], s[52:53]
	s_and_saveexec_b64 s[62:63], vcc
	s_cbranch_execz .LBB56_542
; %bb.268:
	s_andn2_b64 vcc, exec, s[40:41]
	s_cbranch_vccnz .LBB56_276
; %bb.269:
	s_andn2_b64 vcc, exec, s[50:51]
	s_cbranch_vccnz .LBB56_277
; %bb.270:
	s_add_i32 s65, s75, 1
	s_cmp_eq_u32 s72, 2
	s_cbranch_scc1 .LBB56_278
; %bb.271:
	s_and_b32 s64, s65, 28
	v_mov_b32_e32 v2, 0
	s_mov_b32 s66, 0
	s_mov_b64 s[58:59], s[34:35]
	s_mov_b64 s[60:61], s[48:49]
	v_mov_b32_e32 v0, 0
	v_mov_b32_e32 v1, v8
.LBB56_272:                             ; =>This Inner Loop Header: Depth=1
	s_load_dwordx8 s[16:23], s[58:59], 0x4
	s_load_dwordx4 s[0:3], s[58:59], 0x24
	s_load_dwordx8 s[8:15], s[60:61], 0x0
	s_add_u32 s58, s58, 48
	s_addc_u32 s59, s59, 0
	s_waitcnt vmcnt(0) lgkmcnt(0)
	v_mul_hi_u32 v3, s17, v1
	s_add_i32 s66, s66, 4
	s_add_u32 s60, s60, 32
	s_addc_u32 s61, s61, 0
	v_add_u32_e32 v3, v1, v3
	v_lshrrev_b32_e32 v3, s18, v3
	v_mul_lo_u32 v4, v3, s16
	v_mul_hi_u32 v5, s20, v3
	s_cmp_eq_u32 s64, s66
	v_sub_u32_e32 v1, v1, v4
	v_add_u32_e32 v4, v3, v5
	v_mul_lo_u32 v5, v1, s8
	v_mul_lo_u32 v6, v1, s9
	v_lshrrev_b32_e32 v1, s21, v4
	v_mul_lo_u32 v4, v1, s19
	v_mul_hi_u32 v7, s23, v1
	v_sub_u32_e32 v3, v3, v4
	v_add_u32_e32 v4, v1, v7
	v_lshrrev_b32_e32 v4, s0, v4
	v_mul_hi_u32 v9, s2, v4
	v_mul_lo_u32 v10, v4, s22
	v_mul_lo_u32 v7, v3, s10
	;; [unrolled: 1-line block ×3, first 2 shown]
	v_sub_u32_e32 v10, v1, v10
	v_add_u32_e32 v1, v4, v9
	v_lshrrev_b32_e32 v1, s3, v1
	v_mul_lo_u32 v9, v1, s1
	v_mul_lo_u32 v11, v10, s12
	;; [unrolled: 1-line block ×3, first 2 shown]
	v_add3_u32 v0, v5, v0, v7
	v_sub_u32_e32 v4, v4, v9
	v_mul_lo_u32 v9, v4, s14
	v_mul_lo_u32 v4, v4, s15
	v_add3_u32 v2, v6, v2, v3
	v_add3_u32 v0, v11, v0, v9
	;; [unrolled: 1-line block ×3, first 2 shown]
	s_cbranch_scc0 .LBB56_272
	s_branch .LBB56_279
.LBB56_273:
	s_or_b64 exec, exec, s[56:57]
	s_mov_b64 s[2:3], 0
	s_and_saveexec_b64 s[8:9], s[54:55]
	s_cbranch_execnz .LBB56_918
.LBB56_274:
	s_or_b64 exec, exec, s[8:9]
	s_and_saveexec_b64 s[8:9], s[60:61]
	s_xor_b64 s[8:9], exec, s[8:9]
	s_cbranch_execz .LBB56_919
.LBB56_275:
	global_load_ubyte v3, v[1:2], off
	v_mov_b32_e32 v4, 0x3c00
	s_or_b64 s[0:1], s[0:1], exec
	s_waitcnt vmcnt(0)
	v_cmp_ne_u16_e32 vcc, 0, v3
	v_cndmask_b32_e32 v4, 0, v4, vcc
	s_or_b64 exec, exec, s[8:9]
	s_and_saveexec_b64 s[8:9], s[10:11]
	s_cbranch_execz .LBB56_965
	s_branch .LBB56_920
.LBB56_276:
                                        ; implicit-def: $vgpr0
                                        ; implicit-def: $vgpr2
	s_andn2_b64 vcc, exec, s[0:1]
	s_cbranch_vccz .LBB56_283
	s_branch .LBB56_285
.LBB56_277:
	v_mov_b32_e32 v0, 0
	v_mov_b32_e32 v2, 0
	s_branch .LBB56_282
.LBB56_278:
	s_mov_b32 s64, 0
	v_mov_b32_e32 v0, 0
	v_mov_b32_e32 v2, 0
	;; [unrolled: 1-line block ×3, first 2 shown]
.LBB56_279:
	s_and_b32 s8, s65, 3
	s_cmp_eq_u32 s8, 0
	s_cbranch_scc1 .LBB56_282
; %bb.280:
	s_lshl_b32 s0, s64, 3
	s_add_u32 s0, s34, s0
	s_addc_u32 s1, s35, 0
	s_add_u32 s0, s0, 0xc4
	s_addc_u32 s1, s1, 0
	s_mul_i32 s2, s64, 12
	s_add_u32 s2, s34, s2
	s_addc_u32 s3, s35, 0
.LBB56_281:                             ; =>This Inner Loop Header: Depth=1
	s_load_dwordx2 s[10:11], s[2:3], 0x4
	s_load_dword s9, s[2:3], 0xc
	s_load_dwordx2 s[12:13], s[0:1], 0x0
	s_add_u32 s2, s2, 12
	s_addc_u32 s3, s3, 0
	s_waitcnt vmcnt(0) lgkmcnt(0)
	v_mul_hi_u32 v3, s11, v1
	s_add_u32 s0, s0, 8
	s_addc_u32 s1, s1, 0
	s_add_i32 s8, s8, -1
	v_add_u32_e32 v3, v1, v3
	v_lshrrev_b32_e32 v4, s9, v3
	v_mul_lo_u32 v3, v4, s10
	s_cmp_lg_u32 s8, 0
	v_sub_u32_e32 v3, v1, v3
	v_mad_u64_u32 v[0:1], s[10:11], v3, s12, v[0:1]
	v_mad_u64_u32 v[2:3], s[10:11], v3, s13, v[2:3]
	v_mov_b32_e32 v1, v4
	s_cbranch_scc1 .LBB56_281
.LBB56_282:
	s_cbranch_execnz .LBB56_285
.LBB56_283:
	s_waitcnt lgkmcnt(0)
	v_mul_hi_u32 v0, s37, v8
	s_andn2_b64 vcc, exec, s[46:47]
	v_add_u32_e32 v0, v8, v0
	v_lshrrev_b32_e32 v1, s38, v0
	v_mul_lo_u32 v0, v1, s36
	v_sub_u32_e32 v2, v8, v0
	v_mul_lo_u32 v0, v2, s28
	v_mul_lo_u32 v2, v2, s29
	s_cbranch_vccnz .LBB56_285
; %bb.284:
	s_waitcnt vmcnt(0)
	v_mul_hi_u32 v3, s44, v1
	v_add_u32_e32 v3, v1, v3
	v_lshrrev_b32_e32 v3, s45, v3
	v_mul_lo_u32 v3, v3, s39
	v_sub_u32_e32 v3, v1, v3
	v_mad_u64_u32 v[0:1], s[0:1], v3, s30, v[0:1]
	v_mad_u64_u32 v[2:3], s[0:1], v3, s31, v[2:3]
.LBB56_285:
	s_waitcnt vmcnt(0) lgkmcnt(0)
	v_mov_b32_e32 v3, s27
	s_and_b32 s12, 0xffff, s74
	v_add_co_u32_e32 v1, vcc, s26, v2
	s_cmp_lt_i32 s12, 11
	v_addc_co_u32_e32 v2, vcc, 0, v3, vcc
	s_cbranch_scc1 .LBB56_292
; %bb.286:
	s_cmp_gt_i32 s12, 25
	s_cbranch_scc0 .LBB56_301
; %bb.287:
	s_cmp_gt_i32 s12, 28
	s_cbranch_scc0 .LBB56_303
	;; [unrolled: 3-line block ×4, first 2 shown]
; %bb.290:
	s_cmp_eq_u32 s12, 46
	s_mov_b64 s[8:9], 0
	s_cbranch_scc0 .LBB56_313
; %bb.291:
	global_load_dword v3, v[1:2], off
	s_mov_b64 s[0:1], -1
	s_mov_b64 s[2:3], 0
	s_waitcnt vmcnt(0)
	v_lshlrev_b32_e32 v3, 16, v3
	v_cvt_f16_f32_e32 v3, v3
	s_branch .LBB56_314
.LBB56_292:
	s_mov_b64 s[0:1], 0
                                        ; implicit-def: $vgpr3
	s_mov_b64 s[2:3], s[54:55]
	s_cbranch_execnz .LBB56_491
.LBB56_293:
	s_andn2_b64 vcc, exec, s[0:1]
	s_cbranch_vccnz .LBB56_539
.LBB56_294:
	s_waitcnt vmcnt(0)
	v_cvt_f32_f16_e32 v1, v3
	s_mov_b32 s0, -0.5
	v_mov_b32_e32 v2, 0.5
	v_fma_mix_f32 v2, |v3|, s0, v2 op_sel_hi:[1,0,0]
	v_mul_f32_e32 v4, v1, v1
	v_cmp_ge_f32_e64 vcc, |v1|, 0.5
	v_cndmask_b32_e32 v2, v4, v2, vcc
	v_mov_b32_e32 v4, 0x3c5fc5da
	v_fmac_f32_e32 v4, 0x3d1c21a7, v2
	v_mov_b32_e32 v5, 0x3d034c3c
	v_fmac_f32_e32 v5, v2, v4
	;; [unrolled: 2-line block ×4, first 2 shown]
	v_sqrt_f32_e32 v4, v2
	v_mov_b32_e32 v6, 0x3e2aaaac
	v_fmac_f32_e32 v6, v2, v5
	v_mul_f32_e32 v2, v2, v6
	v_fmac_f32_e32 v4, v4, v2
	v_add_f32_e32 v4, v4, v4
	v_sub_f32_e32 v4, 0x3fc90fdb, v4
	v_fma_mix_f32 v2, |v3|, v2, |v3| op_sel_hi:[1,0,1]
	v_cmp_lt_f32_e64 vcc, |v1|, 0.5
	v_cndmask_b32_e32 v1, v4, v2, vcc
	v_cvt_f16_f32_e32 v1, v1
	s_movk_i32 s0, 0x7fff
	s_and_b32 s14, s73, 0xff
	v_add_co_u32_e32 v0, vcc, s24, v0
	v_bfi_b32 v2, s0, v1, v3
	v_mov_b32_e32 v1, s25
	s_cmp_lt_i32 s14, 11
	v_addc_co_u32_e32 v1, vcc, 0, v1, vcc
	s_cbranch_scc1 .LBB56_302
; %bb.295:
	s_and_b32 s15, 0xffff, s14
	s_cmp_gt_i32 s15, 25
	s_cbranch_scc0 .LBB56_304
; %bb.296:
	s_cmp_gt_i32 s15, 28
	s_cbranch_scc0 .LBB56_306
; %bb.297:
	;; [unrolled: 3-line block ×4, first 2 shown]
	s_mov_b64 s[10:11], 0
	s_mov_b64 s[0:1], -1
	s_cmp_eq_u32 s15, 46
	s_mov_b64 s[8:9], 0
	s_cbranch_scc0 .LBB56_318
; %bb.300:
	v_cvt_f32_f16_e32 v3, v2
	s_movk_i32 s0, 0x7fff
	v_cmp_o_f16_e32 vcc, v2, v2
	v_mov_b32_e32 v4, 0x7fc0
	v_bfe_u32 v5, v3, 16, 1
	v_add3_u32 v3, v3, v5, s0
	v_cndmask_b32_sdwa v3, v4, v3, vcc dst_sel:DWORD dst_unused:UNUSED_PAD src0_sel:DWORD src1_sel:WORD_1
	global_store_dword v[0:1], v3, off
	s_mov_b64 s[8:9], -1
	s_mov_b64 s[0:1], 0
	s_branch .LBB56_318
.LBB56_301:
	s_mov_b64 s[8:9], -1
	s_mov_b64 s[0:1], 0
	s_mov_b64 s[2:3], s[54:55]
                                        ; implicit-def: $vgpr3
	s_branch .LBB56_455
.LBB56_302:
	s_mov_b64 s[10:11], -1
	s_mov_b64 s[8:9], 0
	s_mov_b64 s[0:1], s[52:53]
	s_branch .LBB56_387
.LBB56_303:
	s_mov_b64 s[8:9], -1
	s_mov_b64 s[0:1], 0
	s_mov_b64 s[2:3], s[54:55]
                                        ; implicit-def: $vgpr3
	s_branch .LBB56_436
.LBB56_304:
	s_mov_b64 s[10:11], -1
	s_mov_b64 s[8:9], 0
	s_mov_b64 s[0:1], s[52:53]
	s_branch .LBB56_345
.LBB56_305:
	s_mov_b64 s[8:9], -1
	s_mov_b64 s[0:1], 0
	s_mov_b64 s[2:3], s[54:55]
                                        ; implicit-def: $vgpr3
	s_branch .LBB56_431
.LBB56_306:
	s_mov_b64 s[10:11], -1
	s_mov_b64 s[8:9], 0
	s_mov_b64 s[0:1], s[52:53]
	s_branch .LBB56_328
.LBB56_307:
	s_andn2_saveexec_b64 s[12:13], s[12:13]
	s_cbranch_execz .LBB56_68
.LBB56_308:
	s_mov_b32 s16, 0x46000000
	v_add_f32_e64 v4, |v3|, s16
	v_and_b32_e32 v4, 0xff, v4
	v_cmp_ne_u32_e32 vcc, 0, v4
	s_andn2_b64 s[10:11], s[10:11], exec
	s_and_b64 s[16:17], vcc, exec
	s_or_b64 s[10:11], s[10:11], s[16:17]
	s_or_b64 exec, exec, s[12:13]
	v_mov_b32_e32 v5, 0
	s_and_saveexec_b64 s[12:13], s[10:11]
	s_cbranch_execnz .LBB56_69
	s_branch .LBB56_70
.LBB56_309:
	s_mov_b64 s[8:9], -1
	s_mov_b64 s[0:1], 0
	s_mov_b64 s[2:3], s[54:55]
                                        ; implicit-def: $vgpr3
	s_branch .LBB56_314
.LBB56_310:
	s_mov_b64 s[10:11], -1
	s_mov_b64 s[8:9], 0
	s_mov_b64 s[0:1], s[52:53]
	s_branch .LBB56_324
.LBB56_311:
	s_andn2_saveexec_b64 s[12:13], s[12:13]
	s_cbranch_execz .LBB56_81
.LBB56_312:
	s_mov_b32 s16, 0x42800000
	v_add_f32_e64 v4, |v3|, s16
	v_and_b32_e32 v4, 0xff, v4
	v_cmp_ne_u32_e32 vcc, 0, v4
	s_andn2_b64 s[10:11], s[10:11], exec
	s_and_b64 s[16:17], vcc, exec
	s_or_b64 s[10:11], s[10:11], s[16:17]
	s_or_b64 exec, exec, s[12:13]
	v_mov_b32_e32 v5, 0
	s_and_saveexec_b64 s[12:13], s[10:11]
	s_cbranch_execnz .LBB56_82
	s_branch .LBB56_83
.LBB56_313:
	s_mov_b64 s[2:3], -1
                                        ; implicit-def: $vgpr3
	s_mov_b64 s[0:1], 0
.LBB56_314:
	s_and_b64 vcc, exec, s[8:9]
	s_cbranch_vccz .LBB56_430
; %bb.315:
	s_cmp_eq_u32 s12, 44
	s_cbranch_scc0 .LBB56_429
; %bb.316:
	global_load_ubyte v3, v[1:2], off
	s_movk_i32 s2, 0xff
	v_mov_b32_e32 v5, 0x7e00
	s_mov_b64 s[0:1], -1
	s_waitcnt vmcnt(0)
	v_lshlrev_b32_e32 v4, 23, v3
	v_cvt_f16_f32_e32 v4, v4
	v_cmp_ne_u32_e32 vcc, s2, v3
	s_mov_b64 s[2:3], 0
	v_cndmask_b32_e32 v4, v5, v4, vcc
	v_cmp_ne_u32_e32 vcc, 0, v3
	v_cndmask_b32_e32 v3, 0, v4, vcc
	s_branch .LBB56_430
.LBB56_317:
	s_mov_b64 s[10:11], -1
	s_mov_b64 s[8:9], 0
	s_mov_b64 s[0:1], s[52:53]
.LBB56_318:
	s_and_b64 vcc, exec, s[10:11]
	s_cbranch_vccz .LBB56_323
; %bb.319:
	s_cmp_eq_u32 s15, 44
	s_mov_b64 s[0:1], -1
	s_cbranch_scc0 .LBB56_323
; %bb.320:
	v_cvt_f32_f16_e32 v3, v2
	s_movk_i32 s0, 0xff
	v_mov_b32_e32 v5, 0xff
	v_bfe_u32 v4, v3, 23, 8
	v_cmp_ne_u32_e32 vcc, s0, v4
	s_and_saveexec_b64 s[8:9], vcc
; %bb.321:
	s_mov_b32 s0, 0x3fffff
	v_lshrrev_b32_e32 v5, 23, v3
	v_and_b32_e32 v6, 0x400000, v3
	v_and_or_b32 v3, v3, s0, v4
	v_cmp_ne_u32_e32 vcc, 0, v6
	v_cmp_ne_u32_e64 s[0:1], 0, v3
	s_and_b64 s[0:1], vcc, s[0:1]
	v_cndmask_b32_e64 v3, 0, 1, s[0:1]
	v_add_u32_e32 v5, v5, v3
; %bb.322:
	s_or_b64 exec, exec, s[8:9]
	s_mov_b64 s[8:9], -1
	s_mov_b64 s[0:1], 0
	global_store_byte v[0:1], v5, off
.LBB56_323:
	s_mov_b64 s[10:11], 0
.LBB56_324:
	s_and_b64 vcc, exec, s[10:11]
	s_cbranch_vccz .LBB56_327
; %bb.325:
	s_cmp_eq_u32 s15, 29
	s_mov_b64 s[0:1], -1
	s_cbranch_scc0 .LBB56_327
; %bb.326:
	v_cvt_f32_f16_e32 v3, v2
	v_mov_b32_e32 v4, 0
	s_mov_b64 s[8:9], -1
	s_mov_b64 s[0:1], 0
	v_cvt_u32_f32_e32 v3, v3
	s_mov_b64 s[10:11], 0
	global_store_dwordx2 v[0:1], v[3:4], off
	s_branch .LBB56_328
.LBB56_327:
	s_mov_b64 s[10:11], 0
.LBB56_328:
	s_and_b64 vcc, exec, s[10:11]
	s_cbranch_vccz .LBB56_344
; %bb.329:
	s_cmp_lt_i32 s15, 27
	s_mov_b64 s[8:9], -1
	s_cbranch_scc1 .LBB56_335
; %bb.330:
	s_cmp_gt_i32 s15, 27
	s_cbranch_scc0 .LBB56_332
; %bb.331:
	v_cvt_f32_f16_e32 v3, v2
	s_mov_b64 s[8:9], 0
	v_cvt_u32_f32_e32 v3, v3
	global_store_dword v[0:1], v3, off
.LBB56_332:
	s_andn2_b64 vcc, exec, s[8:9]
	s_cbranch_vccnz .LBB56_334
; %bb.333:
	v_cvt_u16_f16_e32 v3, v2
	global_store_short v[0:1], v3, off
.LBB56_334:
	s_mov_b64 s[8:9], 0
.LBB56_335:
	s_andn2_b64 vcc, exec, s[8:9]
	s_cbranch_vccnz .LBB56_343
; %bb.336:
	v_cvt_f32_f16_e32 v3, v2
	s_mov_b32 s8, 0x43800000
	v_mov_b32_e32 v5, 0x80
	v_and_b32_e32 v4, 0x7fffffff, v3
	v_cmp_gt_u32_e32 vcc, s8, v4
	s_and_saveexec_b64 s[8:9], vcc
	s_cbranch_execz .LBB56_342
; %bb.337:
	s_mov_b32 s10, 0x3bffffff
	v_cmp_lt_u32_e32 vcc, s10, v4
	s_mov_b64 s[10:11], 0
                                        ; implicit-def: $vgpr4
	s_and_saveexec_b64 s[12:13], vcc
	s_xor_b64 s[12:13], exec, s[12:13]
	s_cbranch_execz .LBB56_570
; %bb.338:
	v_bfe_u32 v4, v3, 20, 1
	s_mov_b32 s16, 0x487ffff
	v_add3_u32 v4, v3, v4, s16
	s_mov_b64 s[10:11], exec
	v_lshrrev_b32_e32 v4, 20, v4
	s_andn2_saveexec_b64 s[12:13], s[12:13]
	s_cbranch_execnz .LBB56_571
.LBB56_339:
	s_or_b64 exec, exec, s[12:13]
	v_mov_b32_e32 v5, 0
	s_and_saveexec_b64 s[12:13], s[10:11]
.LBB56_340:
	v_lshrrev_b32_e32 v3, 24, v3
	s_movk_i32 s10, 0x80
	v_and_or_b32 v5, v3, s10, v4
.LBB56_341:
	s_or_b64 exec, exec, s[12:13]
.LBB56_342:
	s_or_b64 exec, exec, s[8:9]
	global_store_byte v[0:1], v5, off
.LBB56_343:
	s_mov_b64 s[8:9], -1
.LBB56_344:
	s_mov_b64 s[10:11], 0
.LBB56_345:
	s_and_b64 vcc, exec, s[10:11]
	s_cbranch_vccz .LBB56_386
; %bb.346:
	s_cmp_gt_i32 s15, 22
	s_mov_b64 s[10:11], -1
	s_cbranch_scc0 .LBB56_378
; %bb.347:
	s_cmp_lt_i32 s15, 24
	s_mov_b64 s[8:9], -1
	s_cbranch_scc1 .LBB56_367
; %bb.348:
	s_cmp_gt_i32 s15, 24
	s_cbranch_scc0 .LBB56_356
; %bb.349:
	v_cvt_f32_f16_e32 v3, v2
	s_mov_b32 s8, 0x47800000
	v_mov_b32_e32 v5, 0x80
	v_and_b32_e32 v4, 0x7fffffff, v3
	v_cmp_gt_u32_e32 vcc, s8, v4
	s_and_saveexec_b64 s[8:9], vcc
	s_cbranch_execz .LBB56_355
; %bb.350:
	s_mov_b32 s10, 0x37ffffff
	v_cmp_lt_u32_e32 vcc, s10, v4
	s_mov_b64 s[10:11], 0
                                        ; implicit-def: $vgpr4
	s_and_saveexec_b64 s[12:13], vcc
	s_xor_b64 s[12:13], exec, s[12:13]
	s_cbranch_execz .LBB56_573
; %bb.351:
	v_bfe_u32 v4, v3, 21, 1
	s_mov_b32 s16, 0x88fffff
	v_add3_u32 v4, v3, v4, s16
	s_mov_b64 s[10:11], exec
	v_lshrrev_b32_e32 v4, 21, v4
	s_andn2_saveexec_b64 s[12:13], s[12:13]
	s_cbranch_execnz .LBB56_574
.LBB56_352:
	s_or_b64 exec, exec, s[12:13]
	v_mov_b32_e32 v5, 0
	s_and_saveexec_b64 s[12:13], s[10:11]
.LBB56_353:
	v_lshrrev_b32_e32 v3, 24, v3
	s_movk_i32 s10, 0x80
	v_and_or_b32 v5, v3, s10, v4
.LBB56_354:
	s_or_b64 exec, exec, s[12:13]
.LBB56_355:
	s_or_b64 exec, exec, s[8:9]
	s_mov_b64 s[8:9], 0
	global_store_byte v[0:1], v5, off
.LBB56_356:
	s_and_b64 vcc, exec, s[8:9]
	s_cbranch_vccz .LBB56_366
; %bb.357:
	v_cvt_f32_f16_e32 v3, v2
	s_mov_b32 s8, 0x43f00000
                                        ; implicit-def: $vgpr4
	v_and_b32_e32 v5, 0x7fffffff, v3
	v_cmp_gt_u32_e32 vcc, s8, v5
	s_and_saveexec_b64 s[8:9], vcc
	s_xor_b64 s[8:9], exec, s[8:9]
	s_cbranch_execz .LBB56_363
; %bb.358:
	s_mov_b32 s10, 0x3c7fffff
	v_cmp_lt_u32_e32 vcc, s10, v5
                                        ; implicit-def: $vgpr4
	s_and_saveexec_b64 s[10:11], vcc
	s_xor_b64 s[10:11], exec, s[10:11]
; %bb.359:
	v_bfe_u32 v4, v3, 20, 1
	s_mov_b32 s12, 0x407ffff
	v_add3_u32 v4, v3, v4, s12
	v_lshrrev_b32_e32 v5, 20, v4
	v_and_b32_e32 v4, 0xff00000, v4
	s_mov_b32 s12, 0x7f00000
	v_mov_b32_e32 v6, 0x7e
	v_cmp_ne_u32_e32 vcc, s12, v4
	v_cndmask_b32_e32 v4, v6, v5, vcc
; %bb.360:
	s_andn2_saveexec_b64 s[10:11], s[10:11]
; %bb.361:
	s_mov_b32 s12, 0x46800000
	v_add_f32_e64 v4, |v3|, s12
; %bb.362:
	s_or_b64 exec, exec, s[10:11]
                                        ; implicit-def: $vgpr5
.LBB56_363:
	s_andn2_saveexec_b64 s[8:9], s[8:9]
; %bb.364:
	s_mov_b32 s10, 0x7f800000
	v_mov_b32_e32 v4, 0x7e
	v_mov_b32_e32 v6, 0x7f
	v_cmp_lt_u32_e32 vcc, s10, v5
	v_cndmask_b32_e32 v4, v4, v6, vcc
; %bb.365:
	s_or_b64 exec, exec, s[8:9]
	v_lshrrev_b32_e32 v3, 24, v3
	s_movk_i32 s8, 0x80
	v_and_or_b32 v3, v3, s8, v4
	global_store_byte v[0:1], v3, off
.LBB56_366:
	s_mov_b64 s[8:9], 0
.LBB56_367:
	s_andn2_b64 vcc, exec, s[8:9]
	s_cbranch_vccnz .LBB56_377
; %bb.368:
	v_cvt_f32_f16_e32 v3, v2
	s_mov_b32 s8, 0x47800000
                                        ; implicit-def: $vgpr4
	v_and_b32_e32 v5, 0x7fffffff, v3
	v_cmp_gt_u32_e32 vcc, s8, v5
	s_and_saveexec_b64 s[8:9], vcc
	s_xor_b64 s[8:9], exec, s[8:9]
	s_cbranch_execz .LBB56_374
; %bb.369:
	s_mov_b32 s10, 0x387fffff
	v_cmp_lt_u32_e32 vcc, s10, v5
                                        ; implicit-def: $vgpr4
	s_and_saveexec_b64 s[10:11], vcc
	s_xor_b64 s[10:11], exec, s[10:11]
; %bb.370:
	v_bfe_u32 v4, v3, 21, 1
	s_mov_b32 s12, 0x80fffff
	v_add3_u32 v4, v3, v4, s12
	v_lshrrev_b32_e32 v4, 21, v4
; %bb.371:
	s_andn2_saveexec_b64 s[10:11], s[10:11]
; %bb.372:
	s_mov_b32 s12, 0x43000000
	v_add_f32_e64 v4, |v3|, s12
; %bb.373:
	s_or_b64 exec, exec, s[10:11]
                                        ; implicit-def: $vgpr5
.LBB56_374:
	s_andn2_saveexec_b64 s[8:9], s[8:9]
; %bb.375:
	s_mov_b32 s10, 0x7f800000
	v_mov_b32_e32 v4, 0x7c
	v_mov_b32_e32 v6, 0x7f
	v_cmp_lt_u32_e32 vcc, s10, v5
	v_cndmask_b32_e32 v4, v4, v6, vcc
; %bb.376:
	s_or_b64 exec, exec, s[8:9]
	v_lshrrev_b32_e32 v3, 24, v3
	s_movk_i32 s8, 0x80
	v_and_or_b32 v3, v3, s8, v4
	global_store_byte v[0:1], v3, off
.LBB56_377:
	s_mov_b64 s[10:11], 0
	s_mov_b64 s[8:9], -1
.LBB56_378:
	s_andn2_b64 vcc, exec, s[10:11]
	s_cbranch_vccnz .LBB56_386
; %bb.379:
	s_cmp_gt_i32 s15, 14
	s_mov_b64 s[10:11], -1
	s_cbranch_scc0 .LBB56_383
; %bb.380:
	s_cmp_eq_u32 s15, 15
	s_mov_b64 s[0:1], -1
	s_cbranch_scc0 .LBB56_382
; %bb.381:
	v_cvt_f32_f16_e32 v3, v2
	s_movk_i32 s0, 0x7fff
	v_cmp_o_f16_e32 vcc, v2, v2
	v_mov_b32_e32 v4, 0x7fc0
	v_bfe_u32 v5, v3, 16, 1
	v_add3_u32 v3, v3, v5, s0
	v_cndmask_b32_sdwa v3, v4, v3, vcc dst_sel:DWORD dst_unused:UNUSED_PAD src0_sel:DWORD src1_sel:WORD_1
	global_store_short v[0:1], v3, off
	s_mov_b64 s[8:9], -1
	s_mov_b64 s[0:1], 0
.LBB56_382:
	s_mov_b64 s[10:11], 0
.LBB56_383:
	s_and_b64 vcc, exec, s[10:11]
	s_cbranch_vccz .LBB56_386
; %bb.384:
	s_cmp_eq_u32 s15, 11
	s_mov_b64 s[0:1], -1
	s_cbranch_scc0 .LBB56_386
; %bb.385:
	v_cmp_neq_f16_e32 vcc, 0, v2
	v_cndmask_b32_e64 v3, 0, 1, vcc
	s_mov_b64 s[8:9], -1
	s_mov_b64 s[0:1], 0
	global_store_byte v[0:1], v3, off
.LBB56_386:
	s_mov_b64 s[10:11], 0
.LBB56_387:
	s_and_b64 vcc, exec, s[10:11]
	s_cbranch_vccz .LBB56_426
; %bb.388:
	s_and_b32 s10, 0xffff, s14
	s_cmp_lt_i32 s10, 5
	s_mov_b64 s[8:9], -1
	s_cbranch_scc1 .LBB56_409
; %bb.389:
	s_cmp_lt_i32 s10, 8
	s_cbranch_scc1 .LBB56_399
; %bb.390:
	s_cmp_lt_i32 s10, 9
	s_cbranch_scc1 .LBB56_396
; %bb.391:
	s_cmp_gt_i32 s10, 9
	s_cbranch_scc0 .LBB56_393
; %bb.392:
	v_cvt_f32_f16_e32 v3, v2
	v_mov_b32_e32 v5, 0
	v_mov_b32_e32 v6, v5
	s_mov_b64 s[8:9], 0
	v_cvt_f64_f32_e32 v[3:4], v3
	global_store_dwordx4 v[0:1], v[3:6], off
.LBB56_393:
	s_andn2_b64 vcc, exec, s[8:9]
	s_cbranch_vccnz .LBB56_395
; %bb.394:
	v_cvt_f32_f16_e32 v3, v2
	v_mov_b32_e32 v4, 0
	global_store_dwordx2 v[0:1], v[3:4], off
.LBB56_395:
	s_mov_b64 s[8:9], 0
.LBB56_396:
	s_andn2_b64 vcc, exec, s[8:9]
	s_cbranch_vccnz .LBB56_398
; %bb.397:
	v_and_b32_e32 v3, 0xffff, v2
	global_store_dword v[0:1], v3, off
.LBB56_398:
	s_mov_b64 s[8:9], 0
.LBB56_399:
	s_andn2_b64 vcc, exec, s[8:9]
	s_cbranch_vccnz .LBB56_408
; %bb.400:
	s_cmp_lt_i32 s10, 6
	s_mov_b64 s[8:9], -1
	s_cbranch_scc1 .LBB56_406
; %bb.401:
	s_cmp_gt_i32 s10, 6
	s_cbranch_scc0 .LBB56_403
; %bb.402:
	v_cvt_f32_f16_e32 v3, v2
	s_mov_b64 s[8:9], 0
	v_cvt_f64_f32_e32 v[3:4], v3
	global_store_dwordx2 v[0:1], v[3:4], off
.LBB56_403:
	s_andn2_b64 vcc, exec, s[8:9]
	s_cbranch_vccnz .LBB56_405
; %bb.404:
	v_cvt_f32_f16_e32 v3, v2
	global_store_dword v[0:1], v3, off
.LBB56_405:
	s_mov_b64 s[8:9], 0
.LBB56_406:
	s_andn2_b64 vcc, exec, s[8:9]
	s_cbranch_vccnz .LBB56_408
; %bb.407:
	global_store_short v[0:1], v2, off
.LBB56_408:
	s_mov_b64 s[8:9], 0
.LBB56_409:
	s_andn2_b64 vcc, exec, s[8:9]
	s_cbranch_vccnz .LBB56_425
; %bb.410:
	s_cmp_lt_i32 s10, 2
	s_mov_b64 s[8:9], -1
	s_cbranch_scc1 .LBB56_420
; %bb.411:
	s_cmp_lt_i32 s10, 3
	s_cbranch_scc1 .LBB56_417
; %bb.412:
	s_cmp_gt_i32 s10, 3
	s_cbranch_scc0 .LBB56_414
; %bb.413:
	v_cvt_f32_f16_e32 v3, v2
	s_mov_b64 s[8:9], 0
	v_cvt_i32_f32_e32 v3, v3
	v_ashrrev_i32_e32 v4, 31, v3
	global_store_dwordx2 v[0:1], v[3:4], off
.LBB56_414:
	s_andn2_b64 vcc, exec, s[8:9]
	s_cbranch_vccnz .LBB56_416
; %bb.415:
	v_cvt_f32_f16_e32 v3, v2
	v_cvt_i32_f32_e32 v3, v3
	global_store_dword v[0:1], v3, off
.LBB56_416:
	s_mov_b64 s[8:9], 0
.LBB56_417:
	s_andn2_b64 vcc, exec, s[8:9]
	s_cbranch_vccnz .LBB56_419
; %bb.418:
	v_cvt_i16_f16_e32 v3, v2
	global_store_short v[0:1], v3, off
.LBB56_419:
	s_mov_b64 s[8:9], 0
.LBB56_420:
	s_andn2_b64 vcc, exec, s[8:9]
	s_cbranch_vccnz .LBB56_425
; %bb.421:
	s_cmp_gt_i32 s10, 0
	s_mov_b64 s[8:9], -1
	s_cbranch_scc0 .LBB56_423
; %bb.422:
	v_cvt_i16_f16_e32 v3, v2
	s_mov_b64 s[8:9], 0
	global_store_byte v[0:1], v3, off
.LBB56_423:
	s_andn2_b64 vcc, exec, s[8:9]
	s_cbranch_vccnz .LBB56_425
; %bb.424:
	v_cvt_f32_f16_e32 v2, v2
	v_cvt_i32_f32_e32 v2, v2
	global_store_byte v[0:1], v2, off
.LBB56_425:
	s_mov_b64 s[8:9], -1
.LBB56_426:
	s_andn2_b64 vcc, exec, s[8:9]
	s_cbranch_vccnz .LBB56_428
; %bb.427:
	v_add_u32_e32 v8, 0x80, v8
	s_mov_b64 s[8:9], -1
	s_branch .LBB56_541
.LBB56_428:
	s_mov_b64 s[8:9], 0
	s_branch .LBB56_540
.LBB56_429:
	s_mov_b64 s[2:3], -1
                                        ; implicit-def: $vgpr3
.LBB56_430:
	s_mov_b64 s[8:9], 0
.LBB56_431:
	s_and_b64 vcc, exec, s[8:9]
	s_cbranch_vccz .LBB56_435
; %bb.432:
	s_cmp_eq_u32 s12, 29
	s_cbranch_scc0 .LBB56_434
; %bb.433:
	global_load_dwordx2 v[3:4], v[1:2], off
	s_mov_b64 s[0:1], -1
	s_mov_b64 s[2:3], 0
	s_mov_b64 s[8:9], 0
	s_waitcnt vmcnt(0)
	v_ffbh_u32_e32 v5, v4
	v_min_u32_e32 v5, 32, v5
	v_lshlrev_b64 v[3:4], v5, v[3:4]
	v_min_u32_e32 v3, 1, v3
	v_or_b32_e32 v3, v4, v3
	v_cvt_f32_u32_e32 v3, v3
	v_sub_u32_e32 v4, 32, v5
	v_ldexp_f32 v3, v3, v4
	v_cvt_f16_f32_e32 v3, v3
	s_branch .LBB56_436
.LBB56_434:
	s_mov_b64 s[2:3], -1
                                        ; implicit-def: $vgpr3
.LBB56_435:
	s_mov_b64 s[8:9], 0
.LBB56_436:
	s_and_b64 vcc, exec, s[8:9]
	s_cbranch_vccz .LBB56_454
; %bb.437:
	s_cmp_lt_i32 s12, 27
	s_cbranch_scc1 .LBB56_440
; %bb.438:
	s_cmp_gt_i32 s12, 27
	s_cbranch_scc0 .LBB56_441
; %bb.439:
	global_load_dword v3, v[1:2], off
	s_mov_b64 s[0:1], 0
	s_waitcnt vmcnt(0)
	v_cvt_f32_u32_e32 v3, v3
	v_cvt_f16_f32_e32 v3, v3
	s_branch .LBB56_442
.LBB56_440:
	s_mov_b64 s[0:1], -1
                                        ; implicit-def: $vgpr3
	s_branch .LBB56_445
.LBB56_441:
	s_mov_b64 s[0:1], -1
                                        ; implicit-def: $vgpr3
.LBB56_442:
	s_andn2_b64 vcc, exec, s[0:1]
	s_cbranch_vccnz .LBB56_444
; %bb.443:
	global_load_ushort v3, v[1:2], off
	s_waitcnt vmcnt(0)
	v_cvt_f16_u16_e32 v3, v3
.LBB56_444:
	s_mov_b64 s[0:1], 0
.LBB56_445:
	s_andn2_b64 vcc, exec, s[0:1]
	s_cbranch_vccnz .LBB56_453
; %bb.446:
	global_load_ubyte v4, v[1:2], off
	s_movk_i32 s0, 0x7f
	s_waitcnt vmcnt(0)
	v_cmp_lt_i16_e32 vcc, s0, v4
	s_mov_b64 s[0:1], 0
	s_and_saveexec_b64 s[8:9], vcc
	s_xor_b64 s[8:9], exec, s[8:9]
	s_cbranch_execz .LBB56_467
; %bb.447:
	s_movk_i32 s0, 0x80
	v_cmp_eq_u16_e32 vcc, s0, v4
	s_mov_b64 s[0:1], -1
	s_and_saveexec_b64 s[10:11], vcc
; %bb.448:
	s_xor_b64 s[0:1], exec, -1
; %bb.449:
	s_or_b64 exec, exec, s[10:11]
	s_and_b64 s[0:1], s[0:1], exec
	s_or_saveexec_b64 s[8:9], s[8:9]
	v_mov_b32_e32 v3, 0x7e00
	s_xor_b64 exec, exec, s[8:9]
	s_cbranch_execnz .LBB56_468
.LBB56_450:
	s_or_b64 exec, exec, s[8:9]
	s_and_saveexec_b64 s[8:9], s[0:1]
	s_cbranch_execz .LBB56_452
.LBB56_451:
	v_lshlrev_b32_e32 v3, 24, v4
	v_and_b32_e32 v4, 0xffff, v4
	v_and_b32_e32 v5, 7, v4
	v_ffbh_u32_e32 v7, v5
	v_min_u32_e32 v7, 32, v7
	v_subrev_u32_e32 v9, 28, v7
	v_bfe_u32 v6, v4, 3, 4
	v_lshlrev_b32_e32 v4, v9, v4
	v_sub_u32_e32 v7, 29, v7
	v_and_b32_e32 v4, 7, v4
	v_cmp_eq_u32_e32 vcc, 0, v6
	v_cndmask_b32_e32 v6, v6, v7, vcc
	v_cndmask_b32_e32 v4, v5, v4, vcc
	v_mov_b32_e32 v5, 0x3b800000
	v_lshlrev_b32_e32 v4, 20, v4
	v_and_b32_e32 v3, 0x80000000, v3
	v_lshl_add_u32 v5, v6, 23, v5
	v_or3_b32 v3, v3, v5, v4
	v_cvt_f16_f32_e32 v3, v3
.LBB56_452:
	s_or_b64 exec, exec, s[8:9]
.LBB56_453:
	s_mov_b64 s[0:1], -1
.LBB56_454:
	s_mov_b64 s[8:9], 0
.LBB56_455:
	s_and_b64 vcc, exec, s[8:9]
	s_cbranch_vccz .LBB56_490
; %bb.456:
	s_cmp_gt_i32 s12, 22
	s_cbranch_scc0 .LBB56_466
; %bb.457:
	s_cmp_lt_i32 s12, 24
	s_cbranch_scc1 .LBB56_469
; %bb.458:
	s_cmp_gt_i32 s12, 24
	s_cbranch_scc0 .LBB56_470
; %bb.459:
	global_load_ubyte v4, v[1:2], off
	s_movk_i32 s0, 0x7f
	s_waitcnt vmcnt(0)
	v_cmp_lt_i16_e32 vcc, s0, v4
	s_mov_b64 s[0:1], 0
	s_and_saveexec_b64 s[8:9], vcc
	s_xor_b64 s[8:9], exec, s[8:9]
	s_cbranch_execz .LBB56_482
; %bb.460:
	s_movk_i32 s0, 0x80
	v_cmp_eq_u16_e32 vcc, s0, v4
	s_mov_b64 s[0:1], -1
	s_and_saveexec_b64 s[10:11], vcc
; %bb.461:
	s_xor_b64 s[0:1], exec, -1
; %bb.462:
	s_or_b64 exec, exec, s[10:11]
	s_and_b64 s[0:1], s[0:1], exec
	s_or_saveexec_b64 s[8:9], s[8:9]
	v_mov_b32_e32 v3, 0x7e00
	s_xor_b64 exec, exec, s[8:9]
	s_cbranch_execnz .LBB56_483
.LBB56_463:
	s_or_b64 exec, exec, s[8:9]
	s_and_saveexec_b64 s[8:9], s[0:1]
	s_cbranch_execz .LBB56_465
.LBB56_464:
	v_lshlrev_b32_e32 v3, 24, v4
	v_and_b32_e32 v4, 0xffff, v4
	v_and_b32_e32 v5, 3, v4
	v_ffbh_u32_e32 v7, v5
	v_min_u32_e32 v7, 32, v7
	v_subrev_u32_e32 v9, 29, v7
	v_bfe_u32 v6, v4, 2, 5
	v_lshlrev_b32_e32 v4, v9, v4
	v_sub_u32_e32 v7, 30, v7
	v_and_b32_e32 v4, 3, v4
	v_cmp_eq_u32_e32 vcc, 0, v6
	v_cndmask_b32_e32 v6, v6, v7, vcc
	v_cndmask_b32_e32 v4, v5, v4, vcc
	v_mov_b32_e32 v5, 0x37800000
	v_lshlrev_b32_e32 v4, 21, v4
	v_and_b32_e32 v3, 0x80000000, v3
	v_lshl_add_u32 v5, v6, 23, v5
	v_or3_b32 v3, v3, v5, v4
	v_cvt_f16_f32_e32 v3, v3
.LBB56_465:
	s_or_b64 exec, exec, s[8:9]
	s_mov_b64 s[0:1], 0
	s_branch .LBB56_471
.LBB56_466:
	s_mov_b64 s[8:9], -1
                                        ; implicit-def: $vgpr3
	s_branch .LBB56_477
.LBB56_467:
	s_or_saveexec_b64 s[8:9], s[8:9]
	v_mov_b32_e32 v3, 0x7e00
	s_xor_b64 exec, exec, s[8:9]
	s_cbranch_execz .LBB56_450
.LBB56_468:
	v_cmp_ne_u16_e32 vcc, 0, v4
	s_andn2_b64 s[0:1], s[0:1], exec
	s_and_b64 s[10:11], vcc, exec
	s_or_b64 s[0:1], s[0:1], s[10:11]
	v_mov_b32_e32 v3, v4
	s_or_b64 exec, exec, s[8:9]
	s_and_saveexec_b64 s[8:9], s[0:1]
	s_cbranch_execnz .LBB56_451
	s_branch .LBB56_452
.LBB56_469:
	s_mov_b64 s[0:1], -1
                                        ; implicit-def: $vgpr3
	s_branch .LBB56_474
.LBB56_470:
	s_mov_b64 s[0:1], -1
                                        ; implicit-def: $vgpr3
.LBB56_471:
	s_and_b64 vcc, exec, s[0:1]
	s_cbranch_vccz .LBB56_473
; %bb.472:
	global_load_ubyte v3, v[1:2], off
	s_mov_b32 s0, 0x7f800000
	s_waitcnt vmcnt(0)
	v_lshlrev_b32_e32 v3, 24, v3
	v_and_b32_e32 v4, 0x7f000000, v3
	v_ffbh_u32_e32 v5, v4
	v_min_u32_e32 v5, 32, v5
	v_sub_u32_e64 v5, v5, 4 clamp
	v_lshlrev_b32_e32 v7, v5, v4
	v_lshlrev_b32_e32 v5, 23, v5
	v_lshrrev_b32_e32 v7, 4, v7
	v_add_u32_e32 v6, 0x1000000, v4
	v_sub_u32_e32 v5, v7, v5
	v_ashrrev_i32_e32 v6, 8, v6
	v_add_u32_e32 v5, 0x3c000000, v5
	v_and_or_b32 v5, v6, s0, v5
	v_cmp_ne_u32_e32 vcc, 0, v4
	v_cndmask_b32_e32 v4, 0, v5, vcc
	s_brev_b32 s0, 1
	v_and_or_b32 v3, v3, s0, v4
	v_cvt_f16_f32_e32 v3, v3
.LBB56_473:
	s_mov_b64 s[0:1], 0
.LBB56_474:
	s_andn2_b64 vcc, exec, s[0:1]
	s_cbranch_vccnz .LBB56_476
; %bb.475:
	global_load_ubyte v3, v[1:2], off
	s_movk_i32 s0, 0x7f00
	s_brev_b32 s1, 16
	s_waitcnt vmcnt(0)
	v_lshlrev_b16_e32 v4, 8, v3
	v_lshlrev_b32_e32 v3, 25, v3
	v_lshrrev_b32_e32 v5, 4, v3
	v_and_or_b32 v6, v4, s0, 0.5
	v_or_b32_e32 v5, 0x70000000, v5
	v_add_f32_e32 v6, -0.5, v6
	v_mul_f32_e32 v5, 0x7800000, v5
	v_cmp_gt_u32_e32 vcc, s1, v3
	v_bfe_i32 v4, v4, 0, 16
	v_cndmask_b32_e32 v3, v5, v6, vcc
	s_brev_b32 s0, 1
	v_and_or_b32 v3, v4, s0, v3
	v_cvt_f16_f32_e32 v3, v3
.LBB56_476:
	s_mov_b64 s[8:9], 0
	s_mov_b64 s[0:1], -1
.LBB56_477:
	s_andn2_b64 vcc, exec, s[8:9]
	s_cbranch_vccnz .LBB56_490
; %bb.478:
	s_cmp_gt_i32 s12, 14
	s_cbranch_scc0 .LBB56_481
; %bb.479:
	s_cmp_eq_u32 s12, 15
	s_cbranch_scc0 .LBB56_484
; %bb.480:
	global_load_ushort v3, v[1:2], off
	s_mov_b64 s[0:1], -1
	s_mov_b64 s[2:3], 0
	s_waitcnt vmcnt(0)
	v_lshlrev_b32_e32 v3, 16, v3
	v_cvt_f16_f32_e32 v3, v3
	s_branch .LBB56_485
.LBB56_481:
	s_mov_b64 s[8:9], -1
                                        ; implicit-def: $vgpr3
	s_branch .LBB56_486
.LBB56_482:
	s_or_saveexec_b64 s[8:9], s[8:9]
	v_mov_b32_e32 v3, 0x7e00
	s_xor_b64 exec, exec, s[8:9]
	s_cbranch_execz .LBB56_463
.LBB56_483:
	v_cmp_ne_u16_e32 vcc, 0, v4
	s_andn2_b64 s[0:1], s[0:1], exec
	s_and_b64 s[10:11], vcc, exec
	s_or_b64 s[0:1], s[0:1], s[10:11]
	v_mov_b32_e32 v3, v4
	s_or_b64 exec, exec, s[8:9]
	s_and_saveexec_b64 s[8:9], s[0:1]
	s_cbranch_execnz .LBB56_464
	s_branch .LBB56_465
.LBB56_484:
	s_mov_b64 s[2:3], -1
                                        ; implicit-def: $vgpr3
.LBB56_485:
	s_mov_b64 s[8:9], 0
.LBB56_486:
	s_and_b64 vcc, exec, s[8:9]
	s_cbranch_vccz .LBB56_490
; %bb.487:
	s_cmp_eq_u32 s12, 11
	s_cbranch_scc0 .LBB56_489
; %bb.488:
	global_load_ubyte v3, v[1:2], off
	v_mov_b32_e32 v4, 0x3c00
	s_mov_b64 s[0:1], -1
	s_mov_b64 s[2:3], 0
	s_waitcnt vmcnt(0)
	v_cmp_ne_u16_e32 vcc, 0, v3
	v_cndmask_b32_e32 v3, 0, v4, vcc
	s_branch .LBB56_490
.LBB56_489:
	s_mov_b64 s[2:3], -1
                                        ; implicit-def: $vgpr3
.LBB56_490:
	s_branch .LBB56_293
.LBB56_491:
	s_cmp_lt_i32 s12, 5
	s_cbranch_scc1 .LBB56_496
; %bb.492:
	s_cmp_lt_i32 s12, 8
	s_cbranch_scc1 .LBB56_497
; %bb.493:
	;; [unrolled: 3-line block ×3, first 2 shown]
	s_cmp_gt_i32 s12, 9
	s_cbranch_scc0 .LBB56_499
; %bb.495:
	global_load_dwordx2 v[3:4], v[1:2], off
	s_movk_i32 s0, 0x1ff
	s_movk_i32 s1, 0xffe
	v_mov_b32_e32 v5, 0x7c00
	v_mov_b32_e32 v6, 0x7e00
	s_movk_i32 s8, 0x40f
	s_mov_b32 s9, 0x8000
	s_waitcnt vmcnt(0)
	v_and_or_b32 v3, v4, s0, v3
	v_cmp_ne_u32_e32 vcc, 0, v3
	v_lshrrev_b32_e32 v7, 8, v4
	v_bfe_u32 v9, v4, 20, 11
	v_cndmask_b32_e64 v3, 0, 1, vcc
	v_sub_u32_e32 v10, 0x3f1, v9
	v_and_or_b32 v3, v7, s1, v3
	v_add_u32_e32 v9, 0xfffffc10, v9
	v_med3_i32 v7, v10, 0, 13
	v_or_b32_e32 v10, 0x1000, v3
	v_cmp_ne_u32_e32 vcc, 0, v3
	v_lshl_or_b32 v11, v9, 12, v3
	v_cndmask_b32_e32 v3, v5, v6, vcc
	v_lshrrev_b32_e32 v6, v7, v10
	v_lshlrev_b32_e32 v7, v7, v6
	v_cmp_ne_u32_e32 vcc, v7, v10
	v_cndmask_b32_e64 v7, 0, 1, vcc
	v_or_b32_e32 v6, v6, v7
	v_cmp_gt_i32_e32 vcc, 1, v9
	v_cndmask_b32_e32 v6, v11, v6, vcc
	v_and_b32_e32 v7, 7, v6
	v_cmp_lt_i32_e32 vcc, 5, v7
	v_cndmask_b32_e64 v10, 0, 1, vcc
	v_cmp_eq_u32_e32 vcc, 3, v7
	v_cndmask_b32_e64 v7, 0, 1, vcc
	v_lshrrev_b32_e32 v6, 2, v6
	v_or_b32_e32 v7, v7, v10
	v_add_u32_e32 v6, v6, v7
	v_cmp_gt_i32_e32 vcc, 31, v9
	v_cndmask_b32_e32 v5, v5, v6, vcc
	v_cmp_eq_u32_e32 vcc, s8, v9
	v_lshrrev_b32_e32 v4, 16, v4
	v_cndmask_b32_e32 v3, v5, v3, vcc
	v_and_or_b32 v3, v4, s9, v3
	s_mov_b64 s[0:1], 0
	s_branch .LBB56_500
.LBB56_496:
	s_mov_b64 s[0:1], -1
                                        ; implicit-def: $vgpr3
	s_branch .LBB56_518
.LBB56_497:
	s_mov_b64 s[0:1], -1
                                        ; implicit-def: $vgpr3
	s_branch .LBB56_506
.LBB56_498:
	s_mov_b64 s[0:1], -1
                                        ; implicit-def: $vgpr3
	s_branch .LBB56_503
.LBB56_499:
	s_mov_b64 s[0:1], -1
                                        ; implicit-def: $vgpr3
.LBB56_500:
	s_andn2_b64 vcc, exec, s[0:1]
	s_cbranch_vccnz .LBB56_502
; %bb.501:
	global_load_dword v3, v[1:2], off
	s_waitcnt vmcnt(0)
	v_cvt_f16_f32_e32 v3, v3
.LBB56_502:
	s_mov_b64 s[0:1], 0
.LBB56_503:
	s_andn2_b64 vcc, exec, s[0:1]
	s_cbranch_vccnz .LBB56_505
; %bb.504:
	global_load_dword v3, v[1:2], off
.LBB56_505:
	s_mov_b64 s[0:1], 0
.LBB56_506:
	s_andn2_b64 vcc, exec, s[0:1]
	s_cbranch_vccnz .LBB56_517
; %bb.507:
	s_cmp_lt_i32 s12, 6
	s_cbranch_scc1 .LBB56_510
; %bb.508:
	s_cmp_gt_i32 s12, 6
	s_cbranch_scc0 .LBB56_511
; %bb.509:
	global_load_dwordx2 v[3:4], v[1:2], off
	s_movk_i32 s0, 0x1ff
	s_movk_i32 s1, 0xffe
	v_mov_b32_e32 v5, 0x7c00
	v_mov_b32_e32 v6, 0x7e00
	s_movk_i32 s8, 0x40f
	s_mov_b32 s9, 0x8000
	s_waitcnt vmcnt(0)
	v_and_or_b32 v3, v4, s0, v3
	v_cmp_ne_u32_e32 vcc, 0, v3
	v_lshrrev_b32_e32 v7, 8, v4
	v_bfe_u32 v9, v4, 20, 11
	v_cndmask_b32_e64 v3, 0, 1, vcc
	v_sub_u32_e32 v10, 0x3f1, v9
	v_and_or_b32 v3, v7, s1, v3
	v_add_u32_e32 v9, 0xfffffc10, v9
	v_med3_i32 v7, v10, 0, 13
	v_or_b32_e32 v10, 0x1000, v3
	v_cmp_ne_u32_e32 vcc, 0, v3
	v_lshl_or_b32 v11, v9, 12, v3
	v_cndmask_b32_e32 v3, v5, v6, vcc
	v_lshrrev_b32_e32 v6, v7, v10
	v_lshlrev_b32_e32 v7, v7, v6
	v_cmp_ne_u32_e32 vcc, v7, v10
	v_cndmask_b32_e64 v7, 0, 1, vcc
	v_or_b32_e32 v6, v6, v7
	v_cmp_gt_i32_e32 vcc, 1, v9
	v_cndmask_b32_e32 v6, v11, v6, vcc
	v_and_b32_e32 v7, 7, v6
	v_cmp_lt_i32_e32 vcc, 5, v7
	v_cndmask_b32_e64 v10, 0, 1, vcc
	v_cmp_eq_u32_e32 vcc, 3, v7
	v_cndmask_b32_e64 v7, 0, 1, vcc
	v_lshrrev_b32_e32 v6, 2, v6
	v_or_b32_e32 v7, v7, v10
	v_add_u32_e32 v6, v6, v7
	v_cmp_gt_i32_e32 vcc, 31, v9
	v_cndmask_b32_e32 v5, v5, v6, vcc
	v_cmp_eq_u32_e32 vcc, s8, v9
	v_lshrrev_b32_e32 v4, 16, v4
	v_cndmask_b32_e32 v3, v5, v3, vcc
	v_and_or_b32 v3, v4, s9, v3
	s_mov_b64 s[0:1], 0
	s_branch .LBB56_512
.LBB56_510:
	s_mov_b64 s[0:1], -1
                                        ; implicit-def: $vgpr3
	s_branch .LBB56_515
.LBB56_511:
	s_mov_b64 s[0:1], -1
                                        ; implicit-def: $vgpr3
.LBB56_512:
	s_andn2_b64 vcc, exec, s[0:1]
	s_cbranch_vccnz .LBB56_514
; %bb.513:
	global_load_dword v3, v[1:2], off
	s_waitcnt vmcnt(0)
	v_cvt_f16_f32_e32 v3, v3
.LBB56_514:
	s_mov_b64 s[0:1], 0
.LBB56_515:
	s_andn2_b64 vcc, exec, s[0:1]
	s_cbranch_vccnz .LBB56_517
; %bb.516:
	global_load_ushort v3, v[1:2], off
.LBB56_517:
	s_mov_b64 s[0:1], 0
.LBB56_518:
	s_andn2_b64 vcc, exec, s[0:1]
	s_cbranch_vccnz .LBB56_538
; %bb.519:
	s_cmp_lt_i32 s12, 2
	s_cbranch_scc1 .LBB56_523
; %bb.520:
	s_cmp_lt_i32 s12, 3
	s_cbranch_scc1 .LBB56_524
; %bb.521:
	s_cmp_gt_i32 s12, 3
	s_cbranch_scc0 .LBB56_525
; %bb.522:
	global_load_dwordx2 v[3:4], v[1:2], off
	s_mov_b64 s[0:1], 0
	s_waitcnt vmcnt(0)
	v_xor_b32_e32 v6, v3, v4
	v_ffbh_i32_e32 v5, v4
	v_ashrrev_i32_e32 v6, 31, v6
	v_add_u32_e32 v5, -1, v5
	v_add_u32_e32 v6, 32, v6
	v_min_u32_e32 v5, v5, v6
	v_lshlrev_b64 v[3:4], v5, v[3:4]
	v_min_u32_e32 v3, 1, v3
	v_or_b32_e32 v3, v4, v3
	v_cvt_f32_i32_e32 v3, v3
	v_sub_u32_e32 v4, 32, v5
	v_ldexp_f32 v3, v3, v4
	v_cvt_f16_f32_e32 v3, v3
	s_branch .LBB56_526
.LBB56_523:
	s_mov_b64 s[0:1], -1
                                        ; implicit-def: $vgpr3
	s_branch .LBB56_532
.LBB56_524:
	s_mov_b64 s[0:1], -1
                                        ; implicit-def: $vgpr3
	s_branch .LBB56_529
.LBB56_525:
	s_mov_b64 s[0:1], -1
                                        ; implicit-def: $vgpr3
.LBB56_526:
	s_andn2_b64 vcc, exec, s[0:1]
	s_cbranch_vccnz .LBB56_528
; %bb.527:
	global_load_dword v3, v[1:2], off
	s_waitcnt vmcnt(0)
	v_cvt_f32_i32_e32 v3, v3
	v_cvt_f16_f32_e32 v3, v3
.LBB56_528:
	s_mov_b64 s[0:1], 0
.LBB56_529:
	s_andn2_b64 vcc, exec, s[0:1]
	s_cbranch_vccnz .LBB56_531
; %bb.530:
	global_load_ushort v3, v[1:2], off
	s_waitcnt vmcnt(0)
	v_cvt_f16_i16_e32 v3, v3
.LBB56_531:
	s_mov_b64 s[0:1], 0
.LBB56_532:
	s_andn2_b64 vcc, exec, s[0:1]
	s_cbranch_vccnz .LBB56_538
; %bb.533:
	s_cmp_gt_i32 s12, 0
	s_cbranch_scc0 .LBB56_535
; %bb.534:
	global_load_sbyte v3, v[1:2], off
	s_mov_b64 s[0:1], 0
	s_waitcnt vmcnt(0)
	v_cvt_f16_i16_e32 v3, v3
	s_branch .LBB56_536
.LBB56_535:
	s_mov_b64 s[0:1], -1
                                        ; implicit-def: $vgpr3
.LBB56_536:
	s_andn2_b64 vcc, exec, s[0:1]
	s_cbranch_vccnz .LBB56_538
; %bb.537:
	global_load_ubyte v1, v[1:2], off
	s_waitcnt vmcnt(0)
	v_cvt_f16_u16_e32 v3, v1
.LBB56_538:
	s_branch .LBB56_294
.LBB56_539:
	s_mov_b64 s[8:9], 0
	s_mov_b64 s[0:1], s[52:53]
.LBB56_540:
                                        ; implicit-def: $vgpr8
.LBB56_541:
	s_andn2_b64 s[10:11], s[52:53], exec
	s_and_b64 s[0:1], s[0:1], exec
	s_or_b64 s[60:61], s[10:11], s[0:1]
	s_andn2_b64 s[0:1], s[54:55], exec
	s_and_b64 s[2:3], s[2:3], exec
	s_or_b64 s[58:59], s[0:1], s[2:3]
	s_orn2_b64 s[0:1], s[8:9], exec
.LBB56_542:
	s_or_b64 exec, exec, s[62:63]
	s_mov_b64 s[2:3], 0
	s_mov_b64 s[8:9], 0
	;; [unrolled: 1-line block ×3, first 2 shown]
                                        ; implicit-def: $vgpr1_vgpr2
                                        ; implicit-def: $vgpr0
                                        ; implicit-def: $vgpr4
	s_and_saveexec_b64 s[62:63], s[0:1]
	s_cbranch_execz .LBB56_917
; %bb.543:
	v_cmp_gt_i32_e32 vcc, s70, v8
	s_mov_b64 s[2:3], -1
	s_mov_b64 s[66:67], s[58:59]
	s_mov_b64 s[68:69], s[60:61]
	s_and_saveexec_b64 s[64:65], vcc
	s_cbranch_execz .LBB56_817
; %bb.544:
	s_andn2_b64 vcc, exec, s[40:41]
	s_cbranch_vccnz .LBB56_549
; %bb.545:
	s_andn2_b64 vcc, exec, s[50:51]
	s_cbranch_vccnz .LBB56_550
; %bb.546:
	s_add_i32 s76, s75, 1
	s_cmp_eq_u32 s72, 2
	s_cbranch_scc1 .LBB56_551
; %bb.547:
	s_and_b32 s71, s76, 28
	v_mov_b32_e32 v2, 0
	s_mov_b32 s77, 0
	s_mov_b64 s[66:67], s[34:35]
	s_mov_b64 s[68:69], s[48:49]
	v_mov_b32_e32 v0, 0
	v_mov_b32_e32 v1, v8
.LBB56_548:                             ; =>This Inner Loop Header: Depth=1
	s_load_dwordx8 s[16:23], s[66:67], 0x4
	s_load_dwordx4 s[0:3], s[66:67], 0x24
	s_load_dwordx8 s[8:15], s[68:69], 0x0
	s_add_u32 s66, s66, 48
	s_addc_u32 s67, s67, 0
	s_waitcnt vmcnt(0) lgkmcnt(0)
	v_mul_hi_u32 v3, s17, v1
	s_add_i32 s77, s77, 4
	s_add_u32 s68, s68, 32
	s_addc_u32 s69, s69, 0
	v_add_u32_e32 v3, v1, v3
	v_lshrrev_b32_e32 v3, s18, v3
	v_mul_lo_u32 v4, v3, s16
	v_mul_hi_u32 v5, s20, v3
	s_cmp_eq_u32 s71, s77
	v_sub_u32_e32 v1, v1, v4
	v_add_u32_e32 v4, v3, v5
	v_mul_lo_u32 v5, v1, s8
	v_mul_lo_u32 v6, v1, s9
	v_lshrrev_b32_e32 v1, s21, v4
	v_mul_lo_u32 v4, v1, s19
	v_mul_hi_u32 v7, s23, v1
	v_sub_u32_e32 v3, v3, v4
	v_add_u32_e32 v4, v1, v7
	v_lshrrev_b32_e32 v4, s0, v4
	v_mul_hi_u32 v9, s2, v4
	v_mul_lo_u32 v10, v4, s22
	v_mul_lo_u32 v7, v3, s10
	;; [unrolled: 1-line block ×3, first 2 shown]
	v_sub_u32_e32 v10, v1, v10
	v_add_u32_e32 v1, v4, v9
	v_lshrrev_b32_e32 v1, s3, v1
	v_mul_lo_u32 v9, v1, s1
	v_mul_lo_u32 v11, v10, s12
	;; [unrolled: 1-line block ×3, first 2 shown]
	v_add3_u32 v0, v5, v0, v7
	v_sub_u32_e32 v4, v4, v9
	v_mul_lo_u32 v9, v4, s14
	v_mul_lo_u32 v4, v4, s15
	v_add3_u32 v2, v6, v2, v3
	v_add3_u32 v0, v11, v0, v9
	;; [unrolled: 1-line block ×3, first 2 shown]
	s_cbranch_scc0 .LBB56_548
	s_branch .LBB56_552
.LBB56_549:
	s_mov_b64 s[0:1], -1
                                        ; implicit-def: $vgpr0
                                        ; implicit-def: $vgpr2
	s_branch .LBB56_556
.LBB56_550:
	v_mov_b32_e32 v0, 0
	v_mov_b32_e32 v2, 0
	s_branch .LBB56_555
.LBB56_551:
	s_mov_b32 s71, 0
	v_mov_b32_e32 v0, 0
	v_mov_b32_e32 v2, 0
	;; [unrolled: 1-line block ×3, first 2 shown]
.LBB56_552:
	s_and_b32 s8, s76, 3
	s_cmp_eq_u32 s8, 0
	s_cbranch_scc1 .LBB56_555
; %bb.553:
	s_lshl_b32 s0, s71, 3
	s_add_u32 s0, s34, s0
	s_addc_u32 s1, s35, 0
	s_add_u32 s0, s0, 0xc4
	s_addc_u32 s1, s1, 0
	s_mul_i32 s2, s71, 12
	s_add_u32 s2, s34, s2
	s_addc_u32 s3, s35, 0
.LBB56_554:                             ; =>This Inner Loop Header: Depth=1
	s_load_dwordx2 s[10:11], s[2:3], 0x4
	s_load_dword s9, s[2:3], 0xc
	s_load_dwordx2 s[12:13], s[0:1], 0x0
	s_add_u32 s2, s2, 12
	s_addc_u32 s3, s3, 0
	s_waitcnt vmcnt(0) lgkmcnt(0)
	v_mul_hi_u32 v3, s11, v1
	s_add_u32 s0, s0, 8
	s_addc_u32 s1, s1, 0
	s_add_i32 s8, s8, -1
	v_add_u32_e32 v3, v1, v3
	v_lshrrev_b32_e32 v4, s9, v3
	v_mul_lo_u32 v3, v4, s10
	s_cmp_lg_u32 s8, 0
	v_sub_u32_e32 v3, v1, v3
	v_mad_u64_u32 v[0:1], s[10:11], v3, s12, v[0:1]
	v_mad_u64_u32 v[2:3], s[10:11], v3, s13, v[2:3]
	v_mov_b32_e32 v1, v4
	s_cbranch_scc1 .LBB56_554
.LBB56_555:
	s_mov_b64 s[0:1], 0
.LBB56_556:
	s_andn2_b64 vcc, exec, s[0:1]
	s_cbranch_vccnz .LBB56_559
; %bb.557:
	s_waitcnt lgkmcnt(0)
	v_mul_hi_u32 v0, s37, v8
	s_andn2_b64 vcc, exec, s[46:47]
	v_add_u32_e32 v0, v8, v0
	v_lshrrev_b32_e32 v1, s38, v0
	v_mul_lo_u32 v0, v1, s36
	v_sub_u32_e32 v2, v8, v0
	v_mul_lo_u32 v0, v2, s28
	v_mul_lo_u32 v2, v2, s29
	s_cbranch_vccnz .LBB56_559
; %bb.558:
	s_waitcnt vmcnt(0)
	v_mul_hi_u32 v3, s44, v1
	v_add_u32_e32 v3, v1, v3
	v_lshrrev_b32_e32 v3, s45, v3
	v_mul_lo_u32 v3, v3, s39
	v_sub_u32_e32 v3, v1, v3
	v_mad_u64_u32 v[0:1], s[0:1], v3, s30, v[0:1]
	v_mad_u64_u32 v[2:3], s[0:1], v3, s31, v[2:3]
.LBB56_559:
	s_waitcnt vmcnt(0) lgkmcnt(0)
	v_mov_b32_e32 v3, s27
	s_and_b32 s12, 0xffff, s74
	v_add_co_u32_e32 v1, vcc, s26, v2
	s_cmp_lt_i32 s12, 11
	v_addc_co_u32_e32 v2, vcc, 0, v3, vcc
	s_cbranch_scc1 .LBB56_566
; %bb.560:
	s_cmp_gt_i32 s12, 25
	s_cbranch_scc0 .LBB56_567
; %bb.561:
	s_cmp_gt_i32 s12, 28
	s_cbranch_scc0 .LBB56_568
	;; [unrolled: 3-line block ×4, first 2 shown]
; %bb.564:
	s_cmp_eq_u32 s12, 46
	s_mov_b64 s[8:9], 0
	s_cbranch_scc0 .LBB56_575
; %bb.565:
	global_load_dword v3, v[1:2], off
	s_mov_b64 s[0:1], -1
	s_mov_b64 s[2:3], 0
	s_waitcnt vmcnt(0)
	v_lshlrev_b32_e32 v3, 16, v3
	v_cvt_f16_f32_e32 v3, v3
	s_branch .LBB56_576
.LBB56_566:
	s_mov_b64 s[8:9], -1
	s_mov_b64 s[0:1], 0
                                        ; implicit-def: $vgpr3
	s_mov_b64 s[2:3], s[58:59]
	s_branch .LBB56_641
.LBB56_567:
	s_mov_b64 s[8:9], -1
	s_mov_b64 s[0:1], 0
	s_mov_b64 s[2:3], s[58:59]
                                        ; implicit-def: $vgpr3
	s_branch .LBB56_605
.LBB56_568:
	s_mov_b64 s[8:9], -1
	s_mov_b64 s[0:1], 0
	s_mov_b64 s[2:3], s[58:59]
                                        ; implicit-def: $vgpr3
	s_branch .LBB56_586
.LBB56_569:
	s_mov_b64 s[8:9], -1
	s_mov_b64 s[0:1], 0
	s_mov_b64 s[2:3], s[58:59]
                                        ; implicit-def: $vgpr3
	s_branch .LBB56_581
.LBB56_570:
	s_andn2_saveexec_b64 s[12:13], s[12:13]
	s_cbranch_execz .LBB56_339
.LBB56_571:
	s_mov_b32 s16, 0x46000000
	v_add_f32_e64 v4, |v3|, s16
	v_and_b32_e32 v4, 0xff, v4
	v_cmp_ne_u32_e32 vcc, 0, v4
	s_andn2_b64 s[10:11], s[10:11], exec
	s_and_b64 s[16:17], vcc, exec
	s_or_b64 s[10:11], s[10:11], s[16:17]
	s_or_b64 exec, exec, s[12:13]
	v_mov_b32_e32 v5, 0
	s_and_saveexec_b64 s[12:13], s[10:11]
	s_cbranch_execnz .LBB56_340
	s_branch .LBB56_341
.LBB56_572:
	s_mov_b64 s[8:9], -1
	s_mov_b64 s[0:1], 0
	s_mov_b64 s[2:3], s[58:59]
                                        ; implicit-def: $vgpr3
	s_branch .LBB56_576
.LBB56_573:
	s_andn2_saveexec_b64 s[12:13], s[12:13]
	s_cbranch_execz .LBB56_352
.LBB56_574:
	s_mov_b32 s16, 0x42800000
	v_add_f32_e64 v4, |v3|, s16
	v_and_b32_e32 v4, 0xff, v4
	v_cmp_ne_u32_e32 vcc, 0, v4
	s_andn2_b64 s[10:11], s[10:11], exec
	s_and_b64 s[16:17], vcc, exec
	s_or_b64 s[10:11], s[10:11], s[16:17]
	s_or_b64 exec, exec, s[12:13]
	v_mov_b32_e32 v5, 0
	s_and_saveexec_b64 s[12:13], s[10:11]
	s_cbranch_execnz .LBB56_353
	s_branch .LBB56_354
.LBB56_575:
	s_mov_b64 s[2:3], -1
                                        ; implicit-def: $vgpr3
	s_mov_b64 s[0:1], 0
.LBB56_576:
	s_and_b64 vcc, exec, s[8:9]
	s_cbranch_vccz .LBB56_580
; %bb.577:
	s_cmp_eq_u32 s12, 44
	s_cbranch_scc0 .LBB56_579
; %bb.578:
	global_load_ubyte v3, v[1:2], off
	s_movk_i32 s2, 0xff
	v_mov_b32_e32 v5, 0x7e00
	s_mov_b64 s[0:1], -1
	s_waitcnt vmcnt(0)
	v_lshlrev_b32_e32 v4, 23, v3
	v_cvt_f16_f32_e32 v4, v4
	v_cmp_ne_u32_e32 vcc, s2, v3
	s_mov_b64 s[2:3], 0
	v_cndmask_b32_e32 v4, v5, v4, vcc
	v_cmp_ne_u32_e32 vcc, 0, v3
	v_cndmask_b32_e32 v3, 0, v4, vcc
	s_branch .LBB56_580
.LBB56_579:
	s_mov_b64 s[2:3], -1
                                        ; implicit-def: $vgpr3
.LBB56_580:
	s_mov_b64 s[8:9], 0
.LBB56_581:
	s_and_b64 vcc, exec, s[8:9]
	s_cbranch_vccz .LBB56_585
; %bb.582:
	s_cmp_eq_u32 s12, 29
	s_cbranch_scc0 .LBB56_584
; %bb.583:
	global_load_dwordx2 v[3:4], v[1:2], off
	s_mov_b64 s[0:1], -1
	s_mov_b64 s[2:3], 0
	s_mov_b64 s[8:9], 0
	s_waitcnt vmcnt(0)
	v_ffbh_u32_e32 v5, v4
	v_min_u32_e32 v5, 32, v5
	v_lshlrev_b64 v[3:4], v5, v[3:4]
	v_min_u32_e32 v3, 1, v3
	v_or_b32_e32 v3, v4, v3
	v_cvt_f32_u32_e32 v3, v3
	v_sub_u32_e32 v4, 32, v5
	v_ldexp_f32 v3, v3, v4
	v_cvt_f16_f32_e32 v3, v3
	s_branch .LBB56_586
.LBB56_584:
	s_mov_b64 s[2:3], -1
                                        ; implicit-def: $vgpr3
.LBB56_585:
	s_mov_b64 s[8:9], 0
.LBB56_586:
	s_and_b64 vcc, exec, s[8:9]
	s_cbranch_vccz .LBB56_604
; %bb.587:
	s_cmp_lt_i32 s12, 27
	s_cbranch_scc1 .LBB56_590
; %bb.588:
	s_cmp_gt_i32 s12, 27
	s_cbranch_scc0 .LBB56_591
; %bb.589:
	global_load_dword v3, v[1:2], off
	s_mov_b64 s[0:1], 0
	s_waitcnt vmcnt(0)
	v_cvt_f32_u32_e32 v3, v3
	v_cvt_f16_f32_e32 v3, v3
	s_branch .LBB56_592
.LBB56_590:
	s_mov_b64 s[0:1], -1
                                        ; implicit-def: $vgpr3
	s_branch .LBB56_595
.LBB56_591:
	s_mov_b64 s[0:1], -1
                                        ; implicit-def: $vgpr3
.LBB56_592:
	s_andn2_b64 vcc, exec, s[0:1]
	s_cbranch_vccnz .LBB56_594
; %bb.593:
	global_load_ushort v3, v[1:2], off
	s_waitcnt vmcnt(0)
	v_cvt_f16_u16_e32 v3, v3
.LBB56_594:
	s_mov_b64 s[0:1], 0
.LBB56_595:
	s_andn2_b64 vcc, exec, s[0:1]
	s_cbranch_vccnz .LBB56_603
; %bb.596:
	global_load_ubyte v4, v[1:2], off
	s_movk_i32 s0, 0x7f
	s_waitcnt vmcnt(0)
	v_cmp_lt_i16_e32 vcc, s0, v4
	s_mov_b64 s[0:1], 0
	s_and_saveexec_b64 s[8:9], vcc
	s_xor_b64 s[8:9], exec, s[8:9]
	s_cbranch_execz .LBB56_617
; %bb.597:
	s_movk_i32 s0, 0x80
	v_cmp_eq_u16_e32 vcc, s0, v4
	s_mov_b64 s[0:1], -1
	s_and_saveexec_b64 s[10:11], vcc
; %bb.598:
	s_xor_b64 s[0:1], exec, -1
; %bb.599:
	s_or_b64 exec, exec, s[10:11]
	s_and_b64 s[0:1], s[0:1], exec
	s_or_saveexec_b64 s[8:9], s[8:9]
	v_mov_b32_e32 v3, 0x7e00
	s_xor_b64 exec, exec, s[8:9]
	s_cbranch_execnz .LBB56_618
.LBB56_600:
	s_or_b64 exec, exec, s[8:9]
	s_and_saveexec_b64 s[8:9], s[0:1]
	s_cbranch_execz .LBB56_602
.LBB56_601:
	v_lshlrev_b32_e32 v3, 24, v4
	v_and_b32_e32 v4, 0xffff, v4
	v_and_b32_e32 v5, 7, v4
	v_ffbh_u32_e32 v7, v5
	v_min_u32_e32 v7, 32, v7
	v_subrev_u32_e32 v9, 28, v7
	v_bfe_u32 v6, v4, 3, 4
	v_lshlrev_b32_e32 v4, v9, v4
	v_sub_u32_e32 v7, 29, v7
	v_and_b32_e32 v4, 7, v4
	v_cmp_eq_u32_e32 vcc, 0, v6
	v_cndmask_b32_e32 v6, v6, v7, vcc
	v_cndmask_b32_e32 v4, v5, v4, vcc
	v_mov_b32_e32 v5, 0x3b800000
	v_lshlrev_b32_e32 v4, 20, v4
	v_and_b32_e32 v3, 0x80000000, v3
	v_lshl_add_u32 v5, v6, 23, v5
	v_or3_b32 v3, v3, v5, v4
	v_cvt_f16_f32_e32 v3, v3
.LBB56_602:
	s_or_b64 exec, exec, s[8:9]
.LBB56_603:
	s_mov_b64 s[0:1], -1
.LBB56_604:
	s_mov_b64 s[8:9], 0
.LBB56_605:
	s_and_b64 vcc, exec, s[8:9]
	s_cbranch_vccz .LBB56_640
; %bb.606:
	s_cmp_gt_i32 s12, 22
	s_cbranch_scc0 .LBB56_616
; %bb.607:
	s_cmp_lt_i32 s12, 24
	s_cbranch_scc1 .LBB56_619
; %bb.608:
	s_cmp_gt_i32 s12, 24
	s_cbranch_scc0 .LBB56_620
; %bb.609:
	global_load_ubyte v4, v[1:2], off
	s_movk_i32 s0, 0x7f
	s_waitcnt vmcnt(0)
	v_cmp_lt_i16_e32 vcc, s0, v4
	s_mov_b64 s[0:1], 0
	s_and_saveexec_b64 s[8:9], vcc
	s_xor_b64 s[8:9], exec, s[8:9]
	s_cbranch_execz .LBB56_632
; %bb.610:
	s_movk_i32 s0, 0x80
	v_cmp_eq_u16_e32 vcc, s0, v4
	s_mov_b64 s[0:1], -1
	s_and_saveexec_b64 s[10:11], vcc
; %bb.611:
	s_xor_b64 s[0:1], exec, -1
; %bb.612:
	s_or_b64 exec, exec, s[10:11]
	s_and_b64 s[0:1], s[0:1], exec
	s_or_saveexec_b64 s[8:9], s[8:9]
	v_mov_b32_e32 v3, 0x7e00
	s_xor_b64 exec, exec, s[8:9]
	s_cbranch_execnz .LBB56_633
.LBB56_613:
	s_or_b64 exec, exec, s[8:9]
	s_and_saveexec_b64 s[8:9], s[0:1]
	s_cbranch_execz .LBB56_615
.LBB56_614:
	v_lshlrev_b32_e32 v3, 24, v4
	v_and_b32_e32 v4, 0xffff, v4
	v_and_b32_e32 v5, 3, v4
	v_ffbh_u32_e32 v7, v5
	v_min_u32_e32 v7, 32, v7
	v_subrev_u32_e32 v9, 29, v7
	v_bfe_u32 v6, v4, 2, 5
	v_lshlrev_b32_e32 v4, v9, v4
	v_sub_u32_e32 v7, 30, v7
	v_and_b32_e32 v4, 3, v4
	v_cmp_eq_u32_e32 vcc, 0, v6
	v_cndmask_b32_e32 v6, v6, v7, vcc
	v_cndmask_b32_e32 v4, v5, v4, vcc
	v_mov_b32_e32 v5, 0x37800000
	v_lshlrev_b32_e32 v4, 21, v4
	v_and_b32_e32 v3, 0x80000000, v3
	v_lshl_add_u32 v5, v6, 23, v5
	v_or3_b32 v3, v3, v5, v4
	v_cvt_f16_f32_e32 v3, v3
.LBB56_615:
	s_or_b64 exec, exec, s[8:9]
	s_mov_b64 s[0:1], 0
	s_branch .LBB56_621
.LBB56_616:
	s_mov_b64 s[8:9], -1
                                        ; implicit-def: $vgpr3
	s_branch .LBB56_627
.LBB56_617:
	s_or_saveexec_b64 s[8:9], s[8:9]
	v_mov_b32_e32 v3, 0x7e00
	s_xor_b64 exec, exec, s[8:9]
	s_cbranch_execz .LBB56_600
.LBB56_618:
	v_cmp_ne_u16_e32 vcc, 0, v4
	s_andn2_b64 s[0:1], s[0:1], exec
	s_and_b64 s[10:11], vcc, exec
	s_or_b64 s[0:1], s[0:1], s[10:11]
	v_mov_b32_e32 v3, v4
	s_or_b64 exec, exec, s[8:9]
	s_and_saveexec_b64 s[8:9], s[0:1]
	s_cbranch_execnz .LBB56_601
	s_branch .LBB56_602
.LBB56_619:
	s_mov_b64 s[0:1], -1
                                        ; implicit-def: $vgpr3
	s_branch .LBB56_624
.LBB56_620:
	s_mov_b64 s[0:1], -1
                                        ; implicit-def: $vgpr3
.LBB56_621:
	s_and_b64 vcc, exec, s[0:1]
	s_cbranch_vccz .LBB56_623
; %bb.622:
	global_load_ubyte v3, v[1:2], off
	s_mov_b32 s0, 0x7f800000
	s_waitcnt vmcnt(0)
	v_lshlrev_b32_e32 v3, 24, v3
	v_and_b32_e32 v4, 0x7f000000, v3
	v_ffbh_u32_e32 v5, v4
	v_min_u32_e32 v5, 32, v5
	v_sub_u32_e64 v5, v5, 4 clamp
	v_lshlrev_b32_e32 v7, v5, v4
	v_lshlrev_b32_e32 v5, 23, v5
	v_lshrrev_b32_e32 v7, 4, v7
	v_add_u32_e32 v6, 0x1000000, v4
	v_sub_u32_e32 v5, v7, v5
	v_ashrrev_i32_e32 v6, 8, v6
	v_add_u32_e32 v5, 0x3c000000, v5
	v_and_or_b32 v5, v6, s0, v5
	v_cmp_ne_u32_e32 vcc, 0, v4
	v_cndmask_b32_e32 v4, 0, v5, vcc
	s_brev_b32 s0, 1
	v_and_or_b32 v3, v3, s0, v4
	v_cvt_f16_f32_e32 v3, v3
.LBB56_623:
	s_mov_b64 s[0:1], 0
.LBB56_624:
	s_andn2_b64 vcc, exec, s[0:1]
	s_cbranch_vccnz .LBB56_626
; %bb.625:
	global_load_ubyte v3, v[1:2], off
	s_movk_i32 s0, 0x7f00
	s_brev_b32 s1, 16
	s_waitcnt vmcnt(0)
	v_lshlrev_b16_e32 v4, 8, v3
	v_lshlrev_b32_e32 v3, 25, v3
	v_lshrrev_b32_e32 v5, 4, v3
	v_and_or_b32 v6, v4, s0, 0.5
	v_or_b32_e32 v5, 0x70000000, v5
	v_add_f32_e32 v6, -0.5, v6
	v_mul_f32_e32 v5, 0x7800000, v5
	v_cmp_gt_u32_e32 vcc, s1, v3
	v_bfe_i32 v4, v4, 0, 16
	v_cndmask_b32_e32 v3, v5, v6, vcc
	s_brev_b32 s0, 1
	v_and_or_b32 v3, v4, s0, v3
	v_cvt_f16_f32_e32 v3, v3
.LBB56_626:
	s_mov_b64 s[8:9], 0
	s_mov_b64 s[0:1], -1
.LBB56_627:
	s_andn2_b64 vcc, exec, s[8:9]
	s_cbranch_vccnz .LBB56_640
; %bb.628:
	s_cmp_gt_i32 s12, 14
	s_cbranch_scc0 .LBB56_631
; %bb.629:
	s_cmp_eq_u32 s12, 15
	s_cbranch_scc0 .LBB56_634
; %bb.630:
	global_load_ushort v3, v[1:2], off
	s_mov_b64 s[0:1], -1
	s_mov_b64 s[2:3], 0
	s_waitcnt vmcnt(0)
	v_lshlrev_b32_e32 v3, 16, v3
	v_cvt_f16_f32_e32 v3, v3
	s_branch .LBB56_635
.LBB56_631:
	s_mov_b64 s[8:9], -1
                                        ; implicit-def: $vgpr3
	s_branch .LBB56_636
.LBB56_632:
	s_or_saveexec_b64 s[8:9], s[8:9]
	v_mov_b32_e32 v3, 0x7e00
	s_xor_b64 exec, exec, s[8:9]
	s_cbranch_execz .LBB56_613
.LBB56_633:
	v_cmp_ne_u16_e32 vcc, 0, v4
	s_andn2_b64 s[0:1], s[0:1], exec
	s_and_b64 s[10:11], vcc, exec
	s_or_b64 s[0:1], s[0:1], s[10:11]
	v_mov_b32_e32 v3, v4
	s_or_b64 exec, exec, s[8:9]
	s_and_saveexec_b64 s[8:9], s[0:1]
	s_cbranch_execnz .LBB56_614
	s_branch .LBB56_615
.LBB56_634:
	s_mov_b64 s[2:3], -1
                                        ; implicit-def: $vgpr3
.LBB56_635:
	s_mov_b64 s[8:9], 0
.LBB56_636:
	s_and_b64 vcc, exec, s[8:9]
	s_cbranch_vccz .LBB56_640
; %bb.637:
	s_cmp_eq_u32 s12, 11
	s_cbranch_scc0 .LBB56_639
; %bb.638:
	global_load_ubyte v3, v[1:2], off
	v_mov_b32_e32 v4, 0x3c00
	s_mov_b64 s[0:1], -1
	s_mov_b64 s[2:3], 0
	s_waitcnt vmcnt(0)
	v_cmp_ne_u16_e32 vcc, 0, v3
	v_cndmask_b32_e32 v3, 0, v4, vcc
	s_branch .LBB56_640
.LBB56_639:
	s_mov_b64 s[2:3], -1
                                        ; implicit-def: $vgpr3
.LBB56_640:
	s_mov_b64 s[8:9], 0
.LBB56_641:
	s_and_b64 vcc, exec, s[8:9]
	s_cbranch_vccz .LBB56_690
; %bb.642:
	s_cmp_lt_i32 s12, 5
	s_cbranch_scc1 .LBB56_647
; %bb.643:
	s_cmp_lt_i32 s12, 8
	s_cbranch_scc1 .LBB56_648
	;; [unrolled: 3-line block ×3, first 2 shown]
; %bb.645:
	s_cmp_gt_i32 s12, 9
	s_cbranch_scc0 .LBB56_650
; %bb.646:
	global_load_dwordx2 v[3:4], v[1:2], off
	s_movk_i32 s0, 0x1ff
	s_movk_i32 s1, 0xffe
	v_mov_b32_e32 v5, 0x7c00
	v_mov_b32_e32 v6, 0x7e00
	s_movk_i32 s8, 0x40f
	s_mov_b32 s9, 0x8000
	s_waitcnt vmcnt(0)
	v_and_or_b32 v3, v4, s0, v3
	v_cmp_ne_u32_e32 vcc, 0, v3
	v_lshrrev_b32_e32 v7, 8, v4
	v_bfe_u32 v9, v4, 20, 11
	v_cndmask_b32_e64 v3, 0, 1, vcc
	v_sub_u32_e32 v10, 0x3f1, v9
	v_and_or_b32 v3, v7, s1, v3
	v_add_u32_e32 v9, 0xfffffc10, v9
	v_med3_i32 v7, v10, 0, 13
	v_or_b32_e32 v10, 0x1000, v3
	v_cmp_ne_u32_e32 vcc, 0, v3
	v_lshl_or_b32 v11, v9, 12, v3
	v_cndmask_b32_e32 v3, v5, v6, vcc
	v_lshrrev_b32_e32 v6, v7, v10
	v_lshlrev_b32_e32 v7, v7, v6
	v_cmp_ne_u32_e32 vcc, v7, v10
	v_cndmask_b32_e64 v7, 0, 1, vcc
	v_or_b32_e32 v6, v6, v7
	v_cmp_gt_i32_e32 vcc, 1, v9
	v_cndmask_b32_e32 v6, v11, v6, vcc
	v_and_b32_e32 v7, 7, v6
	v_cmp_lt_i32_e32 vcc, 5, v7
	v_cndmask_b32_e64 v10, 0, 1, vcc
	v_cmp_eq_u32_e32 vcc, 3, v7
	v_cndmask_b32_e64 v7, 0, 1, vcc
	v_lshrrev_b32_e32 v6, 2, v6
	v_or_b32_e32 v7, v7, v10
	v_add_u32_e32 v6, v6, v7
	v_cmp_gt_i32_e32 vcc, 31, v9
	v_cndmask_b32_e32 v5, v5, v6, vcc
	v_cmp_eq_u32_e32 vcc, s8, v9
	v_lshrrev_b32_e32 v4, 16, v4
	v_cndmask_b32_e32 v3, v5, v3, vcc
	v_and_or_b32 v3, v4, s9, v3
	s_mov_b64 s[0:1], 0
	s_branch .LBB56_651
.LBB56_647:
	s_mov_b64 s[0:1], -1
                                        ; implicit-def: $vgpr3
	s_branch .LBB56_669
.LBB56_648:
	s_mov_b64 s[0:1], -1
                                        ; implicit-def: $vgpr3
	s_branch .LBB56_657
.LBB56_649:
	s_mov_b64 s[0:1], -1
                                        ; implicit-def: $vgpr3
	s_branch .LBB56_654
.LBB56_650:
	s_mov_b64 s[0:1], -1
                                        ; implicit-def: $vgpr3
.LBB56_651:
	s_andn2_b64 vcc, exec, s[0:1]
	s_cbranch_vccnz .LBB56_653
; %bb.652:
	global_load_dword v3, v[1:2], off
	s_waitcnt vmcnt(0)
	v_cvt_f16_f32_e32 v3, v3
.LBB56_653:
	s_mov_b64 s[0:1], 0
.LBB56_654:
	s_andn2_b64 vcc, exec, s[0:1]
	s_cbranch_vccnz .LBB56_656
; %bb.655:
	global_load_dword v3, v[1:2], off
.LBB56_656:
	s_mov_b64 s[0:1], 0
.LBB56_657:
	s_andn2_b64 vcc, exec, s[0:1]
	s_cbranch_vccnz .LBB56_668
; %bb.658:
	s_cmp_lt_i32 s12, 6
	s_cbranch_scc1 .LBB56_661
; %bb.659:
	s_cmp_gt_i32 s12, 6
	s_cbranch_scc0 .LBB56_662
; %bb.660:
	global_load_dwordx2 v[3:4], v[1:2], off
	s_movk_i32 s0, 0x1ff
	s_movk_i32 s1, 0xffe
	v_mov_b32_e32 v5, 0x7c00
	v_mov_b32_e32 v6, 0x7e00
	s_movk_i32 s8, 0x40f
	s_mov_b32 s9, 0x8000
	s_waitcnt vmcnt(0)
	v_and_or_b32 v3, v4, s0, v3
	v_cmp_ne_u32_e32 vcc, 0, v3
	v_lshrrev_b32_e32 v7, 8, v4
	v_bfe_u32 v9, v4, 20, 11
	v_cndmask_b32_e64 v3, 0, 1, vcc
	v_sub_u32_e32 v10, 0x3f1, v9
	v_and_or_b32 v3, v7, s1, v3
	v_add_u32_e32 v9, 0xfffffc10, v9
	v_med3_i32 v7, v10, 0, 13
	v_or_b32_e32 v10, 0x1000, v3
	v_cmp_ne_u32_e32 vcc, 0, v3
	v_lshl_or_b32 v11, v9, 12, v3
	v_cndmask_b32_e32 v3, v5, v6, vcc
	v_lshrrev_b32_e32 v6, v7, v10
	v_lshlrev_b32_e32 v7, v7, v6
	v_cmp_ne_u32_e32 vcc, v7, v10
	v_cndmask_b32_e64 v7, 0, 1, vcc
	v_or_b32_e32 v6, v6, v7
	v_cmp_gt_i32_e32 vcc, 1, v9
	v_cndmask_b32_e32 v6, v11, v6, vcc
	v_and_b32_e32 v7, 7, v6
	v_cmp_lt_i32_e32 vcc, 5, v7
	v_cndmask_b32_e64 v10, 0, 1, vcc
	v_cmp_eq_u32_e32 vcc, 3, v7
	v_cndmask_b32_e64 v7, 0, 1, vcc
	v_lshrrev_b32_e32 v6, 2, v6
	v_or_b32_e32 v7, v7, v10
	v_add_u32_e32 v6, v6, v7
	v_cmp_gt_i32_e32 vcc, 31, v9
	v_cndmask_b32_e32 v5, v5, v6, vcc
	v_cmp_eq_u32_e32 vcc, s8, v9
	v_lshrrev_b32_e32 v4, 16, v4
	v_cndmask_b32_e32 v3, v5, v3, vcc
	v_and_or_b32 v3, v4, s9, v3
	s_mov_b64 s[0:1], 0
	s_branch .LBB56_663
.LBB56_661:
	s_mov_b64 s[0:1], -1
                                        ; implicit-def: $vgpr3
	s_branch .LBB56_666
.LBB56_662:
	s_mov_b64 s[0:1], -1
                                        ; implicit-def: $vgpr3
.LBB56_663:
	s_andn2_b64 vcc, exec, s[0:1]
	s_cbranch_vccnz .LBB56_665
; %bb.664:
	global_load_dword v3, v[1:2], off
	s_waitcnt vmcnt(0)
	v_cvt_f16_f32_e32 v3, v3
.LBB56_665:
	s_mov_b64 s[0:1], 0
.LBB56_666:
	s_andn2_b64 vcc, exec, s[0:1]
	s_cbranch_vccnz .LBB56_668
; %bb.667:
	global_load_ushort v3, v[1:2], off
.LBB56_668:
	s_mov_b64 s[0:1], 0
.LBB56_669:
	s_andn2_b64 vcc, exec, s[0:1]
	s_cbranch_vccnz .LBB56_689
; %bb.670:
	s_cmp_lt_i32 s12, 2
	s_cbranch_scc1 .LBB56_674
; %bb.671:
	s_cmp_lt_i32 s12, 3
	s_cbranch_scc1 .LBB56_675
; %bb.672:
	s_cmp_gt_i32 s12, 3
	s_cbranch_scc0 .LBB56_676
; %bb.673:
	global_load_dwordx2 v[3:4], v[1:2], off
	s_mov_b64 s[0:1], 0
	s_waitcnt vmcnt(0)
	v_xor_b32_e32 v6, v3, v4
	v_ffbh_i32_e32 v5, v4
	v_ashrrev_i32_e32 v6, 31, v6
	v_add_u32_e32 v5, -1, v5
	v_add_u32_e32 v6, 32, v6
	v_min_u32_e32 v5, v5, v6
	v_lshlrev_b64 v[3:4], v5, v[3:4]
	v_min_u32_e32 v3, 1, v3
	v_or_b32_e32 v3, v4, v3
	v_cvt_f32_i32_e32 v3, v3
	v_sub_u32_e32 v4, 32, v5
	v_ldexp_f32 v3, v3, v4
	v_cvt_f16_f32_e32 v3, v3
	s_branch .LBB56_677
.LBB56_674:
	s_mov_b64 s[0:1], -1
                                        ; implicit-def: $vgpr3
	s_branch .LBB56_683
.LBB56_675:
	s_mov_b64 s[0:1], -1
                                        ; implicit-def: $vgpr3
	s_branch .LBB56_680
.LBB56_676:
	s_mov_b64 s[0:1], -1
                                        ; implicit-def: $vgpr3
.LBB56_677:
	s_andn2_b64 vcc, exec, s[0:1]
	s_cbranch_vccnz .LBB56_679
; %bb.678:
	global_load_dword v3, v[1:2], off
	s_waitcnt vmcnt(0)
	v_cvt_f32_i32_e32 v3, v3
	v_cvt_f16_f32_e32 v3, v3
.LBB56_679:
	s_mov_b64 s[0:1], 0
.LBB56_680:
	s_andn2_b64 vcc, exec, s[0:1]
	s_cbranch_vccnz .LBB56_682
; %bb.681:
	global_load_ushort v3, v[1:2], off
	s_waitcnt vmcnt(0)
	v_cvt_f16_i16_e32 v3, v3
.LBB56_682:
	s_mov_b64 s[0:1], 0
.LBB56_683:
	s_andn2_b64 vcc, exec, s[0:1]
	s_cbranch_vccnz .LBB56_689
; %bb.684:
	s_cmp_gt_i32 s12, 0
	s_cbranch_scc0 .LBB56_686
; %bb.685:
	global_load_sbyte v3, v[1:2], off
	s_mov_b64 s[0:1], 0
	s_waitcnt vmcnt(0)
	v_cvt_f16_i16_e32 v3, v3
	s_branch .LBB56_687
.LBB56_686:
	s_mov_b64 s[0:1], -1
                                        ; implicit-def: $vgpr3
.LBB56_687:
	s_andn2_b64 vcc, exec, s[0:1]
	s_cbranch_vccnz .LBB56_689
; %bb.688:
	global_load_ubyte v1, v[1:2], off
	s_waitcnt vmcnt(0)
	v_cvt_f16_u16_e32 v3, v1
.LBB56_689:
	s_mov_b64 s[0:1], -1
.LBB56_690:
	s_andn2_b64 vcc, exec, s[0:1]
	s_cbranch_vccnz .LBB56_698
; %bb.691:
	s_waitcnt vmcnt(0)
	v_cvt_f32_f16_e32 v1, v3
	s_mov_b32 s0, -0.5
	v_mov_b32_e32 v2, 0.5
	v_fma_mix_f32 v2, |v3|, s0, v2 op_sel_hi:[1,0,0]
	v_mul_f32_e32 v4, v1, v1
	v_cmp_ge_f32_e64 vcc, |v1|, 0.5
	v_cndmask_b32_e32 v2, v4, v2, vcc
	v_mov_b32_e32 v4, 0x3c5fc5da
	v_fmac_f32_e32 v4, 0x3d1c21a7, v2
	v_mov_b32_e32 v5, 0x3d034c3c
	v_fmac_f32_e32 v5, v2, v4
	;; [unrolled: 2-line block ×4, first 2 shown]
	v_sqrt_f32_e32 v4, v2
	v_mov_b32_e32 v6, 0x3e2aaaac
	v_fmac_f32_e32 v6, v2, v5
	v_mul_f32_e32 v2, v2, v6
	v_fmac_f32_e32 v4, v4, v2
	v_add_f32_e32 v4, v4, v4
	v_sub_f32_e32 v4, 0x3fc90fdb, v4
	v_fma_mix_f32 v2, |v3|, v2, |v3| op_sel_hi:[1,0,1]
	v_cmp_lt_f32_e64 vcc, |v1|, 0.5
	v_cndmask_b32_e32 v1, v4, v2, vcc
	v_cvt_f16_f32_e32 v1, v1
	s_movk_i32 s0, 0x7fff
	s_and_b32 s14, s73, 0xff
	v_add_co_u32_e32 v0, vcc, s24, v0
	v_bfi_b32 v2, s0, v1, v3
	v_mov_b32_e32 v1, s25
	s_cmp_lt_i32 s14, 11
	v_addc_co_u32_e32 v1, vcc, 0, v1, vcc
	s_cbranch_scc1 .LBB56_699
; %bb.692:
	s_and_b32 s15, 0xffff, s14
	s_cmp_gt_i32 s15, 25
	s_cbranch_scc0 .LBB56_700
; %bb.693:
	s_cmp_gt_i32 s15, 28
	s_cbranch_scc0 .LBB56_701
; %bb.694:
	;; [unrolled: 3-line block ×4, first 2 shown]
	s_mov_b64 s[10:11], 0
	s_mov_b64 s[0:1], -1
	s_cmp_eq_u32 s15, 46
	s_mov_b64 s[8:9], 0
	s_cbranch_scc0 .LBB56_704
; %bb.697:
	v_cvt_f32_f16_e32 v3, v2
	s_movk_i32 s0, 0x7fff
	v_cmp_o_f16_e32 vcc, v2, v2
	v_mov_b32_e32 v4, 0x7fc0
	v_bfe_u32 v5, v3, 16, 1
	v_add3_u32 v3, v3, v5, s0
	v_cndmask_b32_sdwa v3, v4, v3, vcc dst_sel:DWORD dst_unused:UNUSED_PAD src0_sel:DWORD src1_sel:WORD_1
	global_store_dword v[0:1], v3, off
	s_mov_b64 s[8:9], -1
	s_mov_b64 s[0:1], 0
	s_branch .LBB56_704
.LBB56_698:
	s_mov_b64 s[8:9], 0
	s_mov_b64 s[0:1], s[60:61]
	s_branch .LBB56_815
.LBB56_699:
	s_mov_b64 s[10:11], -1
	s_mov_b64 s[8:9], 0
	s_mov_b64 s[0:1], s[60:61]
	s_branch .LBB56_773
.LBB56_700:
	s_mov_b64 s[10:11], -1
	s_mov_b64 s[8:9], 0
	s_mov_b64 s[0:1], s[60:61]
	s_branch .LBB56_731
.LBB56_701:
	s_mov_b64 s[10:11], -1
	s_mov_b64 s[8:9], 0
	s_mov_b64 s[0:1], s[60:61]
	s_branch .LBB56_714
.LBB56_702:
	s_mov_b64 s[10:11], -1
	s_mov_b64 s[8:9], 0
	s_mov_b64 s[0:1], s[60:61]
	s_branch .LBB56_710
.LBB56_703:
	s_mov_b64 s[10:11], -1
	s_mov_b64 s[8:9], 0
	s_mov_b64 s[0:1], s[60:61]
.LBB56_704:
	s_and_b64 vcc, exec, s[10:11]
	s_cbranch_vccz .LBB56_709
; %bb.705:
	s_cmp_eq_u32 s15, 44
	s_mov_b64 s[0:1], -1
	s_cbranch_scc0 .LBB56_709
; %bb.706:
	v_cvt_f32_f16_e32 v3, v2
	s_movk_i32 s0, 0xff
	v_mov_b32_e32 v5, 0xff
	v_bfe_u32 v4, v3, 23, 8
	v_cmp_ne_u32_e32 vcc, s0, v4
	s_and_saveexec_b64 s[8:9], vcc
; %bb.707:
	s_mov_b32 s0, 0x3fffff
	v_lshrrev_b32_e32 v5, 23, v3
	v_and_b32_e32 v6, 0x400000, v3
	v_and_or_b32 v3, v3, s0, v4
	v_cmp_ne_u32_e32 vcc, 0, v6
	v_cmp_ne_u32_e64 s[0:1], 0, v3
	s_and_b64 s[0:1], vcc, s[0:1]
	v_cndmask_b32_e64 v3, 0, 1, s[0:1]
	v_add_u32_e32 v5, v5, v3
; %bb.708:
	s_or_b64 exec, exec, s[8:9]
	s_mov_b64 s[8:9], -1
	s_mov_b64 s[0:1], 0
	global_store_byte v[0:1], v5, off
.LBB56_709:
	s_mov_b64 s[10:11], 0
.LBB56_710:
	s_and_b64 vcc, exec, s[10:11]
	s_cbranch_vccz .LBB56_713
; %bb.711:
	s_cmp_eq_u32 s15, 29
	s_mov_b64 s[0:1], -1
	s_cbranch_scc0 .LBB56_713
; %bb.712:
	v_cvt_f32_f16_e32 v3, v2
	v_mov_b32_e32 v4, 0
	s_mov_b64 s[8:9], -1
	s_mov_b64 s[0:1], 0
	v_cvt_u32_f32_e32 v3, v3
	s_mov_b64 s[10:11], 0
	global_store_dwordx2 v[0:1], v[3:4], off
	s_branch .LBB56_714
.LBB56_713:
	s_mov_b64 s[10:11], 0
.LBB56_714:
	s_and_b64 vcc, exec, s[10:11]
	s_cbranch_vccz .LBB56_730
; %bb.715:
	s_cmp_lt_i32 s15, 27
	s_mov_b64 s[8:9], -1
	s_cbranch_scc1 .LBB56_721
; %bb.716:
	s_cmp_gt_i32 s15, 27
	s_cbranch_scc0 .LBB56_718
; %bb.717:
	v_cvt_f32_f16_e32 v3, v2
	s_mov_b64 s[8:9], 0
	v_cvt_u32_f32_e32 v3, v3
	global_store_dword v[0:1], v3, off
.LBB56_718:
	s_andn2_b64 vcc, exec, s[8:9]
	s_cbranch_vccnz .LBB56_720
; %bb.719:
	v_cvt_u16_f16_e32 v3, v2
	global_store_short v[0:1], v3, off
.LBB56_720:
	s_mov_b64 s[8:9], 0
.LBB56_721:
	s_andn2_b64 vcc, exec, s[8:9]
	s_cbranch_vccnz .LBB56_729
; %bb.722:
	v_cvt_f32_f16_e32 v3, v2
	s_mov_b32 s8, 0x43800000
	v_mov_b32_e32 v5, 0x80
	v_and_b32_e32 v4, 0x7fffffff, v3
	v_cmp_gt_u32_e32 vcc, s8, v4
	s_and_saveexec_b64 s[8:9], vcc
	s_cbranch_execz .LBB56_728
; %bb.723:
	s_mov_b32 s10, 0x3bffffff
	v_cmp_lt_u32_e32 vcc, s10, v4
	s_mov_b64 s[10:11], 0
                                        ; implicit-def: $vgpr4
	s_and_saveexec_b64 s[12:13], vcc
	s_xor_b64 s[12:13], exec, s[12:13]
	s_cbranch_execz .LBB56_845
; %bb.724:
	v_bfe_u32 v4, v3, 20, 1
	s_mov_b32 s16, 0x487ffff
	v_add3_u32 v4, v3, v4, s16
	s_mov_b64 s[10:11], exec
	v_lshrrev_b32_e32 v4, 20, v4
	s_andn2_saveexec_b64 s[12:13], s[12:13]
	s_cbranch_execnz .LBB56_846
.LBB56_725:
	s_or_b64 exec, exec, s[12:13]
	v_mov_b32_e32 v5, 0
	s_and_saveexec_b64 s[12:13], s[10:11]
.LBB56_726:
	v_lshrrev_b32_e32 v3, 24, v3
	s_movk_i32 s10, 0x80
	v_and_or_b32 v5, v3, s10, v4
.LBB56_727:
	s_or_b64 exec, exec, s[12:13]
.LBB56_728:
	s_or_b64 exec, exec, s[8:9]
	global_store_byte v[0:1], v5, off
.LBB56_729:
	s_mov_b64 s[8:9], -1
.LBB56_730:
	s_mov_b64 s[10:11], 0
.LBB56_731:
	s_and_b64 vcc, exec, s[10:11]
	s_cbranch_vccz .LBB56_772
; %bb.732:
	s_cmp_gt_i32 s15, 22
	s_mov_b64 s[10:11], -1
	s_cbranch_scc0 .LBB56_764
; %bb.733:
	s_cmp_lt_i32 s15, 24
	s_mov_b64 s[8:9], -1
	s_cbranch_scc1 .LBB56_753
; %bb.734:
	s_cmp_gt_i32 s15, 24
	s_cbranch_scc0 .LBB56_742
; %bb.735:
	v_cvt_f32_f16_e32 v3, v2
	s_mov_b32 s8, 0x47800000
	v_mov_b32_e32 v5, 0x80
	v_and_b32_e32 v4, 0x7fffffff, v3
	v_cmp_gt_u32_e32 vcc, s8, v4
	s_and_saveexec_b64 s[8:9], vcc
	s_cbranch_execz .LBB56_741
; %bb.736:
	s_mov_b32 s10, 0x37ffffff
	v_cmp_lt_u32_e32 vcc, s10, v4
	s_mov_b64 s[10:11], 0
                                        ; implicit-def: $vgpr4
	s_and_saveexec_b64 s[12:13], vcc
	s_xor_b64 s[12:13], exec, s[12:13]
	s_cbranch_execz .LBB56_848
; %bb.737:
	v_bfe_u32 v4, v3, 21, 1
	s_mov_b32 s16, 0x88fffff
	v_add3_u32 v4, v3, v4, s16
	s_mov_b64 s[10:11], exec
	v_lshrrev_b32_e32 v4, 21, v4
	s_andn2_saveexec_b64 s[12:13], s[12:13]
	s_cbranch_execnz .LBB56_849
.LBB56_738:
	s_or_b64 exec, exec, s[12:13]
	v_mov_b32_e32 v5, 0
	s_and_saveexec_b64 s[12:13], s[10:11]
.LBB56_739:
	v_lshrrev_b32_e32 v3, 24, v3
	s_movk_i32 s10, 0x80
	v_and_or_b32 v5, v3, s10, v4
.LBB56_740:
	s_or_b64 exec, exec, s[12:13]
.LBB56_741:
	s_or_b64 exec, exec, s[8:9]
	s_mov_b64 s[8:9], 0
	global_store_byte v[0:1], v5, off
.LBB56_742:
	s_and_b64 vcc, exec, s[8:9]
	s_cbranch_vccz .LBB56_752
; %bb.743:
	v_cvt_f32_f16_e32 v3, v2
	s_mov_b32 s8, 0x43f00000
                                        ; implicit-def: $vgpr4
	v_and_b32_e32 v5, 0x7fffffff, v3
	v_cmp_gt_u32_e32 vcc, s8, v5
	s_and_saveexec_b64 s[8:9], vcc
	s_xor_b64 s[8:9], exec, s[8:9]
	s_cbranch_execz .LBB56_749
; %bb.744:
	s_mov_b32 s10, 0x3c7fffff
	v_cmp_lt_u32_e32 vcc, s10, v5
                                        ; implicit-def: $vgpr4
	s_and_saveexec_b64 s[10:11], vcc
	s_xor_b64 s[10:11], exec, s[10:11]
; %bb.745:
	v_bfe_u32 v4, v3, 20, 1
	s_mov_b32 s12, 0x407ffff
	v_add3_u32 v4, v3, v4, s12
	v_lshrrev_b32_e32 v5, 20, v4
	v_and_b32_e32 v4, 0xff00000, v4
	s_mov_b32 s12, 0x7f00000
	v_mov_b32_e32 v6, 0x7e
	v_cmp_ne_u32_e32 vcc, s12, v4
	v_cndmask_b32_e32 v4, v6, v5, vcc
; %bb.746:
	s_andn2_saveexec_b64 s[10:11], s[10:11]
; %bb.747:
	s_mov_b32 s12, 0x46800000
	v_add_f32_e64 v4, |v3|, s12
; %bb.748:
	s_or_b64 exec, exec, s[10:11]
                                        ; implicit-def: $vgpr5
.LBB56_749:
	s_andn2_saveexec_b64 s[8:9], s[8:9]
; %bb.750:
	s_mov_b32 s10, 0x7f800000
	v_mov_b32_e32 v4, 0x7e
	v_mov_b32_e32 v6, 0x7f
	v_cmp_lt_u32_e32 vcc, s10, v5
	v_cndmask_b32_e32 v4, v4, v6, vcc
; %bb.751:
	s_or_b64 exec, exec, s[8:9]
	v_lshrrev_b32_e32 v3, 24, v3
	s_movk_i32 s8, 0x80
	v_and_or_b32 v3, v3, s8, v4
	global_store_byte v[0:1], v3, off
.LBB56_752:
	s_mov_b64 s[8:9], 0
.LBB56_753:
	s_andn2_b64 vcc, exec, s[8:9]
	s_cbranch_vccnz .LBB56_763
; %bb.754:
	v_cvt_f32_f16_e32 v3, v2
	s_mov_b32 s8, 0x47800000
                                        ; implicit-def: $vgpr4
	v_and_b32_e32 v5, 0x7fffffff, v3
	v_cmp_gt_u32_e32 vcc, s8, v5
	s_and_saveexec_b64 s[8:9], vcc
	s_xor_b64 s[8:9], exec, s[8:9]
	s_cbranch_execz .LBB56_760
; %bb.755:
	s_mov_b32 s10, 0x387fffff
	v_cmp_lt_u32_e32 vcc, s10, v5
                                        ; implicit-def: $vgpr4
	s_and_saveexec_b64 s[10:11], vcc
	s_xor_b64 s[10:11], exec, s[10:11]
; %bb.756:
	v_bfe_u32 v4, v3, 21, 1
	s_mov_b32 s12, 0x80fffff
	v_add3_u32 v4, v3, v4, s12
	v_lshrrev_b32_e32 v4, 21, v4
; %bb.757:
	s_andn2_saveexec_b64 s[10:11], s[10:11]
; %bb.758:
	s_mov_b32 s12, 0x43000000
	v_add_f32_e64 v4, |v3|, s12
; %bb.759:
	s_or_b64 exec, exec, s[10:11]
                                        ; implicit-def: $vgpr5
.LBB56_760:
	s_andn2_saveexec_b64 s[8:9], s[8:9]
; %bb.761:
	s_mov_b32 s10, 0x7f800000
	v_mov_b32_e32 v4, 0x7c
	v_mov_b32_e32 v6, 0x7f
	v_cmp_lt_u32_e32 vcc, s10, v5
	v_cndmask_b32_e32 v4, v4, v6, vcc
; %bb.762:
	s_or_b64 exec, exec, s[8:9]
	v_lshrrev_b32_e32 v3, 24, v3
	s_movk_i32 s8, 0x80
	v_and_or_b32 v3, v3, s8, v4
	global_store_byte v[0:1], v3, off
.LBB56_763:
	s_mov_b64 s[10:11], 0
	s_mov_b64 s[8:9], -1
.LBB56_764:
	s_andn2_b64 vcc, exec, s[10:11]
	s_cbranch_vccnz .LBB56_772
; %bb.765:
	s_cmp_gt_i32 s15, 14
	s_mov_b64 s[10:11], -1
	s_cbranch_scc0 .LBB56_769
; %bb.766:
	s_cmp_eq_u32 s15, 15
	s_mov_b64 s[0:1], -1
	s_cbranch_scc0 .LBB56_768
; %bb.767:
	v_cvt_f32_f16_e32 v3, v2
	s_movk_i32 s0, 0x7fff
	v_cmp_o_f16_e32 vcc, v2, v2
	v_mov_b32_e32 v4, 0x7fc0
	v_bfe_u32 v5, v3, 16, 1
	v_add3_u32 v3, v3, v5, s0
	v_cndmask_b32_sdwa v3, v4, v3, vcc dst_sel:DWORD dst_unused:UNUSED_PAD src0_sel:DWORD src1_sel:WORD_1
	global_store_short v[0:1], v3, off
	s_mov_b64 s[8:9], -1
	s_mov_b64 s[0:1], 0
.LBB56_768:
	s_mov_b64 s[10:11], 0
.LBB56_769:
	s_and_b64 vcc, exec, s[10:11]
	s_cbranch_vccz .LBB56_772
; %bb.770:
	s_cmp_eq_u32 s15, 11
	s_mov_b64 s[0:1], -1
	s_cbranch_scc0 .LBB56_772
; %bb.771:
	v_cmp_neq_f16_e32 vcc, 0, v2
	v_cndmask_b32_e64 v3, 0, 1, vcc
	s_mov_b64 s[8:9], -1
	s_mov_b64 s[0:1], 0
	global_store_byte v[0:1], v3, off
.LBB56_772:
	s_mov_b64 s[10:11], 0
.LBB56_773:
	s_and_b64 vcc, exec, s[10:11]
	s_cbranch_vccz .LBB56_812
; %bb.774:
	s_and_b32 s10, 0xffff, s14
	s_cmp_lt_i32 s10, 5
	s_mov_b64 s[8:9], -1
	s_cbranch_scc1 .LBB56_795
; %bb.775:
	s_cmp_lt_i32 s10, 8
	s_cbranch_scc1 .LBB56_785
; %bb.776:
	s_cmp_lt_i32 s10, 9
	s_cbranch_scc1 .LBB56_782
; %bb.777:
	s_cmp_gt_i32 s10, 9
	s_cbranch_scc0 .LBB56_779
; %bb.778:
	v_cvt_f32_f16_e32 v3, v2
	v_mov_b32_e32 v5, 0
	v_mov_b32_e32 v6, v5
	s_mov_b64 s[8:9], 0
	v_cvt_f64_f32_e32 v[3:4], v3
	global_store_dwordx4 v[0:1], v[3:6], off
.LBB56_779:
	s_andn2_b64 vcc, exec, s[8:9]
	s_cbranch_vccnz .LBB56_781
; %bb.780:
	v_cvt_f32_f16_e32 v3, v2
	v_mov_b32_e32 v4, 0
	global_store_dwordx2 v[0:1], v[3:4], off
.LBB56_781:
	s_mov_b64 s[8:9], 0
.LBB56_782:
	s_andn2_b64 vcc, exec, s[8:9]
	s_cbranch_vccnz .LBB56_784
; %bb.783:
	v_and_b32_e32 v3, 0xffff, v2
	global_store_dword v[0:1], v3, off
.LBB56_784:
	s_mov_b64 s[8:9], 0
.LBB56_785:
	s_andn2_b64 vcc, exec, s[8:9]
	s_cbranch_vccnz .LBB56_794
; %bb.786:
	s_cmp_lt_i32 s10, 6
	s_mov_b64 s[8:9], -1
	s_cbranch_scc1 .LBB56_792
; %bb.787:
	s_cmp_gt_i32 s10, 6
	s_cbranch_scc0 .LBB56_789
; %bb.788:
	v_cvt_f32_f16_e32 v3, v2
	s_mov_b64 s[8:9], 0
	v_cvt_f64_f32_e32 v[3:4], v3
	global_store_dwordx2 v[0:1], v[3:4], off
.LBB56_789:
	s_andn2_b64 vcc, exec, s[8:9]
	s_cbranch_vccnz .LBB56_791
; %bb.790:
	v_cvt_f32_f16_e32 v3, v2
	global_store_dword v[0:1], v3, off
.LBB56_791:
	s_mov_b64 s[8:9], 0
.LBB56_792:
	s_andn2_b64 vcc, exec, s[8:9]
	s_cbranch_vccnz .LBB56_794
; %bb.793:
	global_store_short v[0:1], v2, off
.LBB56_794:
	s_mov_b64 s[8:9], 0
.LBB56_795:
	s_andn2_b64 vcc, exec, s[8:9]
	s_cbranch_vccnz .LBB56_811
; %bb.796:
	s_cmp_lt_i32 s10, 2
	s_mov_b64 s[8:9], -1
	s_cbranch_scc1 .LBB56_806
; %bb.797:
	s_cmp_lt_i32 s10, 3
	s_cbranch_scc1 .LBB56_803
; %bb.798:
	s_cmp_gt_i32 s10, 3
	s_cbranch_scc0 .LBB56_800
; %bb.799:
	v_cvt_f32_f16_e32 v3, v2
	s_mov_b64 s[8:9], 0
	v_cvt_i32_f32_e32 v3, v3
	v_ashrrev_i32_e32 v4, 31, v3
	global_store_dwordx2 v[0:1], v[3:4], off
.LBB56_800:
	s_andn2_b64 vcc, exec, s[8:9]
	s_cbranch_vccnz .LBB56_802
; %bb.801:
	v_cvt_f32_f16_e32 v3, v2
	v_cvt_i32_f32_e32 v3, v3
	global_store_dword v[0:1], v3, off
.LBB56_802:
	s_mov_b64 s[8:9], 0
.LBB56_803:
	s_andn2_b64 vcc, exec, s[8:9]
	s_cbranch_vccnz .LBB56_805
; %bb.804:
	v_cvt_i16_f16_e32 v3, v2
	global_store_short v[0:1], v3, off
.LBB56_805:
	s_mov_b64 s[8:9], 0
.LBB56_806:
	s_andn2_b64 vcc, exec, s[8:9]
	s_cbranch_vccnz .LBB56_811
; %bb.807:
	s_cmp_gt_i32 s10, 0
	s_mov_b64 s[8:9], -1
	s_cbranch_scc0 .LBB56_809
; %bb.808:
	v_cvt_i16_f16_e32 v3, v2
	s_mov_b64 s[8:9], 0
	global_store_byte v[0:1], v3, off
.LBB56_809:
	s_andn2_b64 vcc, exec, s[8:9]
	s_cbranch_vccnz .LBB56_811
; %bb.810:
	v_cvt_f32_f16_e32 v2, v2
	v_cvt_i32_f32_e32 v2, v2
	global_store_byte v[0:1], v2, off
.LBB56_811:
	s_mov_b64 s[8:9], -1
.LBB56_812:
	s_andn2_b64 vcc, exec, s[8:9]
	s_cbranch_vccnz .LBB56_814
; %bb.813:
	v_add_u32_e32 v8, 0x80, v8
	s_mov_b64 s[8:9], -1
	s_branch .LBB56_816
.LBB56_814:
	s_mov_b64 s[8:9], 0
.LBB56_815:
                                        ; implicit-def: $vgpr8
.LBB56_816:
	s_andn2_b64 s[10:11], s[60:61], exec
	s_and_b64 s[0:1], s[0:1], exec
	s_or_b64 s[68:69], s[10:11], s[0:1]
	s_andn2_b64 s[0:1], s[58:59], exec
	s_and_b64 s[2:3], s[2:3], exec
	s_or_b64 s[66:67], s[0:1], s[2:3]
	s_orn2_b64 s[2:3], s[8:9], exec
.LBB56_817:
	s_or_b64 exec, exec, s[64:65]
	s_mov_b64 s[0:1], 0
	s_mov_b64 s[8:9], 0
	;; [unrolled: 1-line block ×3, first 2 shown]
                                        ; implicit-def: $vgpr1_vgpr2
                                        ; implicit-def: $vgpr0
                                        ; implicit-def: $vgpr4
	s_and_saveexec_b64 s[64:65], s[2:3]
	s_cbranch_execz .LBB56_916
; %bb.818:
	v_cmp_gt_i32_e32 vcc, s70, v8
	s_mov_b64 s[2:3], 0
	s_mov_b64 s[12:13], s[66:67]
                                        ; implicit-def: $vgpr1_vgpr2
                                        ; implicit-def: $vgpr0
                                        ; implicit-def: $vgpr4
	s_and_saveexec_b64 s[70:71], vcc
	s_cbranch_execz .LBB56_915
; %bb.819:
	s_andn2_b64 vcc, exec, s[40:41]
	s_cbranch_vccnz .LBB56_824
; %bb.820:
	s_andn2_b64 vcc, exec, s[50:51]
	s_cbranch_vccnz .LBB56_825
; %bb.821:
	s_add_i32 s76, s75, 1
	s_cmp_eq_u32 s72, 2
	s_cbranch_scc1 .LBB56_826
; %bb.822:
	s_and_b32 s75, s76, 28
	v_mov_b32_e32 v2, 0
	s_mov_b32 s77, 0
	s_mov_b64 s[50:51], s[34:35]
	v_mov_b32_e32 v0, 0
	v_mov_b32_e32 v1, v8
.LBB56_823:                             ; =>This Inner Loop Header: Depth=1
	s_load_dwordx8 s[16:23], s[50:51], 0x4
	s_load_dwordx4 s[0:3], s[50:51], 0x24
	s_load_dwordx8 s[8:15], s[48:49], 0x0
	s_add_u32 s50, s50, 48
	s_addc_u32 s51, s51, 0
	s_waitcnt vmcnt(0) lgkmcnt(0)
	v_mul_hi_u32 v3, s17, v1
	s_add_i32 s77, s77, 4
	s_add_u32 s48, s48, 32
	s_addc_u32 s49, s49, 0
	v_add_u32_e32 v3, v1, v3
	v_lshrrev_b32_e32 v3, s18, v3
	v_mul_lo_u32 v4, v3, s16
	v_mul_hi_u32 v5, s20, v3
	s_cmp_eq_u32 s75, s77
	v_sub_u32_e32 v1, v1, v4
	v_add_u32_e32 v4, v3, v5
	v_mul_lo_u32 v5, v1, s8
	v_mul_lo_u32 v6, v1, s9
	v_lshrrev_b32_e32 v1, s21, v4
	v_mul_lo_u32 v4, v1, s19
	v_mul_hi_u32 v7, s23, v1
	v_sub_u32_e32 v3, v3, v4
	v_add_u32_e32 v4, v1, v7
	v_lshrrev_b32_e32 v4, s0, v4
	v_mul_hi_u32 v9, s2, v4
	v_mul_lo_u32 v10, v4, s22
	v_mul_lo_u32 v7, v3, s10
	v_mul_lo_u32 v3, v3, s11
	v_sub_u32_e32 v10, v1, v10
	v_add_u32_e32 v1, v4, v9
	v_lshrrev_b32_e32 v1, s3, v1
	v_mul_lo_u32 v9, v1, s1
	v_mul_lo_u32 v11, v10, s12
	;; [unrolled: 1-line block ×3, first 2 shown]
	v_add3_u32 v0, v5, v0, v7
	v_sub_u32_e32 v4, v4, v9
	v_mul_lo_u32 v9, v4, s14
	v_mul_lo_u32 v4, v4, s15
	v_add3_u32 v2, v6, v2, v3
	v_add3_u32 v0, v11, v0, v9
	;; [unrolled: 1-line block ×3, first 2 shown]
	s_cbranch_scc0 .LBB56_823
	s_branch .LBB56_827
.LBB56_824:
	s_mov_b64 s[0:1], -1
                                        ; implicit-def: $vgpr0
                                        ; implicit-def: $vgpr2
	s_branch .LBB56_831
.LBB56_825:
	v_mov_b32_e32 v0, 0
	v_mov_b32_e32 v2, 0
	s_branch .LBB56_830
.LBB56_826:
	s_mov_b32 s75, 0
	v_mov_b32_e32 v0, 0
	v_mov_b32_e32 v2, 0
	v_mov_b32_e32 v1, v8
.LBB56_827:
	s_and_b32 s8, s76, 3
	s_cmp_eq_u32 s8, 0
	s_cbranch_scc1 .LBB56_830
; %bb.828:
	s_lshl_b32 s0, s75, 3
	s_add_u32 s0, s34, s0
	s_addc_u32 s1, s35, 0
	s_add_u32 s0, s0, 0xc4
	s_addc_u32 s1, s1, 0
	s_mul_i32 s2, s75, 12
	s_add_u32 s2, s34, s2
	s_addc_u32 s3, s35, 0
.LBB56_829:                             ; =>This Inner Loop Header: Depth=1
	s_load_dwordx2 s[10:11], s[2:3], 0x4
	s_load_dword s9, s[2:3], 0xc
	s_load_dwordx2 s[12:13], s[0:1], 0x0
	s_add_u32 s2, s2, 12
	s_addc_u32 s3, s3, 0
	s_waitcnt vmcnt(0) lgkmcnt(0)
	v_mul_hi_u32 v3, s11, v1
	s_add_u32 s0, s0, 8
	s_addc_u32 s1, s1, 0
	s_add_i32 s8, s8, -1
	v_add_u32_e32 v3, v1, v3
	v_lshrrev_b32_e32 v4, s9, v3
	v_mul_lo_u32 v3, v4, s10
	s_cmp_lg_u32 s8, 0
	v_sub_u32_e32 v3, v1, v3
	v_mad_u64_u32 v[0:1], s[10:11], v3, s12, v[0:1]
	v_mad_u64_u32 v[2:3], s[10:11], v3, s13, v[2:3]
	v_mov_b32_e32 v1, v4
	s_cbranch_scc1 .LBB56_829
.LBB56_830:
	s_mov_b64 s[0:1], 0
.LBB56_831:
	s_andn2_b64 vcc, exec, s[0:1]
	s_cbranch_vccnz .LBB56_834
; %bb.832:
	s_waitcnt lgkmcnt(0)
	v_mul_hi_u32 v0, s37, v8
	s_andn2_b64 vcc, exec, s[46:47]
	v_add_u32_e32 v0, v8, v0
	v_lshrrev_b32_e32 v1, s38, v0
	v_mul_lo_u32 v0, v1, s36
	v_sub_u32_e32 v2, v8, v0
	v_mul_lo_u32 v0, v2, s28
	v_mul_lo_u32 v2, v2, s29
	s_cbranch_vccnz .LBB56_834
; %bb.833:
	s_waitcnt vmcnt(0)
	v_mul_hi_u32 v3, s44, v1
	v_add_u32_e32 v3, v1, v3
	v_lshrrev_b32_e32 v3, s45, v3
	v_mul_lo_u32 v3, v3, s39
	v_sub_u32_e32 v3, v1, v3
	v_mad_u64_u32 v[0:1], s[0:1], v3, s30, v[0:1]
	v_mad_u64_u32 v[2:3], s[0:1], v3, s31, v[2:3]
.LBB56_834:
	s_waitcnt vmcnt(0) lgkmcnt(0)
	v_mov_b32_e32 v3, s27
	s_and_b32 s14, 0xffff, s74
	v_add_co_u32_e32 v1, vcc, s26, v2
	s_cmp_lt_i32 s14, 11
	v_addc_co_u32_e32 v2, vcc, 0, v3, vcc
	s_cbranch_scc1 .LBB56_841
; %bb.835:
	s_cmp_gt_i32 s14, 25
	s_mov_b64 s[2:3], 0
	s_cbranch_scc0 .LBB56_842
; %bb.836:
	s_cmp_gt_i32 s14, 28
	s_cbranch_scc0 .LBB56_843
; %bb.837:
	s_cmp_gt_i32 s14, 43
	;; [unrolled: 3-line block ×3, first 2 shown]
	s_cbranch_scc0 .LBB56_847
; %bb.839:
	s_cmp_eq_u32 s14, 46
	s_mov_b64 s[10:11], 0
	s_cbranch_scc0 .LBB56_850
; %bb.840:
	global_load_dword v3, v[1:2], off
	s_mov_b64 s[0:1], 0
	s_mov_b64 s[8:9], -1
	s_waitcnt vmcnt(0)
	v_lshlrev_b32_e32 v3, 16, v3
	v_cvt_f16_f32_e32 v4, v3
	s_branch .LBB56_851
.LBB56_841:
	s_mov_b64 s[12:13], -1
	s_mov_b64 s[8:9], 0
	s_mov_b64 s[2:3], 0
	;; [unrolled: 1-line block ×3, first 2 shown]
                                        ; implicit-def: $vgpr4
	s_branch .LBB56_914
.LBB56_842:
	s_mov_b64 s[10:11], -1
	s_mov_b64 s[8:9], 0
	s_mov_b64 s[0:1], s[66:67]
                                        ; implicit-def: $vgpr4
	s_branch .LBB56_880
.LBB56_843:
	s_mov_b64 s[10:11], -1
	s_mov_b64 s[8:9], 0
	s_mov_b64 s[0:1], s[66:67]
                                        ; implicit-def: $vgpr4
	s_branch .LBB56_861
.LBB56_844:
	s_mov_b64 s[10:11], -1
	s_mov_b64 s[8:9], 0
	s_mov_b64 s[0:1], s[66:67]
                                        ; implicit-def: $vgpr4
	s_branch .LBB56_856
.LBB56_845:
	s_andn2_saveexec_b64 s[12:13], s[12:13]
	s_cbranch_execz .LBB56_725
.LBB56_846:
	s_mov_b32 s16, 0x46000000
	v_add_f32_e64 v4, |v3|, s16
	v_and_b32_e32 v4, 0xff, v4
	v_cmp_ne_u32_e32 vcc, 0, v4
	s_andn2_b64 s[10:11], s[10:11], exec
	s_and_b64 s[16:17], vcc, exec
	s_or_b64 s[10:11], s[10:11], s[16:17]
	s_or_b64 exec, exec, s[12:13]
	v_mov_b32_e32 v5, 0
	s_and_saveexec_b64 s[12:13], s[10:11]
	s_cbranch_execnz .LBB56_726
	s_branch .LBB56_727
.LBB56_847:
	s_mov_b64 s[10:11], -1
	s_mov_b64 s[8:9], 0
	s_mov_b64 s[0:1], s[66:67]
                                        ; implicit-def: $vgpr4
	s_branch .LBB56_851
.LBB56_848:
	s_andn2_saveexec_b64 s[12:13], s[12:13]
	s_cbranch_execz .LBB56_738
.LBB56_849:
	s_mov_b32 s16, 0x42800000
	v_add_f32_e64 v4, |v3|, s16
	v_and_b32_e32 v4, 0xff, v4
	v_cmp_ne_u32_e32 vcc, 0, v4
	s_andn2_b64 s[10:11], s[10:11], exec
	s_and_b64 s[16:17], vcc, exec
	s_or_b64 s[10:11], s[10:11], s[16:17]
	s_or_b64 exec, exec, s[12:13]
	v_mov_b32_e32 v5, 0
	s_and_saveexec_b64 s[12:13], s[10:11]
	s_cbranch_execnz .LBB56_739
	s_branch .LBB56_740
.LBB56_850:
	s_mov_b64 s[0:1], -1
                                        ; implicit-def: $vgpr4
	s_mov_b64 s[8:9], 0
.LBB56_851:
	s_and_b64 vcc, exec, s[10:11]
	s_cbranch_vccz .LBB56_855
; %bb.852:
	s_cmp_eq_u32 s14, 44
	s_cbranch_scc0 .LBB56_854
; %bb.853:
	global_load_ubyte v3, v[1:2], off
	s_movk_i32 s8, 0xff
	v_mov_b32_e32 v5, 0x7e00
	s_mov_b64 s[0:1], 0
	s_waitcnt vmcnt(0)
	v_lshlrev_b32_e32 v4, 23, v3
	v_cvt_f16_f32_e32 v4, v4
	v_cmp_ne_u32_e32 vcc, s8, v3
	s_mov_b64 s[8:9], -1
	v_cndmask_b32_e32 v4, v5, v4, vcc
	v_cmp_ne_u32_e32 vcc, 0, v3
	v_cndmask_b32_e32 v4, 0, v4, vcc
	s_branch .LBB56_855
.LBB56_854:
	s_mov_b64 s[0:1], -1
                                        ; implicit-def: $vgpr4
.LBB56_855:
	s_mov_b64 s[10:11], 0
.LBB56_856:
	s_and_b64 vcc, exec, s[10:11]
	s_cbranch_vccz .LBB56_860
; %bb.857:
	s_cmp_eq_u32 s14, 29
	s_cbranch_scc0 .LBB56_859
; %bb.858:
	global_load_dwordx2 v[3:4], v[1:2], off
	s_mov_b64 s[0:1], 0
	s_mov_b64 s[8:9], -1
	s_mov_b64 s[10:11], 0
	s_waitcnt vmcnt(0)
	v_ffbh_u32_e32 v5, v4
	v_min_u32_e32 v5, 32, v5
	v_lshlrev_b64 v[3:4], v5, v[3:4]
	v_min_u32_e32 v3, 1, v3
	v_or_b32_e32 v3, v4, v3
	v_cvt_f32_u32_e32 v3, v3
	v_sub_u32_e32 v4, 32, v5
	v_ldexp_f32 v3, v3, v4
	v_cvt_f16_f32_e32 v4, v3
	s_branch .LBB56_861
.LBB56_859:
	s_mov_b64 s[0:1], -1
                                        ; implicit-def: $vgpr4
.LBB56_860:
	s_mov_b64 s[10:11], 0
.LBB56_861:
	s_and_b64 vcc, exec, s[10:11]
	s_cbranch_vccz .LBB56_879
; %bb.862:
	s_cmp_lt_i32 s14, 27
	s_cbranch_scc1 .LBB56_865
; %bb.863:
	s_cmp_gt_i32 s14, 27
	s_cbranch_scc0 .LBB56_866
; %bb.864:
	global_load_dword v3, v[1:2], off
	s_mov_b64 s[8:9], 0
	s_waitcnt vmcnt(0)
	v_cvt_f32_u32_e32 v3, v3
	v_cvt_f16_f32_e32 v4, v3
	s_branch .LBB56_867
.LBB56_865:
	s_mov_b64 s[8:9], -1
                                        ; implicit-def: $vgpr4
	s_branch .LBB56_870
.LBB56_866:
	s_mov_b64 s[8:9], -1
                                        ; implicit-def: $vgpr4
.LBB56_867:
	s_andn2_b64 vcc, exec, s[8:9]
	s_cbranch_vccnz .LBB56_869
; %bb.868:
	global_load_ushort v3, v[1:2], off
	s_waitcnt vmcnt(0)
	v_cvt_f16_u16_e32 v4, v3
.LBB56_869:
	s_mov_b64 s[8:9], 0
.LBB56_870:
	s_andn2_b64 vcc, exec, s[8:9]
	s_cbranch_vccnz .LBB56_878
; %bb.871:
	global_load_ubyte v3, v[1:2], off
	s_movk_i32 s8, 0x7f
	s_waitcnt vmcnt(0)
	v_cmp_lt_i16_e32 vcc, s8, v3
	s_mov_b64 s[8:9], 0
	s_and_saveexec_b64 s[10:11], vcc
	s_xor_b64 s[10:11], exec, s[10:11]
	s_cbranch_execz .LBB56_892
; %bb.872:
	s_movk_i32 s8, 0x80
	v_cmp_eq_u16_e32 vcc, s8, v3
	s_mov_b64 s[8:9], -1
	s_and_saveexec_b64 s[12:13], vcc
; %bb.873:
	s_xor_b64 s[8:9], exec, -1
; %bb.874:
	s_or_b64 exec, exec, s[12:13]
	s_and_b64 s[8:9], s[8:9], exec
	s_or_saveexec_b64 s[10:11], s[10:11]
	v_mov_b32_e32 v4, 0x7e00
	s_xor_b64 exec, exec, s[10:11]
	s_cbranch_execnz .LBB56_893
.LBB56_875:
	s_or_b64 exec, exec, s[10:11]
	s_and_saveexec_b64 s[10:11], s[8:9]
	s_cbranch_execz .LBB56_877
.LBB56_876:
	v_lshlrev_b32_e32 v4, 24, v3
	v_and_b32_e32 v3, 0xffff, v3
	v_and_b32_e32 v5, 7, v3
	v_ffbh_u32_e32 v7, v5
	v_min_u32_e32 v7, 32, v7
	v_subrev_u32_e32 v8, 28, v7
	v_bfe_u32 v6, v3, 3, 4
	v_lshlrev_b32_e32 v3, v8, v3
	v_sub_u32_e32 v7, 29, v7
	v_and_b32_e32 v3, 7, v3
	v_cmp_eq_u32_e32 vcc, 0, v6
	v_cndmask_b32_e32 v6, v6, v7, vcc
	v_cndmask_b32_e32 v3, v5, v3, vcc
	v_mov_b32_e32 v5, 0x3b800000
	v_lshlrev_b32_e32 v3, 20, v3
	v_and_b32_e32 v4, 0x80000000, v4
	v_lshl_add_u32 v5, v6, 23, v5
	v_or3_b32 v3, v4, v5, v3
	v_cvt_f16_f32_e32 v4, v3
.LBB56_877:
	s_or_b64 exec, exec, s[10:11]
.LBB56_878:
	s_mov_b64 s[8:9], -1
.LBB56_879:
	s_mov_b64 s[10:11], 0
.LBB56_880:
	s_and_b64 vcc, exec, s[10:11]
	s_cbranch_vccz .LBB56_913
; %bb.881:
	s_cmp_gt_i32 s14, 22
	s_cbranch_scc0 .LBB56_891
; %bb.882:
	s_cmp_lt_i32 s14, 24
	s_cbranch_scc1 .LBB56_894
; %bb.883:
	s_cmp_gt_i32 s14, 24
	s_cbranch_scc0 .LBB56_895
; %bb.884:
	global_load_ubyte v3, v[1:2], off
	s_movk_i32 s2, 0x7f
	s_waitcnt vmcnt(0)
	v_cmp_lt_i16_e32 vcc, s2, v3
	s_mov_b64 s[2:3], 0
	s_and_saveexec_b64 s[8:9], vcc
	s_xor_b64 s[8:9], exec, s[8:9]
	s_cbranch_execz .LBB56_907
; %bb.885:
	s_movk_i32 s2, 0x80
	v_cmp_eq_u16_e32 vcc, s2, v3
	s_mov_b64 s[2:3], -1
	s_and_saveexec_b64 s[10:11], vcc
; %bb.886:
	s_xor_b64 s[2:3], exec, -1
; %bb.887:
	s_or_b64 exec, exec, s[10:11]
	s_and_b64 s[2:3], s[2:3], exec
	s_or_saveexec_b64 s[8:9], s[8:9]
	v_mov_b32_e32 v4, 0x7e00
	s_xor_b64 exec, exec, s[8:9]
	s_cbranch_execnz .LBB56_908
.LBB56_888:
	s_or_b64 exec, exec, s[8:9]
	s_and_saveexec_b64 s[8:9], s[2:3]
	s_cbranch_execz .LBB56_890
.LBB56_889:
	v_lshlrev_b32_e32 v4, 24, v3
	v_and_b32_e32 v3, 0xffff, v3
	v_and_b32_e32 v5, 3, v3
	v_ffbh_u32_e32 v7, v5
	v_min_u32_e32 v7, 32, v7
	v_subrev_u32_e32 v8, 29, v7
	v_bfe_u32 v6, v3, 2, 5
	v_lshlrev_b32_e32 v3, v8, v3
	v_sub_u32_e32 v7, 30, v7
	v_and_b32_e32 v3, 3, v3
	v_cmp_eq_u32_e32 vcc, 0, v6
	v_cndmask_b32_e32 v6, v6, v7, vcc
	v_cndmask_b32_e32 v3, v5, v3, vcc
	v_mov_b32_e32 v5, 0x37800000
	v_lshlrev_b32_e32 v3, 21, v3
	v_and_b32_e32 v4, 0x80000000, v4
	v_lshl_add_u32 v5, v6, 23, v5
	v_or3_b32 v3, v4, v5, v3
	v_cvt_f16_f32_e32 v4, v3
.LBB56_890:
	s_or_b64 exec, exec, s[8:9]
	s_mov_b64 s[2:3], 0
	s_branch .LBB56_896
.LBB56_891:
	s_mov_b64 s[2:3], -1
                                        ; implicit-def: $vgpr4
	s_branch .LBB56_902
.LBB56_892:
	s_or_saveexec_b64 s[10:11], s[10:11]
	v_mov_b32_e32 v4, 0x7e00
	s_xor_b64 exec, exec, s[10:11]
	s_cbranch_execz .LBB56_875
.LBB56_893:
	v_cmp_ne_u16_e32 vcc, 0, v3
	s_andn2_b64 s[8:9], s[8:9], exec
	s_and_b64 s[12:13], vcc, exec
	s_or_b64 s[8:9], s[8:9], s[12:13]
	v_mov_b32_e32 v4, v3
	s_or_b64 exec, exec, s[10:11]
	s_and_saveexec_b64 s[10:11], s[8:9]
	s_cbranch_execnz .LBB56_876
	s_branch .LBB56_877
.LBB56_894:
	s_mov_b64 s[2:3], -1
                                        ; implicit-def: $vgpr4
	s_branch .LBB56_899
.LBB56_895:
	s_mov_b64 s[2:3], -1
                                        ; implicit-def: $vgpr4
.LBB56_896:
	s_and_b64 vcc, exec, s[2:3]
	s_cbranch_vccz .LBB56_898
; %bb.897:
	global_load_ubyte v3, v[1:2], off
	s_mov_b32 s2, 0x7f800000
	s_waitcnt vmcnt(0)
	v_lshlrev_b32_e32 v3, 24, v3
	v_and_b32_e32 v4, 0x7f000000, v3
	v_ffbh_u32_e32 v5, v4
	v_min_u32_e32 v5, 32, v5
	v_sub_u32_e64 v5, v5, 4 clamp
	v_lshlrev_b32_e32 v7, v5, v4
	v_lshlrev_b32_e32 v5, 23, v5
	v_lshrrev_b32_e32 v7, 4, v7
	v_add_u32_e32 v6, 0x1000000, v4
	v_sub_u32_e32 v5, v7, v5
	v_ashrrev_i32_e32 v6, 8, v6
	v_add_u32_e32 v5, 0x3c000000, v5
	v_and_or_b32 v5, v6, s2, v5
	v_cmp_ne_u32_e32 vcc, 0, v4
	v_cndmask_b32_e32 v4, 0, v5, vcc
	s_brev_b32 s2, 1
	v_and_or_b32 v3, v3, s2, v4
	v_cvt_f16_f32_e32 v4, v3
.LBB56_898:
	s_mov_b64 s[2:3], 0
.LBB56_899:
	s_andn2_b64 vcc, exec, s[2:3]
	s_cbranch_vccnz .LBB56_901
; %bb.900:
	global_load_ubyte v3, v[1:2], off
	s_movk_i32 s2, 0x7f00
	s_brev_b32 s3, 16
	s_waitcnt vmcnt(0)
	v_lshlrev_b16_e32 v4, 8, v3
	v_lshlrev_b32_e32 v3, 25, v3
	v_lshrrev_b32_e32 v5, 4, v3
	v_and_or_b32 v6, v4, s2, 0.5
	v_or_b32_e32 v5, 0x70000000, v5
	v_add_f32_e32 v6, -0.5, v6
	v_mul_f32_e32 v5, 0x7800000, v5
	v_cmp_gt_u32_e32 vcc, s3, v3
	v_bfe_i32 v4, v4, 0, 16
	v_cndmask_b32_e32 v3, v5, v6, vcc
	s_brev_b32 s2, 1
	v_and_or_b32 v3, v4, s2, v3
	v_cvt_f16_f32_e32 v4, v3
.LBB56_901:
	s_mov_b64 s[2:3], 0
	s_mov_b64 s[8:9], -1
.LBB56_902:
	s_andn2_b64 vcc, exec, s[2:3]
	s_mov_b64 s[2:3], 0
	s_cbranch_vccnz .LBB56_913
; %bb.903:
	s_cmp_gt_i32 s14, 14
	s_cbranch_scc0 .LBB56_906
; %bb.904:
	s_cmp_eq_u32 s14, 15
	s_cbranch_scc0 .LBB56_909
; %bb.905:
	global_load_ushort v3, v[1:2], off
	s_mov_b64 s[0:1], 0
	s_mov_b64 s[8:9], -1
	s_waitcnt vmcnt(0)
	v_lshlrev_b32_e32 v3, 16, v3
	v_cvt_f16_f32_e32 v4, v3
	s_branch .LBB56_910
.LBB56_906:
	s_mov_b64 s[10:11], -1
                                        ; implicit-def: $vgpr4
	s_branch .LBB56_911
.LBB56_907:
	s_or_saveexec_b64 s[8:9], s[8:9]
	v_mov_b32_e32 v4, 0x7e00
	s_xor_b64 exec, exec, s[8:9]
	s_cbranch_execz .LBB56_888
.LBB56_908:
	v_cmp_ne_u16_e32 vcc, 0, v3
	s_andn2_b64 s[2:3], s[2:3], exec
	s_and_b64 s[10:11], vcc, exec
	s_or_b64 s[2:3], s[2:3], s[10:11]
	v_mov_b32_e32 v4, v3
	s_or_b64 exec, exec, s[8:9]
	s_and_saveexec_b64 s[8:9], s[2:3]
	s_cbranch_execnz .LBB56_889
	s_branch .LBB56_890
.LBB56_909:
	s_mov_b64 s[0:1], -1
                                        ; implicit-def: $vgpr4
.LBB56_910:
	s_mov_b64 s[10:11], 0
.LBB56_911:
	s_and_b64 vcc, exec, s[10:11]
	s_cbranch_vccz .LBB56_913
; %bb.912:
	s_cmp_lg_u32 s14, 11
	s_cselect_b64 s[10:11], -1, 0
	s_andn2_b64 s[0:1], s[0:1], exec
	s_and_b64 s[10:11], s[10:11], exec
	s_mov_b64 s[2:3], -1
	s_or_b64 s[0:1], s[0:1], s[10:11]
.LBB56_913:
	s_mov_b64 s[12:13], 0
.LBB56_914:
	s_and_b64 s[10:11], s[8:9], exec
	s_and_b64 s[8:9], s[12:13], exec
	s_andn2_b64 s[12:13], s[66:67], exec
	s_and_b64 s[0:1], s[0:1], exec
	s_and_b64 s[2:3], s[2:3], exec
	s_or_b64 s[12:13], s[12:13], s[0:1]
.LBB56_915:
	s_or_b64 exec, exec, s[70:71]
	s_and_b64 s[0:1], s[2:3], exec
	s_andn2_b64 s[2:3], s[66:67], exec
	s_and_b64 s[12:13], s[12:13], exec
	s_and_b64 s[10:11], s[10:11], exec
	;; [unrolled: 1-line block ×3, first 2 shown]
	s_or_b64 s[66:67], s[2:3], s[12:13]
.LBB56_916:
	s_or_b64 exec, exec, s[64:65]
	s_andn2_b64 s[2:3], s[60:61], exec
	s_and_b64 s[12:13], s[68:69], exec
	s_or_b64 s[60:61], s[2:3], s[12:13]
	s_and_b64 s[2:3], s[0:1], exec
	s_andn2_b64 s[0:1], s[58:59], exec
	s_and_b64 s[12:13], s[66:67], exec
	s_and_b64 s[10:11], s[10:11], exec
	;; [unrolled: 1-line block ×3, first 2 shown]
	s_or_b64 s[58:59], s[0:1], s[12:13]
.LBB56_917:
	s_or_b64 exec, exec, s[62:63]
	s_andn2_b64 s[0:1], s[52:53], exec
	s_and_b64 s[12:13], s[60:61], exec
	s_or_b64 s[52:53], s[0:1], s[12:13]
	s_and_b64 s[0:1], s[10:11], exec
	s_and_b64 s[10:11], s[8:9], exec
	s_and_b64 s[60:61], s[2:3], exec
	s_andn2_b64 s[2:3], s[54:55], exec
	s_and_b64 s[8:9], s[58:59], exec
	s_or_b64 s[54:55], s[2:3], s[8:9]
	s_or_b64 exec, exec, s[56:57]
	s_mov_b64 s[2:3], 0
	s_and_saveexec_b64 s[8:9], s[54:55]
	s_cbranch_execz .LBB56_274
.LBB56_918:
	s_mov_b64 s[2:3], exec
	s_andn2_b64 s[60:61], s[60:61], exec
	s_trap 2
	s_or_b64 exec, exec, s[8:9]
	s_and_saveexec_b64 s[8:9], s[60:61]
	s_xor_b64 s[8:9], exec, s[8:9]
	s_cbranch_execnz .LBB56_275
.LBB56_919:
	s_or_b64 exec, exec, s[8:9]
	s_and_saveexec_b64 s[8:9], s[10:11]
	s_cbranch_execz .LBB56_965
.LBB56_920:
	s_sext_i32_i16 s10, s74
	s_cmp_lt_i32 s10, 5
	s_cbranch_scc1 .LBB56_925
; %bb.921:
	s_cmp_lt_i32 s10, 8
	s_cbranch_scc1 .LBB56_926
; %bb.922:
	;; [unrolled: 3-line block ×3, first 2 shown]
	s_cmp_gt_i32 s10, 9
	s_cbranch_scc0 .LBB56_928
; %bb.924:
	global_load_dwordx2 v[3:4], v[1:2], off
	s_movk_i32 s10, 0x1ff
	s_movk_i32 s11, 0xffe
	v_mov_b32_e32 v5, 0x7c00
	v_mov_b32_e32 v6, 0x7e00
	s_movk_i32 s12, 0x40f
	s_mov_b32 s13, 0x8000
	s_waitcnt vmcnt(0)
	v_and_or_b32 v3, v4, s10, v3
	v_cmp_ne_u32_e32 vcc, 0, v3
	v_lshrrev_b32_e32 v7, 8, v4
	v_bfe_u32 v8, v4, 20, 11
	v_cndmask_b32_e64 v3, 0, 1, vcc
	v_sub_u32_e32 v9, 0x3f1, v8
	v_and_or_b32 v3, v7, s11, v3
	v_add_u32_e32 v8, 0xfffffc10, v8
	v_med3_i32 v7, v9, 0, 13
	v_or_b32_e32 v9, 0x1000, v3
	v_cmp_ne_u32_e32 vcc, 0, v3
	v_lshl_or_b32 v10, v8, 12, v3
	v_cndmask_b32_e32 v3, v5, v6, vcc
	v_lshrrev_b32_e32 v6, v7, v9
	v_lshlrev_b32_e32 v7, v7, v6
	v_cmp_ne_u32_e32 vcc, v7, v9
	v_cndmask_b32_e64 v7, 0, 1, vcc
	v_or_b32_e32 v6, v6, v7
	v_cmp_gt_i32_e32 vcc, 1, v8
	v_cndmask_b32_e32 v6, v10, v6, vcc
	v_and_b32_e32 v7, 7, v6
	v_cmp_lt_i32_e32 vcc, 5, v7
	v_cndmask_b32_e64 v9, 0, 1, vcc
	v_cmp_eq_u32_e32 vcc, 3, v7
	v_cndmask_b32_e64 v7, 0, 1, vcc
	v_lshrrev_b32_e32 v6, 2, v6
	v_or_b32_e32 v7, v7, v9
	v_add_u32_e32 v6, v6, v7
	v_cmp_gt_i32_e32 vcc, 31, v8
	v_cndmask_b32_e32 v5, v5, v6, vcc
	v_cmp_eq_u32_e32 vcc, s12, v8
	v_lshrrev_b32_e32 v4, 16, v4
	v_cndmask_b32_e32 v3, v5, v3, vcc
	v_and_or_b32 v4, v4, s13, v3
	s_mov_b64 s[10:11], 0
	s_branch .LBB56_929
.LBB56_925:
                                        ; implicit-def: $vgpr4
	s_branch .LBB56_946
.LBB56_926:
                                        ; implicit-def: $vgpr4
	s_branch .LBB56_935
.LBB56_927:
	s_mov_b64 s[10:11], -1
                                        ; implicit-def: $vgpr4
	s_branch .LBB56_932
.LBB56_928:
	s_mov_b64 s[10:11], -1
                                        ; implicit-def: $vgpr4
.LBB56_929:
	s_andn2_b64 vcc, exec, s[10:11]
	s_cbranch_vccnz .LBB56_931
; %bb.930:
	global_load_dword v3, v[1:2], off
	s_waitcnt vmcnt(0)
	v_cvt_f16_f32_e32 v4, v3
.LBB56_931:
	s_mov_b64 s[10:11], 0
.LBB56_932:
	s_andn2_b64 vcc, exec, s[10:11]
	s_cbranch_vccnz .LBB56_934
; %bb.933:
	global_load_dword v4, v[1:2], off
.LBB56_934:
	s_cbranch_execnz .LBB56_945
.LBB56_935:
	s_sext_i32_i16 s10, s74
	s_cmp_lt_i32 s10, 6
	s_cbranch_scc1 .LBB56_938
; %bb.936:
	s_cmp_gt_i32 s10, 6
	s_cbranch_scc0 .LBB56_939
; %bb.937:
	global_load_dwordx2 v[3:4], v[1:2], off
	s_movk_i32 s10, 0x1ff
	s_movk_i32 s11, 0xffe
	v_mov_b32_e32 v5, 0x7c00
	v_mov_b32_e32 v6, 0x7e00
	s_movk_i32 s12, 0x40f
	s_mov_b32 s13, 0x8000
	s_waitcnt vmcnt(0)
	v_and_or_b32 v3, v4, s10, v3
	v_cmp_ne_u32_e32 vcc, 0, v3
	v_lshrrev_b32_e32 v7, 8, v4
	v_bfe_u32 v8, v4, 20, 11
	v_cndmask_b32_e64 v3, 0, 1, vcc
	v_sub_u32_e32 v9, 0x3f1, v8
	v_and_or_b32 v3, v7, s11, v3
	v_add_u32_e32 v8, 0xfffffc10, v8
	v_med3_i32 v7, v9, 0, 13
	v_or_b32_e32 v9, 0x1000, v3
	v_cmp_ne_u32_e32 vcc, 0, v3
	v_lshl_or_b32 v10, v8, 12, v3
	v_cndmask_b32_e32 v3, v5, v6, vcc
	v_lshrrev_b32_e32 v6, v7, v9
	v_lshlrev_b32_e32 v7, v7, v6
	v_cmp_ne_u32_e32 vcc, v7, v9
	v_cndmask_b32_e64 v7, 0, 1, vcc
	v_or_b32_e32 v6, v6, v7
	v_cmp_gt_i32_e32 vcc, 1, v8
	v_cndmask_b32_e32 v6, v10, v6, vcc
	v_and_b32_e32 v7, 7, v6
	v_cmp_lt_i32_e32 vcc, 5, v7
	v_cndmask_b32_e64 v9, 0, 1, vcc
	v_cmp_eq_u32_e32 vcc, 3, v7
	v_cndmask_b32_e64 v7, 0, 1, vcc
	v_lshrrev_b32_e32 v6, 2, v6
	v_or_b32_e32 v7, v7, v9
	v_add_u32_e32 v6, v6, v7
	v_cmp_gt_i32_e32 vcc, 31, v8
	v_cndmask_b32_e32 v5, v5, v6, vcc
	v_cmp_eq_u32_e32 vcc, s12, v8
	v_lshrrev_b32_e32 v4, 16, v4
	v_cndmask_b32_e32 v3, v5, v3, vcc
	v_and_or_b32 v4, v4, s13, v3
	s_mov_b64 s[10:11], 0
	s_branch .LBB56_940
.LBB56_938:
	s_mov_b64 s[10:11], -1
                                        ; implicit-def: $vgpr4
	s_branch .LBB56_943
.LBB56_939:
	s_mov_b64 s[10:11], -1
                                        ; implicit-def: $vgpr4
.LBB56_940:
	s_andn2_b64 vcc, exec, s[10:11]
	s_cbranch_vccnz .LBB56_942
; %bb.941:
	global_load_dword v3, v[1:2], off
	s_waitcnt vmcnt(0)
	v_cvt_f16_f32_e32 v4, v3
.LBB56_942:
	s_mov_b64 s[10:11], 0
.LBB56_943:
	s_andn2_b64 vcc, exec, s[10:11]
	s_cbranch_vccnz .LBB56_945
; %bb.944:
	global_load_ushort v4, v[1:2], off
.LBB56_945:
	s_cbranch_execnz .LBB56_964
.LBB56_946:
	s_sext_i32_i16 s10, s74
	s_cmp_lt_i32 s10, 2
	s_cbranch_scc1 .LBB56_950
; %bb.947:
	s_cmp_lt_i32 s10, 3
	s_cbranch_scc1 .LBB56_951
; %bb.948:
	s_cmp_gt_i32 s10, 3
	s_cbranch_scc0 .LBB56_952
; %bb.949:
	global_load_dwordx2 v[3:4], v[1:2], off
	s_mov_b64 s[10:11], 0
	s_waitcnt vmcnt(0)
	v_xor_b32_e32 v6, v3, v4
	v_ffbh_i32_e32 v5, v4
	v_ashrrev_i32_e32 v6, 31, v6
	v_add_u32_e32 v5, -1, v5
	v_add_u32_e32 v6, 32, v6
	v_min_u32_e32 v5, v5, v6
	v_lshlrev_b64 v[3:4], v5, v[3:4]
	v_min_u32_e32 v3, 1, v3
	v_or_b32_e32 v3, v4, v3
	v_cvt_f32_i32_e32 v3, v3
	v_sub_u32_e32 v4, 32, v5
	v_ldexp_f32 v3, v3, v4
	v_cvt_f16_f32_e32 v4, v3
	s_branch .LBB56_953
.LBB56_950:
                                        ; implicit-def: $vgpr4
	s_branch .LBB56_959
.LBB56_951:
	s_mov_b64 s[10:11], -1
                                        ; implicit-def: $vgpr4
	s_branch .LBB56_956
.LBB56_952:
	s_mov_b64 s[10:11], -1
                                        ; implicit-def: $vgpr4
.LBB56_953:
	s_andn2_b64 vcc, exec, s[10:11]
	s_cbranch_vccnz .LBB56_955
; %bb.954:
	global_load_dword v3, v[1:2], off
	s_waitcnt vmcnt(0)
	v_cvt_f32_i32_e32 v3, v3
	v_cvt_f16_f32_e32 v4, v3
.LBB56_955:
	s_mov_b64 s[10:11], 0
.LBB56_956:
	s_andn2_b64 vcc, exec, s[10:11]
	s_cbranch_vccnz .LBB56_958
; %bb.957:
	global_load_ushort v3, v[1:2], off
	s_waitcnt vmcnt(0)
	v_cvt_f16_i16_e32 v4, v3
.LBB56_958:
	s_cbranch_execnz .LBB56_964
.LBB56_959:
	s_sext_i32_i16 s10, s74
	s_cmp_gt_i32 s10, 0
	s_cbranch_scc0 .LBB56_961
; %bb.960:
	global_load_sbyte v3, v[1:2], off
	s_mov_b64 s[10:11], 0
	s_waitcnt vmcnt(0)
	v_cvt_f16_i16_e32 v4, v3
	s_branch .LBB56_962
.LBB56_961:
	s_mov_b64 s[10:11], -1
                                        ; implicit-def: $vgpr4
.LBB56_962:
	s_andn2_b64 vcc, exec, s[10:11]
	s_cbranch_vccnz .LBB56_964
; %bb.963:
	global_load_ubyte v1, v[1:2], off
	s_waitcnt vmcnt(0)
	v_cvt_f16_u16_e32 v4, v1
.LBB56_964:
	s_or_b64 s[0:1], s[0:1], exec
.LBB56_965:
	s_or_b64 exec, exec, s[8:9]
	s_mov_b64 s[12:13], 0
	s_mov_b64 s[10:11], 0
                                        ; implicit-def: $sgpr18
                                        ; implicit-def: $vgpr1_vgpr2
                                        ; implicit-def: $vgpr3
	s_and_saveexec_b64 s[8:9], s[0:1]
	s_cbranch_execz .LBB56_983
; %bb.966:
	s_waitcnt vmcnt(0)
	v_cvt_f32_f16_e32 v1, v4
	s_mov_b32 s0, -0.5
	v_mov_b32_e32 v2, 0.5
	v_fma_mix_f32 v2, |v4|, s0, v2 op_sel_hi:[1,0,0]
	v_mul_f32_e32 v3, v1, v1
	v_cmp_ge_f32_e64 vcc, |v1|, 0.5
	v_cndmask_b32_e32 v2, v3, v2, vcc
	v_mov_b32_e32 v3, 0x3c5fc5da
	v_fmac_f32_e32 v3, 0x3d1c21a7, v2
	v_mov_b32_e32 v5, 0x3d034c3c
	v_fmac_f32_e32 v5, v2, v3
	;; [unrolled: 2-line block ×4, first 2 shown]
	v_sqrt_f32_e32 v3, v2
	v_mov_b32_e32 v6, 0x3e2aaaac
	v_fmac_f32_e32 v6, v2, v5
	v_mul_f32_e32 v2, v2, v6
	v_fmac_f32_e32 v3, v3, v2
	v_add_f32_e32 v3, v3, v3
	v_sub_f32_e32 v3, 0x3fc90fdb, v3
	v_fma_mix_f32 v2, |v4|, v2, |v4| op_sel_hi:[1,0,1]
	v_cmp_lt_f32_e64 vcc, |v1|, 0.5
	v_cndmask_b32_e32 v1, v3, v2, vcc
	v_cvt_f16_f32_e32 v1, v1
	s_movk_i32 s0, 0x7fff
	s_waitcnt lgkmcnt(0)
	v_mov_b32_e32 v2, s25
	s_and_b32 s18, s73, 0xff
	v_bfi_b32 v3, s0, v1, v4
	v_add_co_u32_e32 v1, vcc, s24, v0
	s_cmp_lt_i32 s18, 11
	v_addc_co_u32_e32 v2, vcc, 0, v2, vcc
	s_cbranch_scc1 .LBB56_986
; %bb.967:
	s_and_b32 s19, 0xffff, s18
	s_mov_b64 s[12:13], -1
	s_cmp_gt_i32 s19, 25
	s_mov_b64 s[0:1], s[52:53]
	s_cbranch_scc0 .LBB56_1004
; %bb.968:
	s_mov_b64 s[10:11], -1
	s_cmp_gt_i32 s19, 28
	s_mov_b64 s[0:1], s[52:53]
	s_cbranch_scc0 .LBB56_988
; %bb.969:
	s_cmp_gt_i32 s19, 43
	s_mov_b64 s[0:1], s[52:53]
	s_cbranch_scc0 .LBB56_980
; %bb.970:
	;; [unrolled: 4-line block ×3, first 2 shown]
	s_cmp_eq_u32 s19, 46
	s_mov_b64 s[0:1], -1
	s_cbranch_scc0 .LBB56_973
; %bb.972:
	v_cvt_f32_f16_e32 v0, v3
	s_movk_i32 s0, 0x7fff
	v_cmp_o_f16_e32 vcc, v3, v3
	v_mov_b32_e32 v4, 0x7fc0
	v_bfe_u32 v5, v0, 16, 1
	v_add3_u32 v0, v0, v5, s0
	v_cndmask_b32_sdwa v0, v4, v0, vcc dst_sel:DWORD dst_unused:UNUSED_PAD src0_sel:DWORD src1_sel:WORD_1
	global_store_dword v[1:2], v0, off
	s_mov_b64 s[0:1], 0
.LBB56_973:
	s_mov_b64 s[10:11], 0
.LBB56_974:
	s_and_b64 vcc, exec, s[10:11]
	s_cbranch_vccz .LBB56_979
; %bb.975:
	s_cmp_eq_u32 s19, 44
	s_mov_b64 s[0:1], -1
	s_cbranch_scc0 .LBB56_979
; %bb.976:
	v_cvt_f32_f16_e32 v0, v3
	s_movk_i32 s0, 0xff
	v_mov_b32_e32 v5, 0xff
	v_bfe_u32 v4, v0, 23, 8
	v_cmp_ne_u32_e32 vcc, s0, v4
	s_and_saveexec_b64 s[10:11], vcc
; %bb.977:
	s_mov_b32 s0, 0x3fffff
	v_lshrrev_b32_e32 v5, 23, v0
	v_and_b32_e32 v6, 0x400000, v0
	v_and_or_b32 v0, v0, s0, v4
	v_cmp_ne_u32_e32 vcc, 0, v6
	v_cmp_ne_u32_e64 s[0:1], 0, v0
	s_and_b64 s[0:1], vcc, s[0:1]
	v_cndmask_b32_e64 v0, 0, 1, s[0:1]
	v_add_u32_e32 v5, v5, v0
; %bb.978:
	s_or_b64 exec, exec, s[10:11]
	s_mov_b64 s[0:1], 0
	global_store_byte v[1:2], v5, off
.LBB56_979:
	s_mov_b64 s[10:11], 0
.LBB56_980:
	s_and_b64 vcc, exec, s[10:11]
	s_cbranch_vccz .LBB56_987
; %bb.981:
	s_cmp_eq_u32 s19, 29
	s_mov_b64 s[0:1], -1
	s_cbranch_scc0 .LBB56_987
; %bb.982:
	v_cvt_f32_f16_e32 v0, v3
	v_mov_b32_e32 v5, 0
	s_mov_b64 s[0:1], 0
	s_mov_b64 s[10:11], 0
	v_cvt_u32_f32_e32 v4, v0
	global_store_dwordx2 v[1:2], v[4:5], off
	s_branch .LBB56_988
.LBB56_983:
	s_or_b64 exec, exec, s[8:9]
	s_and_saveexec_b64 s[0:1], s[52:53]
	s_cbranch_execnz .LBB56_1046
.LBB56_984:
	s_or_b64 exec, exec, s[0:1]
	s_and_saveexec_b64 s[0:1], s[12:13]
	s_xor_b64 s[0:1], exec, s[0:1]
	s_cbranch_execz .LBB56_1047
.LBB56_985:
	s_waitcnt vmcnt(0)
	v_cmp_neq_f16_e32 vcc, 0, v3
	v_cndmask_b32_e64 v0, 0, 1, vcc
	global_store_byte v[1:2], v0, off
	s_or_b64 exec, exec, s[0:1]
	s_and_saveexec_b64 s[0:1], s[10:11]
	s_xor_b64 s[0:1], exec, s[0:1]
	s_cbranch_execz .LBB56_1085
	s_branch .LBB56_1048
.LBB56_986:
	s_mov_b64 s[10:11], -1
	s_mov_b64 s[0:1], s[52:53]
	s_branch .LBB56_1045
.LBB56_987:
	s_mov_b64 s[10:11], 0
.LBB56_988:
	s_and_b64 vcc, exec, s[10:11]
	s_cbranch_vccz .LBB56_1003
; %bb.989:
	s_cmp_lt_i32 s19, 27
	s_mov_b64 s[10:11], -1
	s_cbranch_scc1 .LBB56_995
; %bb.990:
	s_cmp_gt_i32 s19, 27
	s_cbranch_scc0 .LBB56_992
; %bb.991:
	v_cvt_f32_f16_e32 v0, v3
	s_mov_b64 s[10:11], 0
	v_cvt_u32_f32_e32 v0, v0
	global_store_dword v[1:2], v0, off
.LBB56_992:
	s_andn2_b64 vcc, exec, s[10:11]
	s_cbranch_vccnz .LBB56_994
; %bb.993:
	v_cvt_u16_f16_e32 v0, v3
	global_store_short v[1:2], v0, off
.LBB56_994:
	s_mov_b64 s[10:11], 0
.LBB56_995:
	s_andn2_b64 vcc, exec, s[10:11]
	s_cbranch_vccnz .LBB56_1003
; %bb.996:
	v_cvt_f32_f16_e32 v0, v3
	s_mov_b32 s10, 0x43800000
	v_mov_b32_e32 v5, 0x80
	v_and_b32_e32 v4, 0x7fffffff, v0
	v_cmp_gt_u32_e32 vcc, s10, v4
	s_and_saveexec_b64 s[10:11], vcc
	s_cbranch_execz .LBB56_1002
; %bb.997:
	s_mov_b32 s12, 0x3bffffff
	v_cmp_lt_u32_e32 vcc, s12, v4
	s_mov_b64 s[12:13], 0
                                        ; implicit-def: $vgpr4
	s_and_saveexec_b64 s[14:15], vcc
	s_xor_b64 s[14:15], exec, s[14:15]
	s_cbranch_execz .LBB56_1156
; %bb.998:
	v_bfe_u32 v4, v0, 20, 1
	s_mov_b32 s16, 0x487ffff
	v_add3_u32 v4, v0, v4, s16
	s_mov_b64 s[12:13], exec
	v_lshrrev_b32_e32 v4, 20, v4
	s_andn2_saveexec_b64 s[14:15], s[14:15]
	s_cbranch_execnz .LBB56_1157
.LBB56_999:
	s_or_b64 exec, exec, s[14:15]
	v_mov_b32_e32 v5, 0
	s_and_saveexec_b64 s[14:15], s[12:13]
.LBB56_1000:
	v_lshrrev_b32_e32 v0, 24, v0
	s_movk_i32 s12, 0x80
	v_and_or_b32 v5, v0, s12, v4
.LBB56_1001:
	s_or_b64 exec, exec, s[14:15]
.LBB56_1002:
	s_or_b64 exec, exec, s[10:11]
	global_store_byte v[1:2], v5, off
.LBB56_1003:
	s_mov_b64 s[12:13], 0
.LBB56_1004:
	s_mov_b64 s[10:11], 0
	s_and_b64 vcc, exec, s[12:13]
	s_cbranch_vccz .LBB56_1044
; %bb.1005:
	s_cmp_gt_i32 s19, 22
	s_mov_b64 s[12:13], -1
	s_cbranch_scc0 .LBB56_1037
; %bb.1006:
	s_cmp_lt_i32 s19, 24
	s_cbranch_scc1 .LBB56_1026
; %bb.1007:
	s_cmp_gt_i32 s19, 24
	s_cbranch_scc0 .LBB56_1015
; %bb.1008:
	v_cvt_f32_f16_e32 v0, v3
	s_mov_b32 s12, 0x47800000
	v_mov_b32_e32 v5, 0x80
	v_and_b32_e32 v4, 0x7fffffff, v0
	v_cmp_gt_u32_e32 vcc, s12, v4
	s_and_saveexec_b64 s[12:13], vcc
	s_cbranch_execz .LBB56_1014
; %bb.1009:
	s_mov_b32 s14, 0x37ffffff
	v_cmp_lt_u32_e32 vcc, s14, v4
	s_mov_b64 s[14:15], 0
                                        ; implicit-def: $vgpr4
	s_and_saveexec_b64 s[16:17], vcc
	s_xor_b64 s[16:17], exec, s[16:17]
	s_cbranch_execz .LBB56_1281
; %bb.1010:
	v_bfe_u32 v4, v0, 21, 1
	s_mov_b32 s20, 0x88fffff
	v_add3_u32 v4, v0, v4, s20
	s_mov_b64 s[14:15], exec
	v_lshrrev_b32_e32 v4, 21, v4
	s_andn2_saveexec_b64 s[16:17], s[16:17]
	s_cbranch_execnz .LBB56_1282
.LBB56_1011:
	s_or_b64 exec, exec, s[16:17]
	v_mov_b32_e32 v5, 0
	s_and_saveexec_b64 s[16:17], s[14:15]
.LBB56_1012:
	v_lshrrev_b32_e32 v0, 24, v0
	s_movk_i32 s14, 0x80
	v_and_or_b32 v5, v0, s14, v4
.LBB56_1013:
	s_or_b64 exec, exec, s[16:17]
.LBB56_1014:
	s_or_b64 exec, exec, s[12:13]
	s_mov_b64 s[12:13], 0
	global_store_byte v[1:2], v5, off
.LBB56_1015:
	s_and_b64 vcc, exec, s[12:13]
	s_cbranch_vccz .LBB56_1025
; %bb.1016:
	v_cvt_f32_f16_e32 v0, v3
	s_mov_b32 s12, 0x43f00000
                                        ; implicit-def: $vgpr4
	v_and_b32_e32 v5, 0x7fffffff, v0
	v_cmp_gt_u32_e32 vcc, s12, v5
	s_and_saveexec_b64 s[12:13], vcc
	s_xor_b64 s[12:13], exec, s[12:13]
	s_cbranch_execz .LBB56_1022
; %bb.1017:
	s_mov_b32 s14, 0x3c7fffff
	v_cmp_lt_u32_e32 vcc, s14, v5
                                        ; implicit-def: $vgpr4
	s_and_saveexec_b64 s[14:15], vcc
	s_xor_b64 s[14:15], exec, s[14:15]
; %bb.1018:
	v_bfe_u32 v4, v0, 20, 1
	s_mov_b32 s16, 0x407ffff
	v_add3_u32 v4, v0, v4, s16
	v_lshrrev_b32_e32 v5, 20, v4
	v_and_b32_e32 v4, 0xff00000, v4
	s_mov_b32 s16, 0x7f00000
	v_mov_b32_e32 v6, 0x7e
	v_cmp_ne_u32_e32 vcc, s16, v4
	v_cndmask_b32_e32 v4, v6, v5, vcc
; %bb.1019:
	s_andn2_saveexec_b64 s[14:15], s[14:15]
; %bb.1020:
	s_mov_b32 s16, 0x46800000
	v_add_f32_e64 v4, |v0|, s16
; %bb.1021:
	s_or_b64 exec, exec, s[14:15]
                                        ; implicit-def: $vgpr5
.LBB56_1022:
	s_andn2_saveexec_b64 s[12:13], s[12:13]
; %bb.1023:
	s_mov_b32 s14, 0x7f800000
	v_mov_b32_e32 v4, 0x7e
	v_mov_b32_e32 v6, 0x7f
	v_cmp_lt_u32_e32 vcc, s14, v5
	v_cndmask_b32_e32 v4, v4, v6, vcc
; %bb.1024:
	s_or_b64 exec, exec, s[12:13]
	v_lshrrev_b32_e32 v0, 24, v0
	s_movk_i32 s12, 0x80
	v_and_or_b32 v0, v0, s12, v4
	global_store_byte v[1:2], v0, off
.LBB56_1025:
	s_mov_b64 s[12:13], 0
.LBB56_1026:
	s_andn2_b64 vcc, exec, s[12:13]
	s_cbranch_vccnz .LBB56_1036
; %bb.1027:
	v_cvt_f32_f16_e32 v0, v3
	s_mov_b32 s12, 0x47800000
                                        ; implicit-def: $vgpr4
	v_and_b32_e32 v5, 0x7fffffff, v0
	v_cmp_gt_u32_e32 vcc, s12, v5
	s_and_saveexec_b64 s[12:13], vcc
	s_xor_b64 s[12:13], exec, s[12:13]
	s_cbranch_execz .LBB56_1033
; %bb.1028:
	s_mov_b32 s14, 0x387fffff
	v_cmp_lt_u32_e32 vcc, s14, v5
                                        ; implicit-def: $vgpr4
	s_and_saveexec_b64 s[14:15], vcc
	s_xor_b64 s[14:15], exec, s[14:15]
; %bb.1029:
	v_bfe_u32 v4, v0, 21, 1
	s_mov_b32 s16, 0x80fffff
	v_add3_u32 v4, v0, v4, s16
	v_lshrrev_b32_e32 v4, 21, v4
; %bb.1030:
	s_andn2_saveexec_b64 s[14:15], s[14:15]
; %bb.1031:
	s_mov_b32 s16, 0x43000000
	v_add_f32_e64 v4, |v0|, s16
; %bb.1032:
	s_or_b64 exec, exec, s[14:15]
                                        ; implicit-def: $vgpr5
.LBB56_1033:
	s_andn2_saveexec_b64 s[12:13], s[12:13]
; %bb.1034:
	s_mov_b32 s14, 0x7f800000
	v_mov_b32_e32 v4, 0x7c
	v_mov_b32_e32 v6, 0x7f
	v_cmp_lt_u32_e32 vcc, s14, v5
	v_cndmask_b32_e32 v4, v4, v6, vcc
; %bb.1035:
	s_or_b64 exec, exec, s[12:13]
	v_lshrrev_b32_e32 v0, 24, v0
	s_movk_i32 s12, 0x80
	v_and_or_b32 v0, v0, s12, v4
	global_store_byte v[1:2], v0, off
.LBB56_1036:
	s_mov_b64 s[12:13], 0
.LBB56_1037:
	s_andn2_b64 vcc, exec, s[12:13]
	s_mov_b64 s[12:13], 0
	s_cbranch_vccnz .LBB56_1045
; %bb.1038:
	s_cmp_gt_i32 s19, 14
	s_mov_b64 s[14:15], -1
	s_cbranch_scc0 .LBB56_1042
; %bb.1039:
	s_cmp_eq_u32 s19, 15
	s_mov_b64 s[0:1], -1
	s_cbranch_scc0 .LBB56_1041
; %bb.1040:
	v_cvt_f32_f16_e32 v0, v3
	s_movk_i32 s0, 0x7fff
	v_cmp_o_f16_e32 vcc, v3, v3
	v_mov_b32_e32 v4, 0x7fc0
	v_bfe_u32 v5, v0, 16, 1
	v_add3_u32 v0, v0, v5, s0
	v_cndmask_b32_sdwa v0, v4, v0, vcc dst_sel:DWORD dst_unused:UNUSED_PAD src0_sel:DWORD src1_sel:WORD_1
	global_store_short v[1:2], v0, off
	s_mov_b64 s[0:1], 0
.LBB56_1041:
	s_mov_b64 s[14:15], 0
.LBB56_1042:
	s_and_b64 vcc, exec, s[14:15]
	s_cbranch_vccz .LBB56_1045
; %bb.1043:
	s_cmp_lg_u32 s19, 11
	s_cselect_b64 s[14:15], -1, 0
	s_andn2_b64 s[0:1], s[0:1], exec
	s_and_b64 s[14:15], s[14:15], exec
	s_mov_b64 s[12:13], -1
	s_or_b64 s[0:1], s[0:1], s[14:15]
	s_branch .LBB56_1045
.LBB56_1044:
	s_mov_b64 s[12:13], 0
.LBB56_1045:
	s_andn2_b64 s[14:15], s[52:53], exec
	s_and_b64 s[0:1], s[0:1], exec
	s_and_b64 s[10:11], s[10:11], exec
	;; [unrolled: 1-line block ×3, first 2 shown]
	s_or_b64 s[52:53], s[14:15], s[0:1]
	s_or_b64 exec, exec, s[8:9]
	s_and_saveexec_b64 s[0:1], s[52:53]
	s_cbranch_execz .LBB56_984
.LBB56_1046:
	s_or_b64 s[2:3], s[2:3], exec
	s_andn2_b64 s[12:13], s[12:13], exec
	s_trap 2
	s_or_b64 exec, exec, s[0:1]
	s_and_saveexec_b64 s[0:1], s[12:13]
	s_xor_b64 s[0:1], exec, s[0:1]
	s_cbranch_execnz .LBB56_985
.LBB56_1047:
	s_or_b64 exec, exec, s[0:1]
	s_and_saveexec_b64 s[0:1], s[10:11]
	s_xor_b64 s[0:1], exec, s[0:1]
	s_cbranch_execz .LBB56_1085
.LBB56_1048:
	s_sext_i32_i16 s10, s18
	s_cmp_lt_i32 s10, 5
	s_mov_b64 s[8:9], -1
	s_cbranch_scc1 .LBB56_1069
; %bb.1049:
	s_cmp_lt_i32 s10, 8
	s_cbranch_scc1 .LBB56_1059
; %bb.1050:
	s_cmp_lt_i32 s10, 9
	s_cbranch_scc1 .LBB56_1056
; %bb.1051:
	s_cmp_gt_i32 s10, 9
	s_cbranch_scc0 .LBB56_1053
; %bb.1052:
	s_waitcnt vmcnt(0)
	v_cvt_f32_f16_e32 v0, v3
	v_mov_b32_e32 v6, 0
	v_mov_b32_e32 v7, v6
	s_mov_b64 s[8:9], 0
	v_cvt_f64_f32_e32 v[4:5], v0
	global_store_dwordx4 v[1:2], v[4:7], off
.LBB56_1053:
	s_andn2_b64 vcc, exec, s[8:9]
	s_cbranch_vccnz .LBB56_1055
; %bb.1054:
	s_waitcnt vmcnt(0)
	v_cvt_f32_f16_e32 v4, v3
	v_mov_b32_e32 v5, 0
	global_store_dwordx2 v[1:2], v[4:5], off
.LBB56_1055:
	s_mov_b64 s[8:9], 0
.LBB56_1056:
	s_andn2_b64 vcc, exec, s[8:9]
	s_cbranch_vccnz .LBB56_1058
; %bb.1057:
	s_waitcnt vmcnt(0)
	v_and_b32_e32 v0, 0xffff, v3
	global_store_dword v[1:2], v0, off
.LBB56_1058:
	s_mov_b64 s[8:9], 0
.LBB56_1059:
	s_andn2_b64 vcc, exec, s[8:9]
	s_cbranch_vccnz .LBB56_1068
; %bb.1060:
	s_sext_i32_i16 s10, s18
	s_cmp_lt_i32 s10, 6
	s_mov_b64 s[8:9], -1
	s_cbranch_scc1 .LBB56_1066
; %bb.1061:
	s_cmp_gt_i32 s10, 6
	s_cbranch_scc0 .LBB56_1063
; %bb.1062:
	s_waitcnt vmcnt(0)
	v_cvt_f32_f16_e32 v0, v3
	s_mov_b64 s[8:9], 0
	v_cvt_f64_f32_e32 v[4:5], v0
	global_store_dwordx2 v[1:2], v[4:5], off
.LBB56_1063:
	s_andn2_b64 vcc, exec, s[8:9]
	s_cbranch_vccnz .LBB56_1065
; %bb.1064:
	s_waitcnt vmcnt(0)
	v_cvt_f32_f16_e32 v0, v3
	global_store_dword v[1:2], v0, off
.LBB56_1065:
	s_mov_b64 s[8:9], 0
.LBB56_1066:
	s_andn2_b64 vcc, exec, s[8:9]
	s_cbranch_vccnz .LBB56_1068
; %bb.1067:
	s_waitcnt vmcnt(0)
	global_store_short v[1:2], v3, off
.LBB56_1068:
	s_mov_b64 s[8:9], 0
.LBB56_1069:
	s_andn2_b64 vcc, exec, s[8:9]
	s_cbranch_vccnz .LBB56_1085
; %bb.1070:
	s_sext_i32_i16 s10, s18
	s_cmp_lt_i32 s10, 2
	s_mov_b64 s[8:9], -1
	s_cbranch_scc1 .LBB56_1080
; %bb.1071:
	s_cmp_lt_i32 s10, 3
	s_cbranch_scc1 .LBB56_1077
; %bb.1072:
	s_cmp_gt_i32 s10, 3
	s_cbranch_scc0 .LBB56_1074
; %bb.1073:
	s_waitcnt vmcnt(0)
	v_cvt_f32_f16_e32 v0, v3
	s_mov_b64 s[8:9], 0
	v_cvt_i32_f32_e32 v4, v0
	v_ashrrev_i32_e32 v5, 31, v4
	global_store_dwordx2 v[1:2], v[4:5], off
.LBB56_1074:
	s_andn2_b64 vcc, exec, s[8:9]
	s_cbranch_vccnz .LBB56_1076
; %bb.1075:
	s_waitcnt vmcnt(0)
	v_cvt_f32_f16_e32 v0, v3
	v_cvt_i32_f32_e32 v0, v0
	global_store_dword v[1:2], v0, off
.LBB56_1076:
	s_mov_b64 s[8:9], 0
.LBB56_1077:
	s_andn2_b64 vcc, exec, s[8:9]
	s_cbranch_vccnz .LBB56_1079
; %bb.1078:
	s_waitcnt vmcnt(0)
	v_cvt_i16_f16_e32 v0, v3
	global_store_short v[1:2], v0, off
.LBB56_1079:
	s_mov_b64 s[8:9], 0
.LBB56_1080:
	s_andn2_b64 vcc, exec, s[8:9]
	s_cbranch_vccnz .LBB56_1085
; %bb.1081:
	s_sext_i32_i16 s8, s18
	s_cmp_gt_i32 s8, 0
	s_mov_b64 s[8:9], -1
	s_cbranch_scc0 .LBB56_1083
; %bb.1082:
	s_waitcnt vmcnt(0)
	v_cvt_i16_f16_e32 v0, v3
	s_mov_b64 s[8:9], 0
	global_store_byte v[1:2], v0, off
.LBB56_1083:
	s_andn2_b64 vcc, exec, s[8:9]
	s_cbranch_vccnz .LBB56_1085
; %bb.1084:
	s_waitcnt vmcnt(0)
	v_cvt_f32_f16_e32 v0, v3
	v_cvt_i32_f32_e32 v0, v0
	global_store_byte v[1:2], v0, off
.LBB56_1085:
	s_or_b64 exec, exec, s[0:1]
	s_waitcnt lgkmcnt(0)
	s_and_b64 s[28:29], s[2:3], exec
                                        ; implicit-def: $vgpr15
                                        ; implicit-def: $vgpr8
.LBB56_1086:
	s_or_saveexec_b64 s[30:31], s[42:43]
	s_mov_b64 s[0:1], 0
                                        ; implicit-def: $vgpr0_vgpr1
                                        ; implicit-def: $sgpr14
                                        ; implicit-def: $vgpr2
	s_xor_b64 exec, exec, s[30:31]
	s_cbranch_execz .LBB56_2090
; %bb.1087:
	v_cndmask_b32_e64 v0, 0, 1, s[40:41]
	v_cmp_ne_u32_e64 s[0:1], 1, v0
	s_andn2_b64 vcc, exec, s[40:41]
	s_cbranch_vccnz .LBB56_1093
; %bb.1088:
	s_cmp_lg_u32 s33, 0
	s_mov_b32 s36, 0
	s_cbranch_scc0 .LBB56_1094
; %bb.1089:
	s_min_u32 s37, s72, 15
	s_add_i32 s37, s37, 1
	s_cmp_eq_u32 s72, 2
	s_cbranch_scc1 .LBB56_1095
; %bb.1090:
	s_and_b32 s36, s37, 28
	s_add_u32 s2, s34, 0xc4
	s_addc_u32 s3, s35, 0
	v_mov_b32_e32 v13, 0
	s_mov_b32 s38, 0
	s_mov_b64 s[6:7], s[34:35]
	v_mov_b32_e32 v6, 0
	v_mov_b32_e32 v0, v8
.LBB56_1091:                            ; =>This Inner Loop Header: Depth=1
	s_load_dwordx8 s[16:23], s[6:7], 0x4
	s_load_dwordx4 s[24:27], s[6:7], 0x24
	s_load_dwordx8 s[8:15], s[2:3], 0x0
	s_add_u32 s6, s6, 48
	s_addc_u32 s7, s7, 0
	s_waitcnt lgkmcnt(0)
	v_mul_hi_u32 v1, s17, v0
	s_add_i32 s38, s38, 4
	s_add_u32 s2, s2, 32
	s_addc_u32 s3, s3, 0
	v_add_u32_e32 v1, v0, v1
	v_lshrrev_b32_e32 v1, s18, v1
	v_mul_lo_u32 v2, v1, s16
	s_waitcnt vmcnt(0)
	v_mul_hi_u32 v3, s20, v1
	s_cmp_lg_u32 s36, s38
	v_sub_u32_e32 v0, v0, v2
	v_add_u32_e32 v2, v1, v3
	v_mul_lo_u32 v3, v0, s8
	v_mul_lo_u32 v4, v0, s9
	v_lshrrev_b32_e32 v0, s21, v2
	v_mul_lo_u32 v2, v0, s19
	v_mul_hi_u32 v5, s23, v0
	v_sub_u32_e32 v1, v1, v2
	v_add_u32_e32 v2, v0, v5
	v_lshrrev_b32_e32 v2, s24, v2
	v_mul_hi_u32 v7, s26, v2
	v_mul_lo_u32 v9, v2, s22
	v_mul_lo_u32 v5, v1, s10
	;; [unrolled: 1-line block ×3, first 2 shown]
	v_sub_u32_e32 v9, v0, v9
	v_add_u32_e32 v0, v2, v7
	v_lshrrev_b32_e32 v0, s27, v0
	v_mul_lo_u32 v7, v0, s25
	v_mul_lo_u32 v10, v9, s12
	;; [unrolled: 1-line block ×3, first 2 shown]
	v_add3_u32 v3, v3, v6, v5
	v_sub_u32_e32 v2, v2, v7
	v_mul_lo_u32 v7, v2, s14
	v_mul_lo_u32 v2, v2, s15
	v_add3_u32 v1, v4, v13, v1
	v_add3_u32 v6, v10, v3, v7
	;; [unrolled: 1-line block ×3, first 2 shown]
	s_cbranch_scc1 .LBB56_1091
; %bb.1092:
	s_and_b32 s8, s37, 3
	s_cmp_eq_u32 s8, 0
	s_cbranch_scc0 .LBB56_1096
	s_branch .LBB56_1098
.LBB56_1093:
                                        ; implicit-def: $vgpr6
                                        ; implicit-def: $vgpr13
	s_branch .LBB56_1099
.LBB56_1094:
	v_mov_b32_e32 v6, 0
	v_mov_b32_e32 v13, 0
	s_branch .LBB56_1098
.LBB56_1095:
	v_mov_b32_e32 v6, 0
	v_mov_b32_e32 v13, 0
	;; [unrolled: 1-line block ×3, first 2 shown]
	s_and_b32 s8, s37, 3
	s_cmp_eq_u32 s8, 0
	s_cbranch_scc1 .LBB56_1098
.LBB56_1096:
	s_lshl_b32 s2, s36, 3
	s_add_u32 s2, s34, s2
	s_addc_u32 s3, s35, 0
	s_add_u32 s2, s2, 0xc4
	s_addc_u32 s3, s3, 0
	s_mul_i32 s6, s36, 12
	s_add_u32 s6, s34, s6
	s_addc_u32 s7, s35, 0
.LBB56_1097:                            ; =>This Inner Loop Header: Depth=1
	s_load_dwordx2 s[10:11], s[6:7], 0x4
	s_load_dword s9, s[6:7], 0xc
	s_load_dwordx2 s[12:13], s[2:3], 0x0
	s_add_u32 s6, s6, 12
	s_addc_u32 s7, s7, 0
	s_waitcnt lgkmcnt(0)
	v_mul_hi_u32 v1, s11, v0
	s_add_u32 s2, s2, 8
	s_addc_u32 s3, s3, 0
	s_add_i32 s8, s8, -1
	v_add_u32_e32 v1, v0, v1
	v_lshrrev_b32_e32 v1, s9, v1
	v_mul_lo_u32 v2, v1, s10
	s_cmp_lg_u32 s8, 0
	v_sub_u32_e32 v0, v0, v2
	v_mad_u64_u32 v[6:7], s[10:11], v0, s12, v[6:7]
	v_mad_u64_u32 v[13:14], s[10:11], v0, s13, v[13:14]
	v_mov_b32_e32 v0, v1
	s_cbranch_scc1 .LBB56_1097
.LBB56_1098:
	s_cbranch_execnz .LBB56_1101
.LBB56_1099:
	s_load_dwordx4 s[8:11], s[34:35], 0x4
	s_load_dwordx2 s[2:3], s[34:35], 0xc4
	s_cmp_lt_u32 s33, 2
	s_waitcnt lgkmcnt(0)
	v_mul_hi_u32 v0, s9, v8
	v_add_u32_e32 v0, v8, v0
	v_lshrrev_b32_e32 v0, s10, v0
	v_mul_lo_u32 v1, v0, s8
	v_sub_u32_e32 v1, v8, v1
	v_mul_lo_u32 v6, v1, s2
	v_mul_lo_u32 v13, v1, s3
	s_cbranch_scc1 .LBB56_1101
; %bb.1100:
	s_load_dwordx4 s[8:11], s[34:35], 0x10
	s_load_dwordx2 s[2:3], s[34:35], 0xcc
	s_waitcnt lgkmcnt(0)
	v_mul_hi_u32 v1, s9, v0
	v_add_u32_e32 v1, v0, v1
	v_lshrrev_b32_e32 v1, s10, v1
	v_mul_lo_u32 v1, v1, s8
	v_sub_u32_e32 v0, v0, v1
	v_mad_u64_u32 v[6:7], s[6:7], v0, s2, v[6:7]
	v_mad_u64_u32 v[13:14], s[2:3], v0, s3, v[13:14]
.LBB56_1101:
	s_and_b64 vcc, exec, s[0:1]
	v_add_u32_e32 v0, 0x80, v8
	s_cbranch_vccnz .LBB56_1107
; %bb.1102:
	s_cmp_lg_u32 s33, 0
	s_mov_b32 s36, 0
	s_cbranch_scc0 .LBB56_1108
; %bb.1103:
	s_min_u32 s37, s72, 15
	s_add_i32 s37, s37, 1
	s_cmp_eq_u32 s72, 2
	s_cbranch_scc1 .LBB56_1109
; %bb.1104:
	s_and_b32 s36, s37, 28
	s_add_u32 s2, s34, 0xc4
	s_addc_u32 s3, s35, 0
	v_mov_b32_e32 v11, 0
	s_mov_b32 s38, 0
	s_mov_b64 s[6:7], s[34:35]
	s_waitcnt vmcnt(0)
	v_mov_b32_e32 v4, 0
	v_mov_b32_e32 v1, v0
.LBB56_1105:                            ; =>This Inner Loop Header: Depth=1
	s_load_dwordx8 s[16:23], s[6:7], 0x4
	s_load_dwordx4 s[24:27], s[6:7], 0x24
	s_load_dwordx8 s[8:15], s[2:3], 0x0
	s_add_u32 s6, s6, 48
	s_addc_u32 s7, s7, 0
	s_waitcnt lgkmcnt(0)
	v_mul_hi_u32 v2, s17, v1
	s_add_i32 s38, s38, 4
	s_add_u32 s2, s2, 32
	s_addc_u32 s3, s3, 0
	v_add_u32_e32 v2, v1, v2
	v_lshrrev_b32_e32 v2, s18, v2
	v_mul_lo_u32 v3, v2, s16
	v_mul_hi_u32 v5, s20, v2
	s_cmp_lg_u32 s36, s38
	v_sub_u32_e32 v1, v1, v3
	v_add_u32_e32 v3, v2, v5
	v_mul_lo_u32 v5, v1, s8
	v_mul_lo_u32 v7, v1, s9
	v_lshrrev_b32_e32 v1, s21, v3
	v_mul_lo_u32 v3, v1, s19
	v_mul_hi_u32 v9, s23, v1
	v_sub_u32_e32 v2, v2, v3
	v_add_u32_e32 v3, v1, v9
	v_lshrrev_b32_e32 v3, s24, v3
	v_mul_hi_u32 v10, s26, v3
	v_mul_lo_u32 v12, v3, s22
	v_mul_lo_u32 v9, v2, s10
	;; [unrolled: 1-line block ×3, first 2 shown]
	v_sub_u32_e32 v12, v1, v12
	v_add_u32_e32 v1, v3, v10
	v_lshrrev_b32_e32 v1, s27, v1
	v_mul_lo_u32 v10, v1, s25
	v_mul_lo_u32 v14, v12, s12
	;; [unrolled: 1-line block ×3, first 2 shown]
	v_add3_u32 v4, v5, v4, v9
	v_sub_u32_e32 v3, v3, v10
	v_mul_lo_u32 v10, v3, s14
	v_mul_lo_u32 v3, v3, s15
	v_add3_u32 v2, v7, v11, v2
	v_add3_u32 v4, v14, v4, v10
	;; [unrolled: 1-line block ×3, first 2 shown]
	s_cbranch_scc1 .LBB56_1105
; %bb.1106:
	s_and_b32 s8, s37, 3
	s_cmp_eq_u32 s8, 0
	s_cbranch_scc0 .LBB56_1110
	s_branch .LBB56_1112
.LBB56_1107:
                                        ; implicit-def: $vgpr4
                                        ; implicit-def: $vgpr11
	s_branch .LBB56_1113
.LBB56_1108:
	s_waitcnt vmcnt(0)
	v_mov_b32_e32 v4, 0
	v_mov_b32_e32 v11, 0
	s_branch .LBB56_1112
.LBB56_1109:
	s_waitcnt vmcnt(0)
	v_mov_b32_e32 v4, 0
	v_mov_b32_e32 v11, 0
	;; [unrolled: 1-line block ×3, first 2 shown]
	s_and_b32 s8, s37, 3
	s_cmp_eq_u32 s8, 0
	s_cbranch_scc1 .LBB56_1112
.LBB56_1110:
	s_lshl_b32 s2, s36, 3
	s_add_u32 s2, s34, s2
	s_addc_u32 s3, s35, 0
	s_add_u32 s2, s2, 0xc4
	s_addc_u32 s3, s3, 0
	s_mul_i32 s6, s36, 12
	s_add_u32 s6, s34, s6
	s_addc_u32 s7, s35, 0
.LBB56_1111:                            ; =>This Inner Loop Header: Depth=1
	s_load_dwordx2 s[10:11], s[6:7], 0x4
	s_load_dword s9, s[6:7], 0xc
	s_load_dwordx2 s[12:13], s[2:3], 0x0
	s_add_u32 s6, s6, 12
	s_addc_u32 s7, s7, 0
	s_waitcnt lgkmcnt(0)
	v_mul_hi_u32 v2, s11, v1
	s_add_u32 s2, s2, 8
	s_addc_u32 s3, s3, 0
	s_add_i32 s8, s8, -1
	v_add_u32_e32 v2, v1, v2
	v_lshrrev_b32_e32 v2, s9, v2
	v_mul_lo_u32 v3, v2, s10
	s_cmp_lg_u32 s8, 0
	v_sub_u32_e32 v1, v1, v3
	v_mad_u64_u32 v[4:5], s[10:11], v1, s12, v[4:5]
	v_mad_u64_u32 v[11:12], s[10:11], v1, s13, v[11:12]
	v_mov_b32_e32 v1, v2
	s_cbranch_scc1 .LBB56_1111
.LBB56_1112:
	s_cbranch_execnz .LBB56_1115
.LBB56_1113:
	s_load_dwordx4 s[8:11], s[34:35], 0x4
	s_load_dwordx2 s[2:3], s[34:35], 0xc4
	s_cmp_lt_u32 s33, 2
	s_waitcnt lgkmcnt(0)
	v_mul_hi_u32 v1, s9, v0
	v_add_u32_e32 v1, v0, v1
	v_lshrrev_b32_e32 v1, s10, v1
	v_mul_lo_u32 v2, v1, s8
	v_sub_u32_e32 v0, v0, v2
	s_waitcnt vmcnt(0)
	v_mul_lo_u32 v4, v0, s2
	v_mul_lo_u32 v11, v0, s3
	s_cbranch_scc1 .LBB56_1115
; %bb.1114:
	s_load_dwordx4 s[8:11], s[34:35], 0x10
	s_load_dwordx2 s[2:3], s[34:35], 0xcc
	s_waitcnt lgkmcnt(0)
	v_mul_hi_u32 v0, s9, v1
	v_add_u32_e32 v0, v1, v0
	v_lshrrev_b32_e32 v0, s10, v0
	v_mul_lo_u32 v0, v0, s8
	v_sub_u32_e32 v0, v1, v0
	v_mad_u64_u32 v[4:5], s[6:7], v0, s2, v[4:5]
	v_mad_u64_u32 v[11:12], s[2:3], v0, s3, v[11:12]
.LBB56_1115:
	s_and_b64 vcc, exec, s[0:1]
	v_add_u32_e32 v0, 0x100, v8
	s_cbranch_vccnz .LBB56_1121
; %bb.1116:
	s_cmp_lg_u32 s33, 0
	s_mov_b32 s36, 0
	s_cbranch_scc0 .LBB56_1122
; %bb.1117:
	s_min_u32 s37, s72, 15
	s_add_i32 s37, s37, 1
	s_cmp_eq_u32 s72, 2
	s_cbranch_scc1 .LBB56_1123
; %bb.1118:
	s_and_b32 s36, s37, 28
	s_add_u32 s2, s34, 0xc4
	s_addc_u32 s3, s35, 0
	v_mov_b32_e32 v9, 0
	s_mov_b32 s38, 0
	s_mov_b64 s[6:7], s[34:35]
	v_mov_b32_e32 v2, 0
	v_mov_b32_e32 v1, v0
.LBB56_1119:                            ; =>This Inner Loop Header: Depth=1
	s_load_dwordx8 s[16:23], s[6:7], 0x4
	s_load_dwordx4 s[24:27], s[6:7], 0x24
	s_load_dwordx8 s[8:15], s[2:3], 0x0
	s_add_u32 s6, s6, 48
	s_addc_u32 s7, s7, 0
	s_waitcnt vmcnt(0) lgkmcnt(0)
	v_mul_hi_u32 v3, s17, v1
	s_add_i32 s38, s38, 4
	s_add_u32 s2, s2, 32
	s_addc_u32 s3, s3, 0
	v_add_u32_e32 v3, v1, v3
	v_lshrrev_b32_e32 v3, s18, v3
	v_mul_lo_u32 v5, v3, s16
	v_mul_hi_u32 v7, s20, v3
	s_cmp_lg_u32 s36, s38
	v_sub_u32_e32 v1, v1, v5
	v_add_u32_e32 v5, v3, v7
	v_mul_lo_u32 v7, v1, s8
	v_mul_lo_u32 v8, v1, s9
	v_lshrrev_b32_e32 v1, s21, v5
	v_mul_lo_u32 v5, v1, s19
	v_mul_hi_u32 v10, s23, v1
	v_sub_u32_e32 v3, v3, v5
	v_add_u32_e32 v5, v1, v10
	v_lshrrev_b32_e32 v5, s24, v5
	v_mul_hi_u32 v12, s26, v5
	v_mul_lo_u32 v14, v5, s22
	v_mul_lo_u32 v10, v3, s10
	;; [unrolled: 1-line block ×3, first 2 shown]
	v_sub_u32_e32 v14, v1, v14
	v_add_u32_e32 v1, v5, v12
	v_lshrrev_b32_e32 v1, s27, v1
	v_mul_lo_u32 v12, v1, s25
	v_mul_lo_u32 v16, v14, s12
	;; [unrolled: 1-line block ×3, first 2 shown]
	v_add3_u32 v2, v7, v2, v10
	v_sub_u32_e32 v5, v5, v12
	v_mul_lo_u32 v12, v5, s14
	v_mul_lo_u32 v5, v5, s15
	v_add3_u32 v3, v8, v9, v3
	v_add3_u32 v2, v16, v2, v12
	;; [unrolled: 1-line block ×3, first 2 shown]
	s_cbranch_scc1 .LBB56_1119
; %bb.1120:
	s_and_b32 s8, s37, 3
	s_cmp_eq_u32 s8, 0
	s_cbranch_scc0 .LBB56_1124
	s_branch .LBB56_1126
.LBB56_1121:
                                        ; implicit-def: $vgpr2
                                        ; implicit-def: $vgpr9
	s_branch .LBB56_1127
.LBB56_1122:
	v_mov_b32_e32 v2, 0
	v_mov_b32_e32 v9, 0
	s_branch .LBB56_1126
.LBB56_1123:
	v_mov_b32_e32 v2, 0
	v_mov_b32_e32 v9, 0
	;; [unrolled: 1-line block ×3, first 2 shown]
	s_and_b32 s8, s37, 3
	s_cmp_eq_u32 s8, 0
	s_cbranch_scc1 .LBB56_1126
.LBB56_1124:
	s_lshl_b32 s2, s36, 3
	s_add_u32 s2, s34, s2
	s_addc_u32 s3, s35, 0
	s_add_u32 s2, s2, 0xc4
	s_addc_u32 s3, s3, 0
	s_mul_i32 s6, s36, 12
	s_add_u32 s6, s34, s6
	s_addc_u32 s7, s35, 0
.LBB56_1125:                            ; =>This Inner Loop Header: Depth=1
	s_load_dwordx2 s[10:11], s[6:7], 0x4
	s_load_dword s9, s[6:7], 0xc
	s_load_dwordx2 s[12:13], s[2:3], 0x0
	s_add_u32 s6, s6, 12
	s_addc_u32 s7, s7, 0
	s_waitcnt vmcnt(0) lgkmcnt(0)
	v_mul_hi_u32 v3, s11, v1
	s_add_u32 s2, s2, 8
	s_addc_u32 s3, s3, 0
	s_add_i32 s8, s8, -1
	v_add_u32_e32 v3, v1, v3
	v_lshrrev_b32_e32 v5, s9, v3
	v_mul_lo_u32 v3, v5, s10
	s_cmp_lg_u32 s8, 0
	v_sub_u32_e32 v1, v1, v3
	v_mad_u64_u32 v[2:3], s[10:11], v1, s12, v[2:3]
	v_mad_u64_u32 v[9:10], s[10:11], v1, s13, v[9:10]
	v_mov_b32_e32 v1, v5
	s_cbranch_scc1 .LBB56_1125
.LBB56_1126:
	s_cbranch_execnz .LBB56_1129
.LBB56_1127:
	s_load_dwordx4 s[8:11], s[34:35], 0x4
	s_load_dwordx2 s[2:3], s[34:35], 0xc4
	s_cmp_lt_u32 s33, 2
	s_waitcnt lgkmcnt(0)
	v_mul_hi_u32 v1, s9, v0
	v_add_u32_e32 v1, v0, v1
	v_lshrrev_b32_e32 v1, s10, v1
	v_mul_lo_u32 v2, v1, s8
	v_sub_u32_e32 v0, v0, v2
	v_mul_lo_u32 v2, v0, s2
	v_mul_lo_u32 v9, v0, s3
	s_cbranch_scc1 .LBB56_1129
; %bb.1128:
	s_load_dwordx4 s[8:11], s[34:35], 0x10
	s_load_dwordx2 s[2:3], s[34:35], 0xcc
	s_waitcnt lgkmcnt(0)
	v_mul_hi_u32 v0, s9, v1
	v_add_u32_e32 v0, v1, v0
	v_lshrrev_b32_e32 v0, s10, v0
	v_mul_lo_u32 v0, v0, s8
	v_sub_u32_e32 v0, v1, v0
	s_waitcnt vmcnt(0)
	v_mad_u64_u32 v[2:3], s[6:7], v0, s2, v[2:3]
	v_mad_u64_u32 v[9:10], s[2:3], v0, s3, v[9:10]
.LBB56_1129:
	s_and_b64 vcc, exec, s[0:1]
	s_cbranch_vccnz .LBB56_1135
; %bb.1130:
	s_cmp_lg_u32 s33, 0
	s_mov_b32 s26, 0
	s_cbranch_scc0 .LBB56_1136
; %bb.1131:
	s_min_u32 s27, s72, 15
	s_add_i32 s27, s27, 1
	s_cmp_eq_u32 s72, 2
	s_cbranch_scc1 .LBB56_1137
; %bb.1132:
	s_and_b32 s26, s27, 28
	s_add_u32 s6, s34, 0xc4
	s_addc_u32 s7, s35, 0
	v_mov_b32_e32 v7, 0
	s_mov_b32 s36, 0
	s_mov_b64 s[24:25], s[34:35]
	v_mov_b32_e32 v0, 0
	v_mov_b32_e32 v1, v15
.LBB56_1133:                            ; =>This Inner Loop Header: Depth=1
	s_load_dwordx8 s[16:23], s[24:25], 0x4
	s_load_dwordx4 s[0:3], s[24:25], 0x24
	s_load_dwordx8 s[8:15], s[6:7], 0x0
	s_add_u32 s24, s24, 48
	s_addc_u32 s25, s25, 0
	s_waitcnt vmcnt(0) lgkmcnt(0)
	v_mul_hi_u32 v3, s17, v1
	s_add_i32 s36, s36, 4
	s_add_u32 s6, s6, 32
	s_addc_u32 s7, s7, 0
	v_add_u32_e32 v3, v1, v3
	v_lshrrev_b32_e32 v3, s18, v3
	v_mul_lo_u32 v5, v3, s16
	v_mul_hi_u32 v8, s20, v3
	s_cmp_lg_u32 s26, s36
	v_sub_u32_e32 v1, v1, v5
	v_add_u32_e32 v5, v3, v8
	v_mul_lo_u32 v8, v1, s8
	v_mul_lo_u32 v10, v1, s9
	v_lshrrev_b32_e32 v1, s21, v5
	v_mul_lo_u32 v5, v1, s19
	v_mul_hi_u32 v12, s23, v1
	v_sub_u32_e32 v3, v3, v5
	v_add_u32_e32 v5, v1, v12
	v_lshrrev_b32_e32 v5, s0, v5
	v_mul_hi_u32 v14, s2, v5
	v_mul_lo_u32 v16, v5, s22
	v_mul_lo_u32 v12, v3, s10
	;; [unrolled: 1-line block ×3, first 2 shown]
	v_sub_u32_e32 v16, v1, v16
	v_add_u32_e32 v1, v5, v14
	v_lshrrev_b32_e32 v1, s3, v1
	v_mul_lo_u32 v14, v1, s1
	v_mul_lo_u32 v17, v16, s12
	;; [unrolled: 1-line block ×3, first 2 shown]
	v_add3_u32 v0, v8, v0, v12
	v_sub_u32_e32 v5, v5, v14
	v_mul_lo_u32 v14, v5, s14
	v_mul_lo_u32 v5, v5, s15
	v_add3_u32 v3, v10, v7, v3
	v_add3_u32 v0, v17, v0, v14
	;; [unrolled: 1-line block ×3, first 2 shown]
	s_cbranch_scc1 .LBB56_1133
; %bb.1134:
	s_and_b32 s6, s27, 3
	s_cmp_eq_u32 s6, 0
	s_cbranch_scc0 .LBB56_1138
	s_branch .LBB56_1140
.LBB56_1135:
                                        ; implicit-def: $vgpr0
                                        ; implicit-def: $vgpr7
	s_branch .LBB56_1141
.LBB56_1136:
	v_mov_b32_e32 v0, 0
	v_mov_b32_e32 v7, 0
	s_branch .LBB56_1140
.LBB56_1137:
	v_mov_b32_e32 v0, 0
	v_mov_b32_e32 v7, 0
	;; [unrolled: 1-line block ×3, first 2 shown]
	s_and_b32 s6, s27, 3
	s_cmp_eq_u32 s6, 0
	s_cbranch_scc1 .LBB56_1140
.LBB56_1138:
	s_lshl_b32 s0, s26, 3
	s_add_u32 s0, s34, s0
	s_addc_u32 s1, s35, 0
	s_add_u32 s0, s0, 0xc4
	s_addc_u32 s1, s1, 0
	s_mul_i32 s2, s26, 12
	s_add_u32 s2, s34, s2
	s_addc_u32 s3, s35, 0
.LBB56_1139:                            ; =>This Inner Loop Header: Depth=1
	s_load_dwordx2 s[8:9], s[2:3], 0x4
	s_load_dword s7, s[2:3], 0xc
	s_load_dwordx2 s[10:11], s[0:1], 0x0
	s_add_u32 s2, s2, 12
	s_addc_u32 s3, s3, 0
	s_waitcnt vmcnt(0) lgkmcnt(0)
	v_mul_hi_u32 v3, s9, v1
	s_add_u32 s0, s0, 8
	s_addc_u32 s1, s1, 0
	s_add_i32 s6, s6, -1
	v_add_u32_e32 v3, v1, v3
	v_lshrrev_b32_e32 v3, s7, v3
	v_mul_lo_u32 v5, v3, s8
	s_cmp_lg_u32 s6, 0
	v_sub_u32_e32 v5, v1, v5
	v_mad_u64_u32 v[0:1], s[8:9], v5, s10, v[0:1]
	v_mad_u64_u32 v[7:8], s[8:9], v5, s11, v[7:8]
	v_mov_b32_e32 v1, v3
	s_cbranch_scc1 .LBB56_1139
.LBB56_1140:
	s_cbranch_execnz .LBB56_1143
.LBB56_1141:
	s_load_dwordx4 s[0:3], s[34:35], 0x4
	s_load_dwordx2 s[6:7], s[34:35], 0xc4
	s_cmp_lt_u32 s33, 2
	s_waitcnt lgkmcnt(0)
	v_mul_hi_u32 v0, s1, v15
	v_add_u32_e32 v0, v15, v0
	v_lshrrev_b32_e32 v1, s2, v0
	v_mul_lo_u32 v0, v1, s0
	s_waitcnt vmcnt(0)
	v_sub_u32_e32 v3, v15, v0
	v_mul_lo_u32 v0, v3, s6
	v_mul_lo_u32 v7, v3, s7
	s_cbranch_scc1 .LBB56_1143
; %bb.1142:
	s_load_dwordx4 s[0:3], s[34:35], 0x10
	s_load_dwordx2 s[6:7], s[34:35], 0xcc
	s_waitcnt lgkmcnt(0)
	v_mul_hi_u32 v3, s1, v1
	v_add_u32_e32 v3, v1, v3
	v_lshrrev_b32_e32 v3, s2, v3
	v_mul_lo_u32 v3, v3, s0
	v_sub_u32_e32 v3, v1, v3
	v_mad_u64_u32 v[0:1], s[0:1], v3, s6, v[0:1]
	v_mad_u64_u32 v[7:8], s[0:1], v3, s7, v[7:8]
.LBB56_1143:
	s_load_dwordx4 s[8:11], s[34:35], 0x148
	s_load_dword s16, s[4:5], 0x160
	s_waitcnt lgkmcnt(0)
	v_mov_b32_e32 v1, s11
	s_bfe_u32 s14, s16, 0x80010
	v_add_co_u32_e32 v12, vcc, s10, v13
	s_cmp_lt_i32 s14, 11
	v_addc_co_u32_e32 v13, vcc, 0, v1, vcc
	s_cbranch_scc1 .LBB56_1150
; %bb.1144:
	s_and_b32 s15, 0xffff, s14
	s_cmp_gt_i32 s15, 25
	s_mov_b64 s[4:5], 0
	s_cbranch_scc0 .LBB56_1152
; %bb.1145:
	s_cmp_gt_i32 s15, 28
	s_cbranch_scc0 .LBB56_1153
; %bb.1146:
	s_cmp_gt_i32 s15, 43
	s_cbranch_scc0 .LBB56_1154
; %bb.1147:
	s_cmp_gt_i32 s15, 45
	s_cbranch_scc0 .LBB56_1155
; %bb.1148:
	s_cmp_eq_u32 s15, 46
	s_mov_b64 s[2:3], 0
	s_cbranch_scc0 .LBB56_1158
; %bb.1149:
	global_load_dword v1, v[12:13], off
	s_mov_b64 s[0:1], 0
	s_mov_b64 s[6:7], -1
	s_waitcnt vmcnt(0)
	v_lshlrev_b32_e32 v1, 16, v1
	v_cvt_f16_f32_e32 v1, v1
	s_branch .LBB56_1159
.LBB56_1150:
	s_mov_b64 s[6:7], 0
                                        ; implicit-def: $vgpr1
	s_mov_b64 s[2:3], s[28:29]
	s_cbranch_execnz .LBB56_1222
.LBB56_1151:
	s_andn2_b64 vcc, exec, s[6:7]
	s_cbranch_vccz .LBB56_1267
	s_branch .LBB56_2088
.LBB56_1152:
	s_mov_b64 s[6:7], 0
	s_mov_b64 s[0:1], 0
                                        ; implicit-def: $vgpr1
	s_cbranch_execnz .LBB56_1187
	s_branch .LBB56_1218
.LBB56_1153:
	s_mov_b64 s[2:3], -1
	s_mov_b64 s[6:7], 0
	s_mov_b64 s[0:1], 0
                                        ; implicit-def: $vgpr1
	s_branch .LBB56_1168
.LBB56_1154:
	s_mov_b64 s[6:7], 0
	s_mov_b64 s[0:1], 0
                                        ; implicit-def: $vgpr1
	s_cbranch_execnz .LBB56_1164
	s_branch .LBB56_1167
.LBB56_1155:
	s_mov_b64 s[2:3], -1
	s_mov_b64 s[6:7], 0
	s_mov_b64 s[0:1], 0
                                        ; implicit-def: $vgpr1
	s_branch .LBB56_1159
.LBB56_1156:
	s_andn2_saveexec_b64 s[14:15], s[14:15]
	s_cbranch_execz .LBB56_999
.LBB56_1157:
	s_mov_b32 s16, 0x46000000
	v_add_f32_e64 v4, |v0|, s16
	v_and_b32_e32 v4, 0xff, v4
	v_cmp_ne_u32_e32 vcc, 0, v4
	s_andn2_b64 s[12:13], s[12:13], exec
	s_and_b64 s[16:17], vcc, exec
	s_or_b64 s[12:13], s[12:13], s[16:17]
	s_or_b64 exec, exec, s[14:15]
	v_mov_b32_e32 v5, 0
	s_and_saveexec_b64 s[14:15], s[12:13]
	s_cbranch_execnz .LBB56_1000
	s_branch .LBB56_1001
.LBB56_1158:
	s_mov_b64 s[0:1], -1
                                        ; implicit-def: $vgpr1
	s_mov_b64 s[6:7], 0
.LBB56_1159:
	s_and_b64 vcc, exec, s[2:3]
	s_cbranch_vccz .LBB56_1162
; %bb.1160:
	s_cmp_eq_u32 s15, 44
	s_cbranch_scc0 .LBB56_1163
; %bb.1161:
	global_load_ubyte v1, v[12:13], off
	s_movk_i32 s2, 0xff
	v_mov_b32_e32 v5, 0x7e00
	s_mov_b64 s[0:1], 0
	s_mov_b64 s[6:7], -1
	s_waitcnt vmcnt(0)
	v_lshlrev_b32_e32 v3, 23, v1
	v_cvt_f16_f32_e32 v3, v3
	v_cmp_ne_u32_e32 vcc, s2, v1
	v_cndmask_b32_e32 v3, v5, v3, vcc
	v_cmp_ne_u32_e32 vcc, 0, v1
	v_cndmask_b32_e32 v1, 0, v3, vcc
.LBB56_1162:
	s_branch .LBB56_1167
.LBB56_1163:
	s_mov_b64 s[0:1], -1
                                        ; implicit-def: $vgpr1
	s_branch .LBB56_1167
.LBB56_1164:
	s_cmp_eq_u32 s15, 29
	s_cbranch_scc0 .LBB56_1166
; %bb.1165:
	global_load_dwordx2 v[14:15], v[12:13], off
	s_mov_b64 s[0:1], 0
	s_mov_b64 s[6:7], -1
	s_mov_b64 s[2:3], 0
	s_waitcnt vmcnt(0)
	v_ffbh_u32_e32 v1, v15
	v_min_u32_e32 v1, 32, v1
	v_lshlrev_b64 v[14:15], v1, v[14:15]
	v_sub_u32_e32 v1, 32, v1
	v_min_u32_e32 v3, 1, v14
	v_or_b32_e32 v3, v15, v3
	v_cvt_f32_u32_e32 v3, v3
	v_ldexp_f32 v1, v3, v1
	v_cvt_f16_f32_e32 v1, v1
	s_branch .LBB56_1168
.LBB56_1166:
	s_mov_b64 s[0:1], -1
                                        ; implicit-def: $vgpr1
.LBB56_1167:
	s_mov_b64 s[2:3], 0
.LBB56_1168:
	s_and_b64 vcc, exec, s[2:3]
	s_cbranch_vccz .LBB56_1186
; %bb.1169:
	s_cmp_lt_i32 s15, 27
	s_cbranch_scc1 .LBB56_1172
; %bb.1170:
	s_cmp_gt_i32 s15, 27
	s_cbranch_scc0 .LBB56_1173
; %bb.1171:
	global_load_dword v1, v[12:13], off
	s_mov_b64 s[2:3], 0
	s_waitcnt vmcnt(0)
	v_cvt_f32_u32_e32 v1, v1
	v_cvt_f16_f32_e32 v1, v1
	s_branch .LBB56_1174
.LBB56_1172:
	s_mov_b64 s[2:3], -1
                                        ; implicit-def: $vgpr1
	s_branch .LBB56_1177
.LBB56_1173:
	s_mov_b64 s[2:3], -1
                                        ; implicit-def: $vgpr1
.LBB56_1174:
	s_andn2_b64 vcc, exec, s[2:3]
	s_cbranch_vccnz .LBB56_1176
; %bb.1175:
	global_load_ushort v1, v[12:13], off
	s_waitcnt vmcnt(0)
	v_cvt_f16_u16_e32 v1, v1
.LBB56_1176:
	s_mov_b64 s[2:3], 0
.LBB56_1177:
	s_andn2_b64 vcc, exec, s[2:3]
	s_cbranch_vccnz .LBB56_1185
; %bb.1178:
	global_load_ubyte v3, v[12:13], off
	s_movk_i32 s2, 0x7f
	s_waitcnt vmcnt(0)
	v_cmp_lt_i16_e32 vcc, s2, v3
	s_mov_b64 s[2:3], 0
	s_and_saveexec_b64 s[6:7], vcc
	s_xor_b64 s[6:7], exec, s[6:7]
	s_cbranch_execz .LBB56_1198
; %bb.1179:
	s_movk_i32 s2, 0x80
	v_cmp_eq_u16_e32 vcc, s2, v3
	s_mov_b64 s[2:3], -1
	s_and_saveexec_b64 s[12:13], vcc
; %bb.1180:
	s_xor_b64 s[2:3], exec, -1
; %bb.1181:
	s_or_b64 exec, exec, s[12:13]
	s_and_b64 s[2:3], s[2:3], exec
	s_or_saveexec_b64 s[6:7], s[6:7]
	v_mov_b32_e32 v1, 0x7e00
	s_xor_b64 exec, exec, s[6:7]
	s_cbranch_execnz .LBB56_1199
.LBB56_1182:
	s_or_b64 exec, exec, s[6:7]
	s_and_saveexec_b64 s[6:7], s[2:3]
	s_cbranch_execz .LBB56_1184
.LBB56_1183:
	v_lshlrev_b32_e32 v1, 24, v3
	v_and_b32_e32 v3, 0xffff, v3
	v_and_b32_e32 v5, 7, v3
	v_ffbh_u32_e32 v10, v5
	v_min_u32_e32 v10, 32, v10
	v_subrev_u32_e32 v14, 28, v10
	v_bfe_u32 v8, v3, 3, 4
	v_lshlrev_b32_e32 v3, v14, v3
	v_sub_u32_e32 v10, 29, v10
	v_and_b32_e32 v3, 7, v3
	v_cmp_eq_u32_e32 vcc, 0, v8
	v_cndmask_b32_e32 v8, v8, v10, vcc
	v_cndmask_b32_e32 v3, v5, v3, vcc
	v_mov_b32_e32 v5, 0x3b800000
	v_lshlrev_b32_e32 v3, 20, v3
	v_and_b32_e32 v1, 0x80000000, v1
	v_lshl_add_u32 v5, v8, 23, v5
	v_or3_b32 v1, v1, v5, v3
	v_cvt_f16_f32_e32 v1, v1
.LBB56_1184:
	s_or_b64 exec, exec, s[6:7]
.LBB56_1185:
	s_mov_b64 s[6:7], -1
.LBB56_1186:
	s_branch .LBB56_1218
.LBB56_1187:
	s_cmp_gt_i32 s15, 22
	s_cbranch_scc0 .LBB56_1197
; %bb.1188:
	s_cmp_lt_i32 s15, 24
	s_cbranch_scc1 .LBB56_1200
; %bb.1189:
	s_cmp_gt_i32 s15, 24
	s_cbranch_scc0 .LBB56_1201
; %bb.1190:
	global_load_ubyte v3, v[12:13], off
	s_movk_i32 s2, 0x7f
	s_waitcnt vmcnt(0)
	v_cmp_lt_i16_e32 vcc, s2, v3
	s_mov_b64 s[2:3], 0
	s_and_saveexec_b64 s[4:5], vcc
	s_xor_b64 s[4:5], exec, s[4:5]
	s_cbranch_execz .LBB56_1212
; %bb.1191:
	s_movk_i32 s2, 0x80
	v_cmp_eq_u16_e32 vcc, s2, v3
	s_mov_b64 s[2:3], -1
	s_and_saveexec_b64 s[6:7], vcc
; %bb.1192:
	s_xor_b64 s[2:3], exec, -1
; %bb.1193:
	s_or_b64 exec, exec, s[6:7]
	s_and_b64 s[2:3], s[2:3], exec
	s_or_saveexec_b64 s[4:5], s[4:5]
	v_mov_b32_e32 v1, 0x7e00
	s_xor_b64 exec, exec, s[4:5]
	s_cbranch_execnz .LBB56_1213
.LBB56_1194:
	s_or_b64 exec, exec, s[4:5]
	s_and_saveexec_b64 s[4:5], s[2:3]
	s_cbranch_execz .LBB56_1196
.LBB56_1195:
	v_lshlrev_b32_e32 v1, 24, v3
	v_and_b32_e32 v3, 0xffff, v3
	v_and_b32_e32 v5, 3, v3
	v_ffbh_u32_e32 v10, v5
	v_min_u32_e32 v10, 32, v10
	v_subrev_u32_e32 v14, 29, v10
	v_bfe_u32 v8, v3, 2, 5
	v_lshlrev_b32_e32 v3, v14, v3
	v_sub_u32_e32 v10, 30, v10
	v_and_b32_e32 v3, 3, v3
	v_cmp_eq_u32_e32 vcc, 0, v8
	v_cndmask_b32_e32 v8, v8, v10, vcc
	v_cndmask_b32_e32 v3, v5, v3, vcc
	v_mov_b32_e32 v5, 0x37800000
	v_lshlrev_b32_e32 v3, 21, v3
	v_and_b32_e32 v1, 0x80000000, v1
	v_lshl_add_u32 v5, v8, 23, v5
	v_or3_b32 v1, v1, v5, v3
	v_cvt_f16_f32_e32 v1, v1
.LBB56_1196:
	s_or_b64 exec, exec, s[4:5]
	s_mov_b64 s[2:3], 0
	s_branch .LBB56_1202
.LBB56_1197:
                                        ; implicit-def: $vgpr1
	s_mov_b64 s[4:5], 0
	s_branch .LBB56_1208
.LBB56_1198:
	s_or_saveexec_b64 s[6:7], s[6:7]
	v_mov_b32_e32 v1, 0x7e00
	s_xor_b64 exec, exec, s[6:7]
	s_cbranch_execz .LBB56_1182
.LBB56_1199:
	v_cmp_ne_u16_e32 vcc, 0, v3
	s_andn2_b64 s[2:3], s[2:3], exec
	s_and_b64 s[12:13], vcc, exec
	s_or_b64 s[2:3], s[2:3], s[12:13]
	v_mov_b32_e32 v1, v3
	s_or_b64 exec, exec, s[6:7]
	s_and_saveexec_b64 s[6:7], s[2:3]
	s_cbranch_execnz .LBB56_1183
	s_branch .LBB56_1184
.LBB56_1200:
	s_mov_b64 s[2:3], -1
                                        ; implicit-def: $vgpr1
	s_branch .LBB56_1205
.LBB56_1201:
	s_mov_b64 s[2:3], -1
                                        ; implicit-def: $vgpr1
.LBB56_1202:
	s_and_b64 vcc, exec, s[2:3]
	s_cbranch_vccz .LBB56_1204
; %bb.1203:
	global_load_ubyte v1, v[12:13], off
	s_mov_b32 s2, 0x7f800000
	s_waitcnt vmcnt(0)
	v_lshlrev_b32_e32 v1, 24, v1
	v_and_b32_e32 v3, 0x7f000000, v1
	v_ffbh_u32_e32 v5, v3
	v_min_u32_e32 v5, 32, v5
	v_sub_u32_e64 v5, v5, 4 clamp
	v_lshlrev_b32_e32 v10, v5, v3
	v_lshlrev_b32_e32 v5, 23, v5
	v_lshrrev_b32_e32 v10, 4, v10
	v_add_u32_e32 v8, 0x1000000, v3
	v_sub_u32_e32 v5, v10, v5
	v_ashrrev_i32_e32 v8, 8, v8
	v_add_u32_e32 v5, 0x3c000000, v5
	v_and_or_b32 v5, v8, s2, v5
	v_cmp_ne_u32_e32 vcc, 0, v3
	v_cndmask_b32_e32 v3, 0, v5, vcc
	s_brev_b32 s2, 1
	v_and_or_b32 v1, v1, s2, v3
	v_cvt_f16_f32_e32 v1, v1
.LBB56_1204:
	s_mov_b64 s[2:3], 0
.LBB56_1205:
	s_andn2_b64 vcc, exec, s[2:3]
	s_cbranch_vccnz .LBB56_1207
; %bb.1206:
	global_load_ubyte v1, v[12:13], off
	s_movk_i32 s2, 0x7f00
	s_brev_b32 s3, 16
	s_waitcnt vmcnt(0)
	v_lshlrev_b16_e32 v3, 8, v1
	v_lshlrev_b32_e32 v1, 25, v1
	v_lshrrev_b32_e32 v5, 4, v1
	v_and_or_b32 v8, v3, s2, 0.5
	v_or_b32_e32 v5, 0x70000000, v5
	v_add_f32_e32 v8, -0.5, v8
	v_mul_f32_e32 v5, 0x7800000, v5
	v_cmp_gt_u32_e32 vcc, s3, v1
	v_bfe_i32 v3, v3, 0, 16
	v_cndmask_b32_e32 v1, v5, v8, vcc
	s_brev_b32 s2, 1
	v_and_or_b32 v1, v3, s2, v1
	v_cvt_f16_f32_e32 v1, v1
.LBB56_1207:
	s_mov_b64 s[6:7], -1
	s_mov_b64 s[4:5], 0
	s_cbranch_execnz .LBB56_1218
.LBB56_1208:
	s_cmp_gt_i32 s15, 14
	s_cbranch_scc0 .LBB56_1211
; %bb.1209:
	s_cmp_eq_u32 s15, 15
	s_cbranch_scc0 .LBB56_1214
; %bb.1210:
	global_load_ushort v1, v[12:13], off
	s_mov_b64 s[0:1], 0
	s_mov_b64 s[6:7], -1
	s_waitcnt vmcnt(0)
	v_lshlrev_b32_e32 v1, 16, v1
	v_cvt_f16_f32_e32 v1, v1
	s_branch .LBB56_1215
.LBB56_1211:
	s_mov_b64 s[2:3], -1
                                        ; implicit-def: $vgpr1
	s_branch .LBB56_1216
.LBB56_1212:
	s_or_saveexec_b64 s[4:5], s[4:5]
	v_mov_b32_e32 v1, 0x7e00
	s_xor_b64 exec, exec, s[4:5]
	s_cbranch_execz .LBB56_1194
.LBB56_1213:
	v_cmp_ne_u16_e32 vcc, 0, v3
	s_andn2_b64 s[2:3], s[2:3], exec
	s_and_b64 s[6:7], vcc, exec
	s_or_b64 s[2:3], s[2:3], s[6:7]
	v_mov_b32_e32 v1, v3
	s_or_b64 exec, exec, s[4:5]
	s_and_saveexec_b64 s[4:5], s[2:3]
	s_cbranch_execnz .LBB56_1195
	s_branch .LBB56_1196
.LBB56_1214:
	s_mov_b64 s[0:1], -1
                                        ; implicit-def: $vgpr1
.LBB56_1215:
	s_mov_b64 s[2:3], 0
.LBB56_1216:
	s_and_b64 vcc, exec, s[2:3]
	s_cbranch_vccz .LBB56_1218
; %bb.1217:
	s_cmp_lg_u32 s15, 11
	s_mov_b64 s[4:5], -1
	s_cselect_b64 s[0:1], -1, 0
.LBB56_1218:
	s_and_b64 vcc, exec, s[0:1]
	s_mov_b64 s[2:3], s[28:29]
	s_cbranch_vccnz .LBB56_1279
; %bb.1219:
	s_andn2_b64 vcc, exec, s[4:5]
	s_cbranch_vccnz .LBB56_1221
.LBB56_1220:
	global_load_ubyte v1, v[12:13], off
	s_waitcnt vmcnt(1)
	v_mov_b32_e32 v3, 0x3c00
	s_mov_b64 s[6:7], -1
	s_waitcnt vmcnt(0)
	v_cmp_ne_u16_e32 vcc, 0, v1
	v_cndmask_b32_e32 v1, 0, v3, vcc
.LBB56_1221:
	s_branch .LBB56_1151
.LBB56_1222:
	s_and_b32 s4, 0xffff, s14
	s_cmp_lt_i32 s4, 5
	s_cbranch_scc1 .LBB56_1227
; %bb.1223:
	s_cmp_lt_i32 s4, 8
	s_cbranch_scc1 .LBB56_1228
; %bb.1224:
	;; [unrolled: 3-line block ×3, first 2 shown]
	s_cmp_gt_i32 s4, 9
	s_cbranch_scc0 .LBB56_1230
; %bb.1226:
	global_load_dwordx2 v[14:15], v[12:13], off
	s_movk_i32 s0, 0x1ff
	s_movk_i32 s1, 0xffe
	v_mov_b32_e32 v1, 0x7c00
	s_waitcnt vmcnt(1)
	v_mov_b32_e32 v3, 0x7e00
	s_movk_i32 s5, 0x40f
	s_mov_b32 s6, 0x8000
	s_waitcnt vmcnt(0)
	v_and_or_b32 v5, v15, s0, v14
	v_cmp_ne_u32_e32 vcc, 0, v5
	v_lshrrev_b32_e32 v8, 8, v15
	v_bfe_u32 v10, v15, 20, 11
	v_cndmask_b32_e64 v5, 0, 1, vcc
	v_lshrrev_b32_e32 v14, 16, v15
	v_sub_u32_e32 v15, 0x3f1, v10
	v_and_or_b32 v5, v8, s1, v5
	v_add_u32_e32 v10, 0xfffffc10, v10
	v_med3_i32 v8, v15, 0, 13
	v_or_b32_e32 v15, 0x1000, v5
	v_lshl_or_b32 v16, v10, 12, v5
	v_cmp_ne_u32_e32 vcc, 0, v5
	v_lshrrev_b32_e32 v5, v8, v15
	v_lshlrev_b32_e32 v8, v8, v5
	v_cndmask_b32_e32 v3, v1, v3, vcc
	v_cmp_ne_u32_e32 vcc, v8, v15
	v_cndmask_b32_e64 v8, 0, 1, vcc
	v_or_b32_e32 v5, v5, v8
	v_cmp_gt_i32_e32 vcc, 1, v10
	v_cndmask_b32_e32 v5, v16, v5, vcc
	v_and_b32_e32 v8, 7, v5
	v_cmp_lt_i32_e32 vcc, 5, v8
	v_cndmask_b32_e64 v15, 0, 1, vcc
	v_cmp_eq_u32_e32 vcc, 3, v8
	v_cndmask_b32_e64 v8, 0, 1, vcc
	v_lshrrev_b32_e32 v5, 2, v5
	v_or_b32_e32 v8, v8, v15
	v_add_u32_e32 v5, v5, v8
	v_cmp_gt_i32_e32 vcc, 31, v10
	v_cndmask_b32_e32 v1, v1, v5, vcc
	v_cmp_eq_u32_e32 vcc, s5, v10
	v_cndmask_b32_e32 v1, v1, v3, vcc
	v_and_or_b32 v1, v14, s6, v1
	s_mov_b64 s[0:1], 0
	s_branch .LBB56_1231
.LBB56_1227:
                                        ; implicit-def: $vgpr1
	s_branch .LBB56_1248
.LBB56_1228:
                                        ; implicit-def: $vgpr1
	s_branch .LBB56_1237
.LBB56_1229:
	s_mov_b64 s[0:1], -1
                                        ; implicit-def: $vgpr1
	s_branch .LBB56_1234
.LBB56_1230:
	s_mov_b64 s[0:1], -1
                                        ; implicit-def: $vgpr1
.LBB56_1231:
	s_andn2_b64 vcc, exec, s[0:1]
	s_cbranch_vccnz .LBB56_1233
; %bb.1232:
	global_load_dword v1, v[12:13], off
	s_waitcnt vmcnt(0)
	v_cvt_f16_f32_e32 v1, v1
.LBB56_1233:
	s_mov_b64 s[0:1], 0
.LBB56_1234:
	s_andn2_b64 vcc, exec, s[0:1]
	s_cbranch_vccnz .LBB56_1236
; %bb.1235:
	global_load_dword v1, v[12:13], off
.LBB56_1236:
	s_cbranch_execnz .LBB56_1247
.LBB56_1237:
	s_cmp_lt_i32 s4, 6
	s_cbranch_scc1 .LBB56_1240
; %bb.1238:
	s_cmp_gt_i32 s4, 6
	s_cbranch_scc0 .LBB56_1241
; %bb.1239:
	global_load_dwordx2 v[14:15], v[12:13], off
	s_movk_i32 s0, 0x1ff
	s_movk_i32 s1, 0xffe
	s_waitcnt vmcnt(1)
	v_mov_b32_e32 v1, 0x7c00
	v_mov_b32_e32 v3, 0x7e00
	s_movk_i32 s5, 0x40f
	s_mov_b32 s6, 0x8000
	s_waitcnt vmcnt(0)
	v_and_or_b32 v5, v15, s0, v14
	v_cmp_ne_u32_e32 vcc, 0, v5
	v_lshrrev_b32_e32 v8, 8, v15
	v_bfe_u32 v10, v15, 20, 11
	v_cndmask_b32_e64 v5, 0, 1, vcc
	v_lshrrev_b32_e32 v14, 16, v15
	v_sub_u32_e32 v15, 0x3f1, v10
	v_and_or_b32 v5, v8, s1, v5
	v_add_u32_e32 v10, 0xfffffc10, v10
	v_med3_i32 v8, v15, 0, 13
	v_or_b32_e32 v15, 0x1000, v5
	v_lshl_or_b32 v16, v10, 12, v5
	v_cmp_ne_u32_e32 vcc, 0, v5
	v_lshrrev_b32_e32 v5, v8, v15
	v_lshlrev_b32_e32 v8, v8, v5
	v_cndmask_b32_e32 v3, v1, v3, vcc
	v_cmp_ne_u32_e32 vcc, v8, v15
	v_cndmask_b32_e64 v8, 0, 1, vcc
	v_or_b32_e32 v5, v5, v8
	v_cmp_gt_i32_e32 vcc, 1, v10
	v_cndmask_b32_e32 v5, v16, v5, vcc
	v_and_b32_e32 v8, 7, v5
	v_cmp_lt_i32_e32 vcc, 5, v8
	v_cndmask_b32_e64 v15, 0, 1, vcc
	v_cmp_eq_u32_e32 vcc, 3, v8
	v_cndmask_b32_e64 v8, 0, 1, vcc
	v_lshrrev_b32_e32 v5, 2, v5
	v_or_b32_e32 v8, v8, v15
	v_add_u32_e32 v5, v5, v8
	v_cmp_gt_i32_e32 vcc, 31, v10
	v_cndmask_b32_e32 v1, v1, v5, vcc
	v_cmp_eq_u32_e32 vcc, s5, v10
	v_cndmask_b32_e32 v1, v1, v3, vcc
	v_and_or_b32 v1, v14, s6, v1
	s_mov_b64 s[0:1], 0
	s_branch .LBB56_1242
.LBB56_1240:
	s_mov_b64 s[0:1], -1
                                        ; implicit-def: $vgpr1
	s_branch .LBB56_1245
.LBB56_1241:
	s_mov_b64 s[0:1], -1
                                        ; implicit-def: $vgpr1
.LBB56_1242:
	s_andn2_b64 vcc, exec, s[0:1]
	s_cbranch_vccnz .LBB56_1244
; %bb.1243:
	global_load_dword v1, v[12:13], off
	s_waitcnt vmcnt(0)
	v_cvt_f16_f32_e32 v1, v1
.LBB56_1244:
	s_mov_b64 s[0:1], 0
.LBB56_1245:
	s_andn2_b64 vcc, exec, s[0:1]
	s_cbranch_vccnz .LBB56_1247
; %bb.1246:
	global_load_ushort v1, v[12:13], off
.LBB56_1247:
	s_cbranch_execnz .LBB56_1266
.LBB56_1248:
	s_cmp_lt_i32 s4, 2
	s_cbranch_scc1 .LBB56_1252
; %bb.1249:
	s_cmp_lt_i32 s4, 3
	s_cbranch_scc1 .LBB56_1253
; %bb.1250:
	s_cmp_gt_i32 s4, 3
	s_cbranch_scc0 .LBB56_1254
; %bb.1251:
	global_load_dwordx2 v[14:15], v[12:13], off
	s_mov_b64 s[0:1], 0
	s_waitcnt vmcnt(0)
	v_xor_b32_e32 v3, v14, v15
	v_ffbh_i32_e32 v1, v15
	v_ashrrev_i32_e32 v3, 31, v3
	v_add_u32_e32 v1, -1, v1
	v_add_u32_e32 v3, 32, v3
	v_min_u32_e32 v1, v1, v3
	v_lshlrev_b64 v[14:15], v1, v[14:15]
	v_sub_u32_e32 v1, 32, v1
	v_min_u32_e32 v3, 1, v14
	v_or_b32_e32 v3, v15, v3
	v_cvt_f32_i32_e32 v3, v3
	v_ldexp_f32 v1, v3, v1
	v_cvt_f16_f32_e32 v1, v1
	s_branch .LBB56_1255
.LBB56_1252:
                                        ; implicit-def: $vgpr1
	s_branch .LBB56_1261
.LBB56_1253:
	s_mov_b64 s[0:1], -1
                                        ; implicit-def: $vgpr1
	s_branch .LBB56_1258
.LBB56_1254:
	s_mov_b64 s[0:1], -1
                                        ; implicit-def: $vgpr1
.LBB56_1255:
	s_andn2_b64 vcc, exec, s[0:1]
	s_cbranch_vccnz .LBB56_1257
; %bb.1256:
	global_load_dword v1, v[12:13], off
	s_waitcnt vmcnt(0)
	v_cvt_f32_i32_e32 v1, v1
	v_cvt_f16_f32_e32 v1, v1
.LBB56_1257:
	s_mov_b64 s[0:1], 0
.LBB56_1258:
	s_andn2_b64 vcc, exec, s[0:1]
	s_cbranch_vccnz .LBB56_1260
; %bb.1259:
	global_load_ushort v1, v[12:13], off
	s_waitcnt vmcnt(0)
	v_cvt_f16_i16_e32 v1, v1
.LBB56_1260:
	s_cbranch_execnz .LBB56_1266
.LBB56_1261:
	s_cmp_gt_i32 s4, 0
	s_cbranch_scc0 .LBB56_1263
; %bb.1262:
	global_load_sbyte v1, v[12:13], off
	s_mov_b64 s[0:1], 0
	s_waitcnt vmcnt(0)
	v_cvt_f16_i16_e32 v1, v1
	s_branch .LBB56_1264
.LBB56_1263:
	s_mov_b64 s[0:1], -1
                                        ; implicit-def: $vgpr1
.LBB56_1264:
	s_andn2_b64 vcc, exec, s[0:1]
	s_cbranch_vccnz .LBB56_1266
; %bb.1265:
	global_load_ubyte v1, v[12:13], off
	s_waitcnt vmcnt(0)
	v_cvt_f16_u16_e32 v1, v1
.LBB56_1266:
.LBB56_1267:
	s_lshr_b32 s0, s16, 16
	s_waitcnt vmcnt(0)
	v_mov_b32_e32 v3, s11
	s_and_b32 s17, s0, 0xff
	v_add_co_u32_e32 v10, vcc, s10, v11
	s_cmp_lt_i32 s17, 11
	v_addc_co_u32_e32 v11, vcc, 0, v3, vcc
	s_cbranch_scc1 .LBB56_1274
; %bb.1268:
	s_and_b32 s18, 0xffff, s17
	s_cmp_gt_i32 s18, 25
	s_mov_b64 s[4:5], 0
	s_cbranch_scc0 .LBB56_1276
; %bb.1269:
	s_cmp_gt_i32 s18, 28
	s_cbranch_scc0 .LBB56_1277
; %bb.1270:
	s_cmp_gt_i32 s18, 43
	;; [unrolled: 3-line block ×3, first 2 shown]
	s_cbranch_scc0 .LBB56_1280
; %bb.1272:
	s_cmp_eq_u32 s18, 46
	s_mov_b64 s[12:13], 0
	s_cbranch_scc0 .LBB56_1283
; %bb.1273:
	global_load_dword v3, v[10:11], off
	s_mov_b64 s[0:1], 0
	s_mov_b64 s[6:7], -1
	s_waitcnt vmcnt(0)
	v_lshlrev_b32_e32 v3, 16, v3
	v_cvt_f16_f32_e32 v3, v3
	s_branch .LBB56_1284
.LBB56_1274:
	s_mov_b64 s[6:7], 0
                                        ; implicit-def: $vgpr3
	s_cbranch_execnz .LBB56_1349
.LBB56_1275:
	s_andn2_b64 vcc, exec, s[6:7]
	s_cbranch_vccnz .LBB56_2088
	s_branch .LBB56_1396
.LBB56_1276:
	s_mov_b64 s[6:7], 0
	s_mov_b64 s[0:1], 0
                                        ; implicit-def: $vgpr3
	s_cbranch_execnz .LBB56_1313
	s_branch .LBB56_1345
.LBB56_1277:
	s_mov_b64 s[12:13], -1
	s_mov_b64 s[6:7], 0
	s_mov_b64 s[0:1], 0
                                        ; implicit-def: $vgpr3
	s_branch .LBB56_1294
.LBB56_1278:
	s_mov_b64 s[12:13], -1
	s_mov_b64 s[6:7], 0
	s_mov_b64 s[0:1], 0
                                        ; implicit-def: $vgpr3
	s_branch .LBB56_1289
.LBB56_1279:
	s_or_b64 s[2:3], s[28:29], exec
	s_trap 2
	s_cbranch_execz .LBB56_1220
	s_branch .LBB56_1221
.LBB56_1280:
	s_mov_b64 s[12:13], -1
	s_mov_b64 s[6:7], 0
	s_mov_b64 s[0:1], 0
                                        ; implicit-def: $vgpr3
	s_branch .LBB56_1284
.LBB56_1281:
	s_andn2_saveexec_b64 s[16:17], s[16:17]
	s_cbranch_execz .LBB56_1011
.LBB56_1282:
	s_mov_b32 s20, 0x42800000
	v_add_f32_e64 v4, |v0|, s20
	v_and_b32_e32 v4, 0xff, v4
	v_cmp_ne_u32_e32 vcc, 0, v4
	s_andn2_b64 s[14:15], s[14:15], exec
	s_and_b64 s[20:21], vcc, exec
	s_or_b64 s[14:15], s[14:15], s[20:21]
	s_or_b64 exec, exec, s[16:17]
	v_mov_b32_e32 v5, 0
	s_and_saveexec_b64 s[16:17], s[14:15]
	s_cbranch_execnz .LBB56_1012
	s_branch .LBB56_1013
.LBB56_1283:
	s_mov_b64 s[0:1], -1
                                        ; implicit-def: $vgpr3
	s_mov_b64 s[6:7], 0
.LBB56_1284:
	s_and_b64 vcc, exec, s[12:13]
	s_cbranch_vccz .LBB56_1288
; %bb.1285:
	s_cmp_eq_u32 s18, 44
	s_cbranch_scc0 .LBB56_1287
; %bb.1286:
	global_load_ubyte v3, v[10:11], off
	s_movk_i32 s6, 0xff
	v_mov_b32_e32 v8, 0x7e00
	s_mov_b64 s[0:1], 0
	s_waitcnt vmcnt(0)
	v_lshlrev_b32_e32 v5, 23, v3
	v_cvt_f16_f32_e32 v5, v5
	v_cmp_ne_u32_e32 vcc, s6, v3
	s_mov_b64 s[6:7], -1
	v_cndmask_b32_e32 v5, v8, v5, vcc
	v_cmp_ne_u32_e32 vcc, 0, v3
	v_cndmask_b32_e32 v3, 0, v5, vcc
	s_branch .LBB56_1288
.LBB56_1287:
	s_mov_b64 s[0:1], -1
                                        ; implicit-def: $vgpr3
.LBB56_1288:
	s_mov_b64 s[12:13], 0
.LBB56_1289:
	s_and_b64 vcc, exec, s[12:13]
	s_cbranch_vccz .LBB56_1293
; %bb.1290:
	s_cmp_eq_u32 s18, 29
	s_cbranch_scc0 .LBB56_1292
; %bb.1291:
	global_load_dwordx2 v[12:13], v[10:11], off
	s_mov_b64 s[0:1], 0
	s_mov_b64 s[6:7], -1
	s_mov_b64 s[12:13], 0
	s_waitcnt vmcnt(0)
	v_ffbh_u32_e32 v3, v13
	v_min_u32_e32 v3, 32, v3
	v_lshlrev_b64 v[12:13], v3, v[12:13]
	v_sub_u32_e32 v3, 32, v3
	v_min_u32_e32 v5, 1, v12
	v_or_b32_e32 v5, v13, v5
	v_cvt_f32_u32_e32 v5, v5
	v_ldexp_f32 v3, v5, v3
	v_cvt_f16_f32_e32 v3, v3
	s_branch .LBB56_1294
.LBB56_1292:
	s_mov_b64 s[0:1], -1
                                        ; implicit-def: $vgpr3
.LBB56_1293:
	s_mov_b64 s[12:13], 0
.LBB56_1294:
	s_and_b64 vcc, exec, s[12:13]
	s_cbranch_vccz .LBB56_1312
; %bb.1295:
	s_cmp_lt_i32 s18, 27
	s_cbranch_scc1 .LBB56_1298
; %bb.1296:
	s_cmp_gt_i32 s18, 27
	s_cbranch_scc0 .LBB56_1299
; %bb.1297:
	global_load_dword v3, v[10:11], off
	s_mov_b64 s[6:7], 0
	s_waitcnt vmcnt(0)
	v_cvt_f32_u32_e32 v3, v3
	v_cvt_f16_f32_e32 v3, v3
	s_branch .LBB56_1300
.LBB56_1298:
	s_mov_b64 s[6:7], -1
                                        ; implicit-def: $vgpr3
	s_branch .LBB56_1303
.LBB56_1299:
	s_mov_b64 s[6:7], -1
                                        ; implicit-def: $vgpr3
.LBB56_1300:
	s_andn2_b64 vcc, exec, s[6:7]
	s_cbranch_vccnz .LBB56_1302
; %bb.1301:
	global_load_ushort v3, v[10:11], off
	s_waitcnt vmcnt(0)
	v_cvt_f16_u16_e32 v3, v3
.LBB56_1302:
	s_mov_b64 s[6:7], 0
.LBB56_1303:
	s_andn2_b64 vcc, exec, s[6:7]
	s_cbranch_vccnz .LBB56_1311
; %bb.1304:
	global_load_ubyte v5, v[10:11], off
	s_movk_i32 s6, 0x7f
	s_waitcnt vmcnt(0)
	v_cmp_lt_i16_e32 vcc, s6, v5
	s_mov_b64 s[6:7], 0
	s_and_saveexec_b64 s[12:13], vcc
	s_xor_b64 s[12:13], exec, s[12:13]
	s_cbranch_execz .LBB56_1324
; %bb.1305:
	s_movk_i32 s6, 0x80
	v_cmp_eq_u16_e32 vcc, s6, v5
	s_mov_b64 s[6:7], -1
	s_and_saveexec_b64 s[14:15], vcc
; %bb.1306:
	s_xor_b64 s[6:7], exec, -1
; %bb.1307:
	s_or_b64 exec, exec, s[14:15]
	s_and_b64 s[6:7], s[6:7], exec
	s_or_saveexec_b64 s[12:13], s[12:13]
	v_mov_b32_e32 v3, 0x7e00
	s_xor_b64 exec, exec, s[12:13]
	s_cbranch_execnz .LBB56_1325
.LBB56_1308:
	s_or_b64 exec, exec, s[12:13]
	s_and_saveexec_b64 s[12:13], s[6:7]
	s_cbranch_execz .LBB56_1310
.LBB56_1309:
	v_lshlrev_b32_e32 v3, 24, v5
	v_and_b32_e32 v5, 0xffff, v5
	v_and_b32_e32 v8, 7, v5
	v_ffbh_u32_e32 v13, v8
	v_min_u32_e32 v13, 32, v13
	v_subrev_u32_e32 v14, 28, v13
	v_bfe_u32 v12, v5, 3, 4
	v_lshlrev_b32_e32 v5, v14, v5
	v_sub_u32_e32 v13, 29, v13
	v_and_b32_e32 v5, 7, v5
	v_cmp_eq_u32_e32 vcc, 0, v12
	v_cndmask_b32_e32 v12, v12, v13, vcc
	v_cndmask_b32_e32 v5, v8, v5, vcc
	v_mov_b32_e32 v8, 0x3b800000
	v_lshlrev_b32_e32 v5, 20, v5
	v_and_b32_e32 v3, 0x80000000, v3
	v_lshl_add_u32 v8, v12, 23, v8
	v_or3_b32 v3, v3, v8, v5
	v_cvt_f16_f32_e32 v3, v3
.LBB56_1310:
	s_or_b64 exec, exec, s[12:13]
.LBB56_1311:
	s_mov_b64 s[6:7], -1
.LBB56_1312:
	s_branch .LBB56_1345
.LBB56_1313:
	s_cmp_gt_i32 s18, 22
	s_cbranch_scc0 .LBB56_1323
; %bb.1314:
	s_cmp_lt_i32 s18, 24
	s_cbranch_scc1 .LBB56_1326
; %bb.1315:
	s_cmp_gt_i32 s18, 24
	s_cbranch_scc0 .LBB56_1327
; %bb.1316:
	global_load_ubyte v5, v[10:11], off
	s_movk_i32 s4, 0x7f
	s_waitcnt vmcnt(0)
	v_cmp_lt_i16_e32 vcc, s4, v5
	s_mov_b64 s[4:5], 0
	s_and_saveexec_b64 s[6:7], vcc
	s_xor_b64 s[6:7], exec, s[6:7]
	s_cbranch_execz .LBB56_1339
; %bb.1317:
	s_movk_i32 s4, 0x80
	v_cmp_eq_u16_e32 vcc, s4, v5
	s_mov_b64 s[4:5], -1
	s_and_saveexec_b64 s[12:13], vcc
; %bb.1318:
	s_xor_b64 s[4:5], exec, -1
; %bb.1319:
	s_or_b64 exec, exec, s[12:13]
	s_and_b64 s[4:5], s[4:5], exec
	s_or_saveexec_b64 s[6:7], s[6:7]
	v_mov_b32_e32 v3, 0x7e00
	s_xor_b64 exec, exec, s[6:7]
	s_cbranch_execnz .LBB56_1340
.LBB56_1320:
	s_or_b64 exec, exec, s[6:7]
	s_and_saveexec_b64 s[6:7], s[4:5]
	s_cbranch_execz .LBB56_1322
.LBB56_1321:
	v_lshlrev_b32_e32 v3, 24, v5
	v_and_b32_e32 v5, 0xffff, v5
	v_and_b32_e32 v8, 3, v5
	v_ffbh_u32_e32 v13, v8
	v_min_u32_e32 v13, 32, v13
	v_subrev_u32_e32 v14, 29, v13
	v_bfe_u32 v12, v5, 2, 5
	v_lshlrev_b32_e32 v5, v14, v5
	v_sub_u32_e32 v13, 30, v13
	v_and_b32_e32 v5, 3, v5
	v_cmp_eq_u32_e32 vcc, 0, v12
	v_cndmask_b32_e32 v12, v12, v13, vcc
	v_cndmask_b32_e32 v5, v8, v5, vcc
	v_mov_b32_e32 v8, 0x37800000
	v_lshlrev_b32_e32 v5, 21, v5
	v_and_b32_e32 v3, 0x80000000, v3
	v_lshl_add_u32 v8, v12, 23, v8
	v_or3_b32 v3, v3, v8, v5
	v_cvt_f16_f32_e32 v3, v3
.LBB56_1322:
	s_or_b64 exec, exec, s[6:7]
	s_mov_b64 s[4:5], 0
	s_branch .LBB56_1328
.LBB56_1323:
	s_mov_b64 s[4:5], -1
                                        ; implicit-def: $vgpr3
	s_branch .LBB56_1334
.LBB56_1324:
	s_or_saveexec_b64 s[12:13], s[12:13]
	v_mov_b32_e32 v3, 0x7e00
	s_xor_b64 exec, exec, s[12:13]
	s_cbranch_execz .LBB56_1308
.LBB56_1325:
	v_cmp_ne_u16_e32 vcc, 0, v5
	s_andn2_b64 s[6:7], s[6:7], exec
	s_and_b64 s[14:15], vcc, exec
	s_or_b64 s[6:7], s[6:7], s[14:15]
	v_mov_b32_e32 v3, v5
	s_or_b64 exec, exec, s[12:13]
	s_and_saveexec_b64 s[12:13], s[6:7]
	s_cbranch_execnz .LBB56_1309
	s_branch .LBB56_1310
.LBB56_1326:
	s_mov_b64 s[4:5], -1
                                        ; implicit-def: $vgpr3
	s_branch .LBB56_1331
.LBB56_1327:
	s_mov_b64 s[4:5], -1
                                        ; implicit-def: $vgpr3
.LBB56_1328:
	s_and_b64 vcc, exec, s[4:5]
	s_cbranch_vccz .LBB56_1330
; %bb.1329:
	global_load_ubyte v3, v[10:11], off
	s_mov_b32 s4, 0x7f800000
	s_waitcnt vmcnt(0)
	v_lshlrev_b32_e32 v3, 24, v3
	v_and_b32_e32 v5, 0x7f000000, v3
	v_ffbh_u32_e32 v8, v5
	v_min_u32_e32 v8, 32, v8
	v_sub_u32_e64 v8, v8, 4 clamp
	v_lshlrev_b32_e32 v13, v8, v5
	v_lshlrev_b32_e32 v8, 23, v8
	v_lshrrev_b32_e32 v13, 4, v13
	v_add_u32_e32 v12, 0x1000000, v5
	v_sub_u32_e32 v8, v13, v8
	v_ashrrev_i32_e32 v12, 8, v12
	v_add_u32_e32 v8, 0x3c000000, v8
	v_and_or_b32 v8, v12, s4, v8
	v_cmp_ne_u32_e32 vcc, 0, v5
	v_cndmask_b32_e32 v5, 0, v8, vcc
	s_brev_b32 s4, 1
	v_and_or_b32 v3, v3, s4, v5
	v_cvt_f16_f32_e32 v3, v3
.LBB56_1330:
	s_mov_b64 s[4:5], 0
.LBB56_1331:
	s_andn2_b64 vcc, exec, s[4:5]
	s_cbranch_vccnz .LBB56_1333
; %bb.1332:
	global_load_ubyte v3, v[10:11], off
	s_movk_i32 s4, 0x7f00
	s_brev_b32 s5, 16
	s_waitcnt vmcnt(0)
	v_lshlrev_b16_e32 v5, 8, v3
	v_lshlrev_b32_e32 v3, 25, v3
	v_lshrrev_b32_e32 v8, 4, v3
	v_and_or_b32 v12, v5, s4, 0.5
	v_or_b32_e32 v8, 0x70000000, v8
	v_add_f32_e32 v12, -0.5, v12
	v_mul_f32_e32 v8, 0x7800000, v8
	v_cmp_gt_u32_e32 vcc, s5, v3
	v_bfe_i32 v5, v5, 0, 16
	v_cndmask_b32_e32 v3, v8, v12, vcc
	s_brev_b32 s4, 1
	v_and_or_b32 v3, v5, s4, v3
	v_cvt_f16_f32_e32 v3, v3
.LBB56_1333:
	s_mov_b64 s[4:5], 0
	s_mov_b64 s[6:7], -1
.LBB56_1334:
	s_andn2_b64 vcc, exec, s[4:5]
	s_mov_b64 s[4:5], 0
	s_cbranch_vccnz .LBB56_1345
; %bb.1335:
	s_cmp_gt_i32 s18, 14
	s_cbranch_scc0 .LBB56_1338
; %bb.1336:
	s_cmp_eq_u32 s18, 15
	s_cbranch_scc0 .LBB56_1341
; %bb.1337:
	global_load_ushort v3, v[10:11], off
	s_mov_b64 s[0:1], 0
	s_mov_b64 s[6:7], -1
	s_waitcnt vmcnt(0)
	v_lshlrev_b32_e32 v3, 16, v3
	v_cvt_f16_f32_e32 v3, v3
	s_branch .LBB56_1342
.LBB56_1338:
	s_mov_b64 s[12:13], -1
                                        ; implicit-def: $vgpr3
	s_branch .LBB56_1343
.LBB56_1339:
	s_or_saveexec_b64 s[6:7], s[6:7]
	v_mov_b32_e32 v3, 0x7e00
	s_xor_b64 exec, exec, s[6:7]
	s_cbranch_execz .LBB56_1320
.LBB56_1340:
	v_cmp_ne_u16_e32 vcc, 0, v5
	s_andn2_b64 s[4:5], s[4:5], exec
	s_and_b64 s[12:13], vcc, exec
	s_or_b64 s[4:5], s[4:5], s[12:13]
	v_mov_b32_e32 v3, v5
	s_or_b64 exec, exec, s[6:7]
	s_and_saveexec_b64 s[6:7], s[4:5]
	s_cbranch_execnz .LBB56_1321
	s_branch .LBB56_1322
.LBB56_1341:
	s_mov_b64 s[0:1], -1
                                        ; implicit-def: $vgpr3
.LBB56_1342:
	s_mov_b64 s[12:13], 0
.LBB56_1343:
	s_and_b64 vcc, exec, s[12:13]
	s_cbranch_vccz .LBB56_1345
; %bb.1344:
	s_cmp_lg_u32 s18, 11
	s_mov_b64 s[4:5], -1
	s_cselect_b64 s[0:1], -1, 0
.LBB56_1345:
	s_and_b64 vcc, exec, s[0:1]
	s_cbranch_vccnz .LBB56_1408
; %bb.1346:
	s_andn2_b64 vcc, exec, s[4:5]
	s_cbranch_vccnz .LBB56_1348
.LBB56_1347:
	global_load_ubyte v3, v[10:11], off
	v_mov_b32_e32 v5, 0x3c00
	s_mov_b64 s[6:7], -1
	s_waitcnt vmcnt(0)
	v_cmp_ne_u16_e32 vcc, 0, v3
	v_cndmask_b32_e32 v3, 0, v5, vcc
.LBB56_1348:
	s_branch .LBB56_1275
.LBB56_1349:
	s_and_b32 s4, 0xffff, s17
	s_cmp_lt_i32 s4, 5
	s_cbranch_scc1 .LBB56_1354
; %bb.1350:
	s_cmp_lt_i32 s4, 8
	s_cbranch_scc1 .LBB56_1355
; %bb.1351:
	;; [unrolled: 3-line block ×3, first 2 shown]
	s_cmp_gt_i32 s4, 9
	s_cbranch_scc0 .LBB56_1357
; %bb.1353:
	global_load_dwordx2 v[12:13], v[10:11], off
	s_movk_i32 s0, 0x1ff
	s_movk_i32 s1, 0xffe
	v_mov_b32_e32 v3, 0x7c00
	v_mov_b32_e32 v5, 0x7e00
	s_movk_i32 s5, 0x40f
	s_mov_b32 s6, 0x8000
	s_waitcnt vmcnt(0)
	v_and_or_b32 v8, v13, s0, v12
	v_cmp_ne_u32_e32 vcc, 0, v8
	v_lshrrev_b32_e32 v12, 8, v13
	v_bfe_u32 v14, v13, 20, 11
	v_cndmask_b32_e64 v8, 0, 1, vcc
	v_sub_u32_e32 v15, 0x3f1, v14
	v_and_or_b32 v8, v12, s1, v8
	v_add_u32_e32 v14, 0xfffffc10, v14
	v_med3_i32 v12, v15, 0, 13
	v_or_b32_e32 v15, 0x1000, v8
	v_lshl_or_b32 v16, v14, 12, v8
	v_cmp_ne_u32_e32 vcc, 0, v8
	v_lshrrev_b32_e32 v8, v12, v15
	v_lshlrev_b32_e32 v12, v12, v8
	v_cndmask_b32_e32 v5, v3, v5, vcc
	v_cmp_ne_u32_e32 vcc, v12, v15
	v_cndmask_b32_e64 v12, 0, 1, vcc
	v_or_b32_e32 v8, v8, v12
	v_cmp_gt_i32_e32 vcc, 1, v14
	v_cndmask_b32_e32 v8, v16, v8, vcc
	v_and_b32_e32 v12, 7, v8
	v_cmp_lt_i32_e32 vcc, 5, v12
	v_cndmask_b32_e64 v15, 0, 1, vcc
	v_cmp_eq_u32_e32 vcc, 3, v12
	v_cndmask_b32_e64 v12, 0, 1, vcc
	v_lshrrev_b32_e32 v8, 2, v8
	v_or_b32_e32 v12, v12, v15
	v_add_u32_e32 v8, v8, v12
	v_cmp_gt_i32_e32 vcc, 31, v14
	v_cndmask_b32_e32 v3, v3, v8, vcc
	v_cmp_eq_u32_e32 vcc, s5, v14
	v_lshrrev_b32_e32 v13, 16, v13
	v_cndmask_b32_e32 v3, v3, v5, vcc
	v_and_or_b32 v3, v13, s6, v3
	s_mov_b64 s[0:1], 0
	s_branch .LBB56_1358
.LBB56_1354:
                                        ; implicit-def: $vgpr3
	s_branch .LBB56_1376
.LBB56_1355:
	s_mov_b64 s[0:1], -1
                                        ; implicit-def: $vgpr3
	s_branch .LBB56_1364
.LBB56_1356:
	s_mov_b64 s[0:1], -1
                                        ; implicit-def: $vgpr3
	s_branch .LBB56_1361
.LBB56_1357:
	s_mov_b64 s[0:1], -1
                                        ; implicit-def: $vgpr3
.LBB56_1358:
	s_andn2_b64 vcc, exec, s[0:1]
	s_cbranch_vccnz .LBB56_1360
; %bb.1359:
	global_load_dword v3, v[10:11], off
	s_waitcnt vmcnt(0)
	v_cvt_f16_f32_e32 v3, v3
.LBB56_1360:
	s_mov_b64 s[0:1], 0
.LBB56_1361:
	s_andn2_b64 vcc, exec, s[0:1]
	s_cbranch_vccnz .LBB56_1363
; %bb.1362:
	global_load_dword v3, v[10:11], off
.LBB56_1363:
	s_mov_b64 s[0:1], 0
.LBB56_1364:
	s_andn2_b64 vcc, exec, s[0:1]
	s_cbranch_vccnz .LBB56_1375
; %bb.1365:
	s_cmp_lt_i32 s4, 6
	s_cbranch_scc1 .LBB56_1368
; %bb.1366:
	s_cmp_gt_i32 s4, 6
	s_cbranch_scc0 .LBB56_1369
; %bb.1367:
	global_load_dwordx2 v[12:13], v[10:11], off
	s_movk_i32 s0, 0x1ff
	s_movk_i32 s1, 0xffe
	s_waitcnt vmcnt(1)
	v_mov_b32_e32 v3, 0x7c00
	v_mov_b32_e32 v5, 0x7e00
	s_movk_i32 s5, 0x40f
	s_mov_b32 s6, 0x8000
	s_waitcnt vmcnt(0)
	v_and_or_b32 v8, v13, s0, v12
	v_cmp_ne_u32_e32 vcc, 0, v8
	v_lshrrev_b32_e32 v12, 8, v13
	v_bfe_u32 v14, v13, 20, 11
	v_cndmask_b32_e64 v8, 0, 1, vcc
	v_sub_u32_e32 v15, 0x3f1, v14
	v_and_or_b32 v8, v12, s1, v8
	v_add_u32_e32 v14, 0xfffffc10, v14
	v_med3_i32 v12, v15, 0, 13
	v_or_b32_e32 v15, 0x1000, v8
	v_lshl_or_b32 v16, v14, 12, v8
	v_cmp_ne_u32_e32 vcc, 0, v8
	v_lshrrev_b32_e32 v8, v12, v15
	v_lshlrev_b32_e32 v12, v12, v8
	v_cndmask_b32_e32 v5, v3, v5, vcc
	v_cmp_ne_u32_e32 vcc, v12, v15
	v_cndmask_b32_e64 v12, 0, 1, vcc
	v_or_b32_e32 v8, v8, v12
	v_cmp_gt_i32_e32 vcc, 1, v14
	v_cndmask_b32_e32 v8, v16, v8, vcc
	v_and_b32_e32 v12, 7, v8
	v_cmp_lt_i32_e32 vcc, 5, v12
	v_cndmask_b32_e64 v15, 0, 1, vcc
	v_cmp_eq_u32_e32 vcc, 3, v12
	v_cndmask_b32_e64 v12, 0, 1, vcc
	v_lshrrev_b32_e32 v8, 2, v8
	v_or_b32_e32 v12, v12, v15
	v_add_u32_e32 v8, v8, v12
	v_cmp_gt_i32_e32 vcc, 31, v14
	v_cndmask_b32_e32 v3, v3, v8, vcc
	v_cmp_eq_u32_e32 vcc, s5, v14
	v_lshrrev_b32_e32 v13, 16, v13
	v_cndmask_b32_e32 v3, v3, v5, vcc
	v_and_or_b32 v3, v13, s6, v3
	s_mov_b64 s[0:1], 0
	s_branch .LBB56_1370
.LBB56_1368:
	s_mov_b64 s[0:1], -1
                                        ; implicit-def: $vgpr3
	s_branch .LBB56_1373
.LBB56_1369:
	s_mov_b64 s[0:1], -1
                                        ; implicit-def: $vgpr3
.LBB56_1370:
	s_andn2_b64 vcc, exec, s[0:1]
	s_cbranch_vccnz .LBB56_1372
; %bb.1371:
	global_load_dword v3, v[10:11], off
	s_waitcnt vmcnt(0)
	v_cvt_f16_f32_e32 v3, v3
.LBB56_1372:
	s_mov_b64 s[0:1], 0
.LBB56_1373:
	s_andn2_b64 vcc, exec, s[0:1]
	s_cbranch_vccnz .LBB56_1375
; %bb.1374:
	global_load_ushort v3, v[10:11], off
.LBB56_1375:
	s_cbranch_execnz .LBB56_1395
.LBB56_1376:
	s_cmp_lt_i32 s4, 2
	s_cbranch_scc1 .LBB56_1380
; %bb.1377:
	s_cmp_lt_i32 s4, 3
	s_cbranch_scc1 .LBB56_1381
; %bb.1378:
	s_cmp_gt_i32 s4, 3
	s_cbranch_scc0 .LBB56_1382
; %bb.1379:
	global_load_dwordx2 v[12:13], v[10:11], off
	s_mov_b64 s[0:1], 0
	s_waitcnt vmcnt(0)
	v_xor_b32_e32 v5, v12, v13
	v_ffbh_i32_e32 v3, v13
	v_ashrrev_i32_e32 v5, 31, v5
	v_add_u32_e32 v3, -1, v3
	v_add_u32_e32 v5, 32, v5
	v_min_u32_e32 v3, v3, v5
	v_lshlrev_b64 v[12:13], v3, v[12:13]
	v_sub_u32_e32 v3, 32, v3
	v_min_u32_e32 v5, 1, v12
	v_or_b32_e32 v5, v13, v5
	v_cvt_f32_i32_e32 v5, v5
	v_ldexp_f32 v3, v5, v3
	v_cvt_f16_f32_e32 v3, v3
	s_branch .LBB56_1383
.LBB56_1380:
	s_mov_b64 s[0:1], -1
                                        ; implicit-def: $vgpr3
	s_branch .LBB56_1389
.LBB56_1381:
	s_mov_b64 s[0:1], -1
                                        ; implicit-def: $vgpr3
	s_branch .LBB56_1386
.LBB56_1382:
	s_mov_b64 s[0:1], -1
                                        ; implicit-def: $vgpr3
.LBB56_1383:
	s_andn2_b64 vcc, exec, s[0:1]
	s_cbranch_vccnz .LBB56_1385
; %bb.1384:
	global_load_dword v3, v[10:11], off
	s_waitcnt vmcnt(0)
	v_cvt_f32_i32_e32 v3, v3
	v_cvt_f16_f32_e32 v3, v3
.LBB56_1385:
	s_mov_b64 s[0:1], 0
.LBB56_1386:
	s_andn2_b64 vcc, exec, s[0:1]
	s_cbranch_vccnz .LBB56_1388
; %bb.1387:
	global_load_ushort v3, v[10:11], off
	s_waitcnt vmcnt(0)
	v_cvt_f16_i16_e32 v3, v3
.LBB56_1388:
	s_mov_b64 s[0:1], 0
.LBB56_1389:
	s_andn2_b64 vcc, exec, s[0:1]
	s_cbranch_vccnz .LBB56_1395
; %bb.1390:
	s_cmp_gt_i32 s4, 0
	s_cbranch_scc0 .LBB56_1392
; %bb.1391:
	global_load_sbyte v3, v[10:11], off
	s_mov_b64 s[0:1], 0
	s_waitcnt vmcnt(0)
	v_cvt_f16_i16_e32 v3, v3
	s_branch .LBB56_1393
.LBB56_1392:
	s_mov_b64 s[0:1], -1
                                        ; implicit-def: $vgpr3
.LBB56_1393:
	s_andn2_b64 vcc, exec, s[0:1]
	s_cbranch_vccnz .LBB56_1395
; %bb.1394:
	global_load_ubyte v3, v[10:11], off
	s_waitcnt vmcnt(0)
	v_cvt_f16_u16_e32 v3, v3
.LBB56_1395:
.LBB56_1396:
	v_mov_b32_e32 v5, s11
	v_add_co_u32_e32 v8, vcc, s10, v9
	s_cmp_lt_i32 s17, 11
	v_addc_co_u32_e32 v9, vcc, 0, v5, vcc
	s_cbranch_scc1 .LBB56_1403
; %bb.1397:
	s_and_b32 s18, 0xffff, s17
	s_cmp_gt_i32 s18, 25
	s_mov_b64 s[4:5], 0
	s_cbranch_scc0 .LBB56_1405
; %bb.1398:
	s_cmp_gt_i32 s18, 28
	s_cbranch_scc0 .LBB56_1406
; %bb.1399:
	s_cmp_gt_i32 s18, 43
	;; [unrolled: 3-line block ×3, first 2 shown]
	s_cbranch_scc0 .LBB56_1409
; %bb.1401:
	s_cmp_eq_u32 s18, 46
	s_mov_b64 s[12:13], 0
	s_cbranch_scc0 .LBB56_1410
; %bb.1402:
	global_load_dword v5, v[8:9], off
	s_mov_b64 s[0:1], 0
	s_mov_b64 s[6:7], -1
	s_waitcnt vmcnt(0)
	v_lshlrev_b32_e32 v5, 16, v5
	v_cvt_f16_f32_e32 v10, v5
	s_branch .LBB56_1411
.LBB56_1403:
	s_mov_b64 s[6:7], 0
                                        ; implicit-def: $vgpr10
	s_cbranch_execnz .LBB56_1477
.LBB56_1404:
	s_andn2_b64 vcc, exec, s[6:7]
	s_cbranch_vccnz .LBB56_2088
	s_branch .LBB56_1525
.LBB56_1405:
	s_mov_b64 s[12:13], -1
	s_mov_b64 s[6:7], 0
	s_mov_b64 s[0:1], 0
                                        ; implicit-def: $vgpr10
	s_branch .LBB56_1440
.LBB56_1406:
	s_mov_b64 s[12:13], -1
	s_mov_b64 s[6:7], 0
	s_mov_b64 s[0:1], 0
                                        ; implicit-def: $vgpr10
	s_branch .LBB56_1421
.LBB56_1407:
	s_mov_b64 s[12:13], -1
	s_mov_b64 s[6:7], 0
	s_mov_b64 s[0:1], 0
                                        ; implicit-def: $vgpr10
	s_branch .LBB56_1416
.LBB56_1408:
	s_trap 2
	s_or_b64 s[2:3], s[2:3], exec
	s_cbranch_execz .LBB56_1347
	s_branch .LBB56_1348
.LBB56_1409:
	s_mov_b64 s[12:13], -1
	s_mov_b64 s[6:7], 0
	s_mov_b64 s[0:1], 0
                                        ; implicit-def: $vgpr10
	s_branch .LBB56_1411
.LBB56_1410:
	s_mov_b64 s[0:1], -1
                                        ; implicit-def: $vgpr10
	s_mov_b64 s[6:7], 0
.LBB56_1411:
	s_and_b64 vcc, exec, s[12:13]
	s_cbranch_vccz .LBB56_1415
; %bb.1412:
	s_cmp_eq_u32 s18, 44
	s_cbranch_scc0 .LBB56_1414
; %bb.1413:
	global_load_ubyte v5, v[8:9], off
	s_movk_i32 s6, 0xff
	v_mov_b32_e32 v11, 0x7e00
	s_mov_b64 s[0:1], 0
	s_waitcnt vmcnt(0)
	v_lshlrev_b32_e32 v10, 23, v5
	v_cvt_f16_f32_e32 v10, v10
	v_cmp_ne_u32_e32 vcc, s6, v5
	s_mov_b64 s[6:7], -1
	v_cndmask_b32_e32 v10, v11, v10, vcc
	v_cmp_ne_u32_e32 vcc, 0, v5
	v_cndmask_b32_e32 v10, 0, v10, vcc
	s_branch .LBB56_1415
.LBB56_1414:
	s_mov_b64 s[0:1], -1
                                        ; implicit-def: $vgpr10
.LBB56_1415:
	s_mov_b64 s[12:13], 0
.LBB56_1416:
	s_and_b64 vcc, exec, s[12:13]
	s_cbranch_vccz .LBB56_1420
; %bb.1417:
	s_cmp_eq_u32 s18, 29
	s_cbranch_scc0 .LBB56_1419
; %bb.1418:
	global_load_dwordx2 v[10:11], v[8:9], off
	s_mov_b64 s[0:1], 0
	s_mov_b64 s[6:7], -1
	s_mov_b64 s[12:13], 0
	s_waitcnt vmcnt(0)
	v_ffbh_u32_e32 v5, v11
	v_min_u32_e32 v5, 32, v5
	v_lshlrev_b64 v[10:11], v5, v[10:11]
	v_sub_u32_e32 v5, 32, v5
	v_min_u32_e32 v10, 1, v10
	v_or_b32_e32 v10, v11, v10
	v_cvt_f32_u32_e32 v10, v10
	v_ldexp_f32 v5, v10, v5
	v_cvt_f16_f32_e32 v10, v5
	s_branch .LBB56_1421
.LBB56_1419:
	s_mov_b64 s[0:1], -1
                                        ; implicit-def: $vgpr10
.LBB56_1420:
	s_mov_b64 s[12:13], 0
.LBB56_1421:
	s_and_b64 vcc, exec, s[12:13]
	s_cbranch_vccz .LBB56_1439
; %bb.1422:
	s_cmp_lt_i32 s18, 27
	s_cbranch_scc1 .LBB56_1425
; %bb.1423:
	s_cmp_gt_i32 s18, 27
	s_cbranch_scc0 .LBB56_1426
; %bb.1424:
	global_load_dword v5, v[8:9], off
	s_mov_b64 s[6:7], 0
	s_waitcnt vmcnt(0)
	v_cvt_f32_u32_e32 v5, v5
	v_cvt_f16_f32_e32 v10, v5
	s_branch .LBB56_1427
.LBB56_1425:
	s_mov_b64 s[6:7], -1
                                        ; implicit-def: $vgpr10
	s_branch .LBB56_1430
.LBB56_1426:
	s_mov_b64 s[6:7], -1
                                        ; implicit-def: $vgpr10
.LBB56_1427:
	s_andn2_b64 vcc, exec, s[6:7]
	s_cbranch_vccnz .LBB56_1429
; %bb.1428:
	global_load_ushort v5, v[8:9], off
	s_waitcnt vmcnt(0)
	v_cvt_f16_u16_e32 v10, v5
.LBB56_1429:
	s_mov_b64 s[6:7], 0
.LBB56_1430:
	s_andn2_b64 vcc, exec, s[6:7]
	s_cbranch_vccnz .LBB56_1438
; %bb.1431:
	global_load_ubyte v5, v[8:9], off
	s_movk_i32 s6, 0x7f
	s_waitcnt vmcnt(0)
	v_cmp_lt_i16_e32 vcc, s6, v5
	s_mov_b64 s[6:7], 0
	s_and_saveexec_b64 s[12:13], vcc
	s_xor_b64 s[12:13], exec, s[12:13]
	s_cbranch_execz .LBB56_1452
; %bb.1432:
	s_movk_i32 s6, 0x80
	v_cmp_eq_u16_e32 vcc, s6, v5
	s_mov_b64 s[6:7], -1
	s_and_saveexec_b64 s[14:15], vcc
; %bb.1433:
	s_xor_b64 s[6:7], exec, -1
; %bb.1434:
	s_or_b64 exec, exec, s[14:15]
	s_and_b64 s[6:7], s[6:7], exec
	s_or_saveexec_b64 s[12:13], s[12:13]
	v_mov_b32_e32 v10, 0x7e00
	s_xor_b64 exec, exec, s[12:13]
	s_cbranch_execnz .LBB56_1453
.LBB56_1435:
	s_or_b64 exec, exec, s[12:13]
	s_and_saveexec_b64 s[12:13], s[6:7]
	s_cbranch_execz .LBB56_1437
.LBB56_1436:
	v_lshlrev_b32_e32 v10, 24, v5
	v_and_b32_e32 v5, 0xffff, v5
	v_and_b32_e32 v11, 7, v5
	v_ffbh_u32_e32 v13, v11
	v_min_u32_e32 v13, 32, v13
	v_subrev_u32_e32 v14, 28, v13
	v_bfe_u32 v12, v5, 3, 4
	v_lshlrev_b32_e32 v5, v14, v5
	v_sub_u32_e32 v13, 29, v13
	v_and_b32_e32 v5, 7, v5
	v_cmp_eq_u32_e32 vcc, 0, v12
	v_cndmask_b32_e32 v12, v12, v13, vcc
	v_cndmask_b32_e32 v5, v11, v5, vcc
	v_mov_b32_e32 v11, 0x3b800000
	v_lshlrev_b32_e32 v5, 20, v5
	v_and_b32_e32 v10, 0x80000000, v10
	v_lshl_add_u32 v11, v12, 23, v11
	v_or3_b32 v5, v10, v11, v5
	v_cvt_f16_f32_e32 v10, v5
.LBB56_1437:
	s_or_b64 exec, exec, s[12:13]
.LBB56_1438:
	s_mov_b64 s[6:7], -1
.LBB56_1439:
	s_mov_b64 s[12:13], 0
.LBB56_1440:
	s_and_b64 vcc, exec, s[12:13]
	s_cbranch_vccz .LBB56_1473
; %bb.1441:
	s_cmp_gt_i32 s18, 22
	s_cbranch_scc0 .LBB56_1451
; %bb.1442:
	s_cmp_lt_i32 s18, 24
	s_cbranch_scc1 .LBB56_1454
; %bb.1443:
	s_cmp_gt_i32 s18, 24
	s_cbranch_scc0 .LBB56_1455
; %bb.1444:
	global_load_ubyte v5, v[8:9], off
	s_movk_i32 s4, 0x7f
	s_waitcnt vmcnt(0)
	v_cmp_lt_i16_e32 vcc, s4, v5
	s_mov_b64 s[4:5], 0
	s_and_saveexec_b64 s[6:7], vcc
	s_xor_b64 s[6:7], exec, s[6:7]
	s_cbranch_execz .LBB56_1467
; %bb.1445:
	s_movk_i32 s4, 0x80
	v_cmp_eq_u16_e32 vcc, s4, v5
	s_mov_b64 s[4:5], -1
	s_and_saveexec_b64 s[12:13], vcc
; %bb.1446:
	s_xor_b64 s[4:5], exec, -1
; %bb.1447:
	s_or_b64 exec, exec, s[12:13]
	s_and_b64 s[4:5], s[4:5], exec
	s_or_saveexec_b64 s[6:7], s[6:7]
	v_mov_b32_e32 v10, 0x7e00
	s_xor_b64 exec, exec, s[6:7]
	s_cbranch_execnz .LBB56_1468
.LBB56_1448:
	s_or_b64 exec, exec, s[6:7]
	s_and_saveexec_b64 s[6:7], s[4:5]
	s_cbranch_execz .LBB56_1450
.LBB56_1449:
	v_lshlrev_b32_e32 v10, 24, v5
	v_and_b32_e32 v5, 0xffff, v5
	v_and_b32_e32 v11, 3, v5
	v_ffbh_u32_e32 v13, v11
	v_min_u32_e32 v13, 32, v13
	v_subrev_u32_e32 v14, 29, v13
	v_bfe_u32 v12, v5, 2, 5
	v_lshlrev_b32_e32 v5, v14, v5
	v_sub_u32_e32 v13, 30, v13
	v_and_b32_e32 v5, 3, v5
	v_cmp_eq_u32_e32 vcc, 0, v12
	v_cndmask_b32_e32 v12, v12, v13, vcc
	v_cndmask_b32_e32 v5, v11, v5, vcc
	v_mov_b32_e32 v11, 0x37800000
	v_lshlrev_b32_e32 v5, 21, v5
	v_and_b32_e32 v10, 0x80000000, v10
	v_lshl_add_u32 v11, v12, 23, v11
	v_or3_b32 v5, v10, v11, v5
	v_cvt_f16_f32_e32 v10, v5
.LBB56_1450:
	s_or_b64 exec, exec, s[6:7]
	s_mov_b64 s[4:5], 0
	s_branch .LBB56_1456
.LBB56_1451:
	s_mov_b64 s[4:5], -1
                                        ; implicit-def: $vgpr10
	s_branch .LBB56_1462
.LBB56_1452:
	s_or_saveexec_b64 s[12:13], s[12:13]
	v_mov_b32_e32 v10, 0x7e00
	s_xor_b64 exec, exec, s[12:13]
	s_cbranch_execz .LBB56_1435
.LBB56_1453:
	v_cmp_ne_u16_e32 vcc, 0, v5
	s_andn2_b64 s[6:7], s[6:7], exec
	s_and_b64 s[14:15], vcc, exec
	s_or_b64 s[6:7], s[6:7], s[14:15]
	v_mov_b32_e32 v10, v5
	s_or_b64 exec, exec, s[12:13]
	s_and_saveexec_b64 s[12:13], s[6:7]
	s_cbranch_execnz .LBB56_1436
	s_branch .LBB56_1437
.LBB56_1454:
	s_mov_b64 s[4:5], -1
                                        ; implicit-def: $vgpr10
	s_branch .LBB56_1459
.LBB56_1455:
	s_mov_b64 s[4:5], -1
                                        ; implicit-def: $vgpr10
.LBB56_1456:
	s_and_b64 vcc, exec, s[4:5]
	s_cbranch_vccz .LBB56_1458
; %bb.1457:
	global_load_ubyte v5, v[8:9], off
	s_mov_b32 s4, 0x7f800000
	s_waitcnt vmcnt(0)
	v_lshlrev_b32_e32 v5, 24, v5
	v_and_b32_e32 v10, 0x7f000000, v5
	v_ffbh_u32_e32 v11, v10
	v_min_u32_e32 v11, 32, v11
	v_sub_u32_e64 v11, v11, 4 clamp
	v_lshlrev_b32_e32 v13, v11, v10
	v_lshlrev_b32_e32 v11, 23, v11
	v_lshrrev_b32_e32 v13, 4, v13
	v_add_u32_e32 v12, 0x1000000, v10
	v_sub_u32_e32 v11, v13, v11
	v_ashrrev_i32_e32 v12, 8, v12
	v_add_u32_e32 v11, 0x3c000000, v11
	v_and_or_b32 v11, v12, s4, v11
	v_cmp_ne_u32_e32 vcc, 0, v10
	v_cndmask_b32_e32 v10, 0, v11, vcc
	s_brev_b32 s4, 1
	v_and_or_b32 v5, v5, s4, v10
	v_cvt_f16_f32_e32 v10, v5
.LBB56_1458:
	s_mov_b64 s[4:5], 0
.LBB56_1459:
	s_andn2_b64 vcc, exec, s[4:5]
	s_cbranch_vccnz .LBB56_1461
; %bb.1460:
	global_load_ubyte v5, v[8:9], off
	s_movk_i32 s4, 0x7f00
	s_brev_b32 s5, 16
	s_waitcnt vmcnt(0)
	v_lshlrev_b16_e32 v10, 8, v5
	v_lshlrev_b32_e32 v5, 25, v5
	v_lshrrev_b32_e32 v11, 4, v5
	v_and_or_b32 v12, v10, s4, 0.5
	v_or_b32_e32 v11, 0x70000000, v11
	v_add_f32_e32 v12, -0.5, v12
	v_mul_f32_e32 v11, 0x7800000, v11
	v_cmp_gt_u32_e32 vcc, s5, v5
	v_bfe_i32 v10, v10, 0, 16
	v_cndmask_b32_e32 v5, v11, v12, vcc
	s_brev_b32 s4, 1
	v_and_or_b32 v5, v10, s4, v5
	v_cvt_f16_f32_e32 v10, v5
.LBB56_1461:
	s_mov_b64 s[4:5], 0
	s_mov_b64 s[6:7], -1
.LBB56_1462:
	s_andn2_b64 vcc, exec, s[4:5]
	s_mov_b64 s[4:5], 0
	s_cbranch_vccnz .LBB56_1473
; %bb.1463:
	s_cmp_gt_i32 s18, 14
	s_cbranch_scc0 .LBB56_1466
; %bb.1464:
	s_cmp_eq_u32 s18, 15
	s_cbranch_scc0 .LBB56_1469
; %bb.1465:
	global_load_ushort v5, v[8:9], off
	s_mov_b64 s[0:1], 0
	s_mov_b64 s[6:7], -1
	s_waitcnt vmcnt(0)
	v_lshlrev_b32_e32 v5, 16, v5
	v_cvt_f16_f32_e32 v10, v5
	s_branch .LBB56_1470
.LBB56_1466:
	s_mov_b64 s[12:13], -1
                                        ; implicit-def: $vgpr10
	s_branch .LBB56_1471
.LBB56_1467:
	s_or_saveexec_b64 s[6:7], s[6:7]
	v_mov_b32_e32 v10, 0x7e00
	s_xor_b64 exec, exec, s[6:7]
	s_cbranch_execz .LBB56_1448
.LBB56_1468:
	v_cmp_ne_u16_e32 vcc, 0, v5
	s_andn2_b64 s[4:5], s[4:5], exec
	s_and_b64 s[12:13], vcc, exec
	s_or_b64 s[4:5], s[4:5], s[12:13]
	v_mov_b32_e32 v10, v5
	s_or_b64 exec, exec, s[6:7]
	s_and_saveexec_b64 s[6:7], s[4:5]
	s_cbranch_execnz .LBB56_1449
	s_branch .LBB56_1450
.LBB56_1469:
	s_mov_b64 s[0:1], -1
                                        ; implicit-def: $vgpr10
.LBB56_1470:
	s_mov_b64 s[12:13], 0
.LBB56_1471:
	s_and_b64 vcc, exec, s[12:13]
	s_cbranch_vccz .LBB56_1473
; %bb.1472:
	s_cmp_lg_u32 s18, 11
	s_mov_b64 s[4:5], -1
	s_cselect_b64 s[0:1], -1, 0
.LBB56_1473:
	s_and_b64 vcc, exec, s[0:1]
	s_cbranch_vccnz .LBB56_1536
; %bb.1474:
	s_andn2_b64 vcc, exec, s[4:5]
	s_cbranch_vccnz .LBB56_1476
.LBB56_1475:
	global_load_ubyte v5, v[8:9], off
	v_mov_b32_e32 v10, 0x3c00
	s_mov_b64 s[6:7], -1
	s_waitcnt vmcnt(0)
	v_cmp_ne_u16_e32 vcc, 0, v5
	v_cndmask_b32_e32 v10, 0, v10, vcc
.LBB56_1476:
	s_branch .LBB56_1404
.LBB56_1477:
	s_and_b32 s4, 0xffff, s17
	s_cmp_lt_i32 s4, 5
	s_cbranch_scc1 .LBB56_1482
; %bb.1478:
	s_cmp_lt_i32 s4, 8
	s_cbranch_scc1 .LBB56_1483
; %bb.1479:
	s_cmp_lt_i32 s4, 9
	s_cbranch_scc1 .LBB56_1484
; %bb.1480:
	s_cmp_gt_i32 s4, 9
	s_cbranch_scc0 .LBB56_1485
; %bb.1481:
	global_load_dwordx2 v[10:11], v[8:9], off
	s_movk_i32 s0, 0x1ff
	s_movk_i32 s1, 0xffe
	v_mov_b32_e32 v5, 0x7c00
	v_mov_b32_e32 v12, 0x7e00
	s_movk_i32 s5, 0x40f
	s_mov_b32 s6, 0x8000
	s_waitcnt vmcnt(0)
	v_and_or_b32 v10, v11, s0, v10
	v_cmp_ne_u32_e32 vcc, 0, v10
	v_lshrrev_b32_e32 v13, 8, v11
	v_bfe_u32 v14, v11, 20, 11
	v_cndmask_b32_e64 v10, 0, 1, vcc
	v_sub_u32_e32 v15, 0x3f1, v14
	v_and_or_b32 v10, v13, s1, v10
	v_add_u32_e32 v14, 0xfffffc10, v14
	v_med3_i32 v13, v15, 0, 13
	v_or_b32_e32 v15, 0x1000, v10
	v_cmp_ne_u32_e32 vcc, 0, v10
	v_lshl_or_b32 v16, v14, 12, v10
	v_cndmask_b32_e32 v10, v5, v12, vcc
	v_lshrrev_b32_e32 v12, v13, v15
	v_lshlrev_b32_e32 v13, v13, v12
	v_cmp_ne_u32_e32 vcc, v13, v15
	v_cndmask_b32_e64 v13, 0, 1, vcc
	v_or_b32_e32 v12, v12, v13
	v_cmp_gt_i32_e32 vcc, 1, v14
	v_cndmask_b32_e32 v12, v16, v12, vcc
	v_and_b32_e32 v13, 7, v12
	v_cmp_lt_i32_e32 vcc, 5, v13
	v_cndmask_b32_e64 v15, 0, 1, vcc
	v_cmp_eq_u32_e32 vcc, 3, v13
	v_cndmask_b32_e64 v13, 0, 1, vcc
	v_lshrrev_b32_e32 v12, 2, v12
	v_or_b32_e32 v13, v13, v15
	v_add_u32_e32 v12, v12, v13
	v_cmp_gt_i32_e32 vcc, 31, v14
	v_cndmask_b32_e32 v5, v5, v12, vcc
	v_cmp_eq_u32_e32 vcc, s5, v14
	v_lshrrev_b32_e32 v11, 16, v11
	v_cndmask_b32_e32 v5, v5, v10, vcc
	v_and_or_b32 v10, v11, s6, v5
	s_mov_b64 s[0:1], 0
	s_branch .LBB56_1486
.LBB56_1482:
	s_mov_b64 s[0:1], -1
                                        ; implicit-def: $vgpr10
	s_branch .LBB56_1504
.LBB56_1483:
	s_mov_b64 s[0:1], -1
                                        ; implicit-def: $vgpr10
	s_branch .LBB56_1492
.LBB56_1484:
	s_mov_b64 s[0:1], -1
                                        ; implicit-def: $vgpr10
	s_branch .LBB56_1489
.LBB56_1485:
	s_mov_b64 s[0:1], -1
                                        ; implicit-def: $vgpr10
.LBB56_1486:
	s_andn2_b64 vcc, exec, s[0:1]
	s_cbranch_vccnz .LBB56_1488
; %bb.1487:
	global_load_dword v5, v[8:9], off
	s_waitcnt vmcnt(0)
	v_cvt_f16_f32_e32 v10, v5
.LBB56_1488:
	s_mov_b64 s[0:1], 0
.LBB56_1489:
	s_andn2_b64 vcc, exec, s[0:1]
	s_cbranch_vccnz .LBB56_1491
; %bb.1490:
	global_load_dword v10, v[8:9], off
.LBB56_1491:
	s_mov_b64 s[0:1], 0
.LBB56_1492:
	s_andn2_b64 vcc, exec, s[0:1]
	s_cbranch_vccnz .LBB56_1503
; %bb.1493:
	s_cmp_lt_i32 s4, 6
	s_cbranch_scc1 .LBB56_1496
; %bb.1494:
	s_cmp_gt_i32 s4, 6
	s_cbranch_scc0 .LBB56_1497
; %bb.1495:
	global_load_dwordx2 v[10:11], v[8:9], off
	s_movk_i32 s0, 0x1ff
	s_movk_i32 s1, 0xffe
	v_mov_b32_e32 v5, 0x7c00
	v_mov_b32_e32 v12, 0x7e00
	s_movk_i32 s5, 0x40f
	s_mov_b32 s6, 0x8000
	s_waitcnt vmcnt(0)
	v_and_or_b32 v10, v11, s0, v10
	v_cmp_ne_u32_e32 vcc, 0, v10
	v_lshrrev_b32_e32 v13, 8, v11
	v_bfe_u32 v14, v11, 20, 11
	v_cndmask_b32_e64 v10, 0, 1, vcc
	v_sub_u32_e32 v15, 0x3f1, v14
	v_and_or_b32 v10, v13, s1, v10
	v_add_u32_e32 v14, 0xfffffc10, v14
	v_med3_i32 v13, v15, 0, 13
	v_or_b32_e32 v15, 0x1000, v10
	v_cmp_ne_u32_e32 vcc, 0, v10
	v_lshl_or_b32 v16, v14, 12, v10
	v_cndmask_b32_e32 v10, v5, v12, vcc
	v_lshrrev_b32_e32 v12, v13, v15
	v_lshlrev_b32_e32 v13, v13, v12
	v_cmp_ne_u32_e32 vcc, v13, v15
	v_cndmask_b32_e64 v13, 0, 1, vcc
	v_or_b32_e32 v12, v12, v13
	v_cmp_gt_i32_e32 vcc, 1, v14
	v_cndmask_b32_e32 v12, v16, v12, vcc
	v_and_b32_e32 v13, 7, v12
	v_cmp_lt_i32_e32 vcc, 5, v13
	v_cndmask_b32_e64 v15, 0, 1, vcc
	v_cmp_eq_u32_e32 vcc, 3, v13
	v_cndmask_b32_e64 v13, 0, 1, vcc
	v_lshrrev_b32_e32 v12, 2, v12
	v_or_b32_e32 v13, v13, v15
	v_add_u32_e32 v12, v12, v13
	v_cmp_gt_i32_e32 vcc, 31, v14
	v_cndmask_b32_e32 v5, v5, v12, vcc
	v_cmp_eq_u32_e32 vcc, s5, v14
	v_lshrrev_b32_e32 v11, 16, v11
	v_cndmask_b32_e32 v5, v5, v10, vcc
	v_and_or_b32 v10, v11, s6, v5
	s_mov_b64 s[0:1], 0
	s_branch .LBB56_1498
.LBB56_1496:
	s_mov_b64 s[0:1], -1
                                        ; implicit-def: $vgpr10
	s_branch .LBB56_1501
.LBB56_1497:
	s_mov_b64 s[0:1], -1
                                        ; implicit-def: $vgpr10
.LBB56_1498:
	s_andn2_b64 vcc, exec, s[0:1]
	s_cbranch_vccnz .LBB56_1500
; %bb.1499:
	global_load_dword v5, v[8:9], off
	s_waitcnt vmcnt(0)
	v_cvt_f16_f32_e32 v10, v5
.LBB56_1500:
	s_mov_b64 s[0:1], 0
.LBB56_1501:
	s_andn2_b64 vcc, exec, s[0:1]
	s_cbranch_vccnz .LBB56_1503
; %bb.1502:
	global_load_ushort v10, v[8:9], off
.LBB56_1503:
	s_mov_b64 s[0:1], 0
.LBB56_1504:
	s_andn2_b64 vcc, exec, s[0:1]
	s_cbranch_vccnz .LBB56_1524
; %bb.1505:
	s_cmp_lt_i32 s4, 2
	s_cbranch_scc1 .LBB56_1509
; %bb.1506:
	s_cmp_lt_i32 s4, 3
	s_cbranch_scc1 .LBB56_1510
; %bb.1507:
	s_cmp_gt_i32 s4, 3
	s_cbranch_scc0 .LBB56_1511
; %bb.1508:
	global_load_dwordx2 v[10:11], v[8:9], off
	s_mov_b64 s[0:1], 0
	s_waitcnt vmcnt(0)
	v_xor_b32_e32 v12, v10, v11
	v_ffbh_i32_e32 v5, v11
	v_ashrrev_i32_e32 v12, 31, v12
	v_add_u32_e32 v5, -1, v5
	v_add_u32_e32 v12, 32, v12
	v_min_u32_e32 v5, v5, v12
	v_lshlrev_b64 v[10:11], v5, v[10:11]
	v_sub_u32_e32 v5, 32, v5
	v_min_u32_e32 v10, 1, v10
	v_or_b32_e32 v10, v11, v10
	v_cvt_f32_i32_e32 v10, v10
	v_ldexp_f32 v5, v10, v5
	v_cvt_f16_f32_e32 v10, v5
	s_branch .LBB56_1512
.LBB56_1509:
	s_mov_b64 s[0:1], -1
                                        ; implicit-def: $vgpr10
	s_branch .LBB56_1518
.LBB56_1510:
	s_mov_b64 s[0:1], -1
                                        ; implicit-def: $vgpr10
	s_branch .LBB56_1515
.LBB56_1511:
	s_mov_b64 s[0:1], -1
                                        ; implicit-def: $vgpr10
.LBB56_1512:
	s_andn2_b64 vcc, exec, s[0:1]
	s_cbranch_vccnz .LBB56_1514
; %bb.1513:
	global_load_dword v5, v[8:9], off
	s_waitcnt vmcnt(0)
	v_cvt_f32_i32_e32 v5, v5
	v_cvt_f16_f32_e32 v10, v5
.LBB56_1514:
	s_mov_b64 s[0:1], 0
.LBB56_1515:
	s_andn2_b64 vcc, exec, s[0:1]
	s_cbranch_vccnz .LBB56_1517
; %bb.1516:
	global_load_ushort v5, v[8:9], off
	s_waitcnt vmcnt(0)
	v_cvt_f16_i16_e32 v10, v5
.LBB56_1517:
	s_mov_b64 s[0:1], 0
.LBB56_1518:
	s_andn2_b64 vcc, exec, s[0:1]
	s_cbranch_vccnz .LBB56_1524
; %bb.1519:
	s_cmp_gt_i32 s4, 0
	s_cbranch_scc0 .LBB56_1521
; %bb.1520:
	global_load_sbyte v5, v[8:9], off
	s_mov_b64 s[0:1], 0
	s_waitcnt vmcnt(0)
	v_cvt_f16_i16_e32 v10, v5
	s_branch .LBB56_1522
.LBB56_1521:
	s_mov_b64 s[0:1], -1
                                        ; implicit-def: $vgpr10
.LBB56_1522:
	s_andn2_b64 vcc, exec, s[0:1]
	s_cbranch_vccnz .LBB56_1524
; %bb.1523:
	global_load_ubyte v5, v[8:9], off
	s_waitcnt vmcnt(0)
	v_cvt_f16_u16_e32 v10, v5
.LBB56_1524:
.LBB56_1525:
	v_mov_b32_e32 v5, s11
	v_add_co_u32_e32 v7, vcc, s10, v7
	s_cmp_lt_i32 s17, 11
	v_addc_co_u32_e32 v8, vcc, 0, v5, vcc
	s_cbranch_scc1 .LBB56_1532
; %bb.1526:
	s_and_b32 s14, 0xffff, s17
	s_cmp_gt_i32 s14, 25
	s_mov_b64 s[4:5], 0
	s_cbranch_scc0 .LBB56_1533
; %bb.1527:
	s_cmp_gt_i32 s14, 28
	s_cbranch_scc0 .LBB56_1534
; %bb.1528:
	s_cmp_gt_i32 s14, 43
	s_cbranch_scc0 .LBB56_1535
; %bb.1529:
	s_cmp_gt_i32 s14, 45
	s_cbranch_scc0 .LBB56_1537
; %bb.1530:
	s_cmp_eq_u32 s14, 46
	s_mov_b64 s[10:11], 0
	s_cbranch_scc0 .LBB56_1538
; %bb.1531:
	global_load_dword v5, v[7:8], off
	s_mov_b64 s[0:1], 0
	s_mov_b64 s[6:7], -1
	s_waitcnt vmcnt(0)
	v_lshlrev_b32_e32 v5, 16, v5
	v_cvt_f16_f32_e32 v9, v5
	s_branch .LBB56_1539
.LBB56_1532:
	s_mov_b64 s[0:1], -1
	s_mov_b64 s[6:7], 0
                                        ; implicit-def: $vgpr9
	s_branch .LBB56_1605
.LBB56_1533:
	s_mov_b64 s[10:11], -1
	s_mov_b64 s[6:7], 0
	s_mov_b64 s[0:1], 0
                                        ; implicit-def: $vgpr9
	s_branch .LBB56_1568
.LBB56_1534:
	s_mov_b64 s[10:11], -1
	s_mov_b64 s[6:7], 0
	s_mov_b64 s[0:1], 0
                                        ; implicit-def: $vgpr9
	s_branch .LBB56_1549
.LBB56_1535:
	s_mov_b64 s[10:11], -1
	s_mov_b64 s[6:7], 0
	s_mov_b64 s[0:1], 0
                                        ; implicit-def: $vgpr9
	s_branch .LBB56_1544
.LBB56_1536:
	s_trap 2
	s_or_b64 s[2:3], s[2:3], exec
	s_cbranch_execz .LBB56_1475
	s_branch .LBB56_1476
.LBB56_1537:
	s_mov_b64 s[10:11], -1
	s_mov_b64 s[6:7], 0
	s_mov_b64 s[0:1], 0
                                        ; implicit-def: $vgpr9
	s_branch .LBB56_1539
.LBB56_1538:
	s_mov_b64 s[0:1], -1
                                        ; implicit-def: $vgpr9
	s_mov_b64 s[6:7], 0
.LBB56_1539:
	s_and_b64 vcc, exec, s[10:11]
	s_cbranch_vccz .LBB56_1543
; %bb.1540:
	s_cmp_eq_u32 s14, 44
	s_cbranch_scc0 .LBB56_1542
; %bb.1541:
	global_load_ubyte v5, v[7:8], off
	s_movk_i32 s6, 0xff
	v_mov_b32_e32 v11, 0x7e00
	s_mov_b64 s[0:1], 0
	s_waitcnt vmcnt(0)
	v_lshlrev_b32_e32 v9, 23, v5
	v_cvt_f16_f32_e32 v9, v9
	v_cmp_ne_u32_e32 vcc, s6, v5
	s_mov_b64 s[6:7], -1
	v_cndmask_b32_e32 v9, v11, v9, vcc
	v_cmp_ne_u32_e32 vcc, 0, v5
	v_cndmask_b32_e32 v9, 0, v9, vcc
	s_branch .LBB56_1543
.LBB56_1542:
	s_mov_b64 s[0:1], -1
                                        ; implicit-def: $vgpr9
.LBB56_1543:
	s_mov_b64 s[10:11], 0
.LBB56_1544:
	s_and_b64 vcc, exec, s[10:11]
	s_cbranch_vccz .LBB56_1548
; %bb.1545:
	s_cmp_eq_u32 s14, 29
	s_cbranch_scc0 .LBB56_1547
; %bb.1546:
	global_load_dwordx2 v[11:12], v[7:8], off
	s_mov_b64 s[0:1], 0
	s_mov_b64 s[6:7], -1
	s_mov_b64 s[10:11], 0
	s_waitcnt vmcnt(0)
	v_ffbh_u32_e32 v5, v12
	v_min_u32_e32 v5, 32, v5
	v_lshlrev_b64 v[11:12], v5, v[11:12]
	v_sub_u32_e32 v5, 32, v5
	v_min_u32_e32 v9, 1, v11
	v_or_b32_e32 v9, v12, v9
	v_cvt_f32_u32_e32 v9, v9
	v_ldexp_f32 v5, v9, v5
	v_cvt_f16_f32_e32 v9, v5
	s_branch .LBB56_1549
.LBB56_1547:
	s_mov_b64 s[0:1], -1
                                        ; implicit-def: $vgpr9
.LBB56_1548:
	s_mov_b64 s[10:11], 0
.LBB56_1549:
	s_and_b64 vcc, exec, s[10:11]
	s_cbranch_vccz .LBB56_1567
; %bb.1550:
	s_cmp_lt_i32 s14, 27
	s_cbranch_scc1 .LBB56_1553
; %bb.1551:
	s_cmp_gt_i32 s14, 27
	s_cbranch_scc0 .LBB56_1554
; %bb.1552:
	global_load_dword v5, v[7:8], off
	s_mov_b64 s[6:7], 0
	s_waitcnt vmcnt(0)
	v_cvt_f32_u32_e32 v5, v5
	v_cvt_f16_f32_e32 v9, v5
	s_branch .LBB56_1555
.LBB56_1553:
	s_mov_b64 s[6:7], -1
                                        ; implicit-def: $vgpr9
	s_branch .LBB56_1558
.LBB56_1554:
	s_mov_b64 s[6:7], -1
                                        ; implicit-def: $vgpr9
.LBB56_1555:
	s_andn2_b64 vcc, exec, s[6:7]
	s_cbranch_vccnz .LBB56_1557
; %bb.1556:
	global_load_ushort v5, v[7:8], off
	s_waitcnt vmcnt(0)
	v_cvt_f16_u16_e32 v9, v5
.LBB56_1557:
	s_mov_b64 s[6:7], 0
.LBB56_1558:
	s_andn2_b64 vcc, exec, s[6:7]
	s_cbranch_vccnz .LBB56_1566
; %bb.1559:
	global_load_ubyte v5, v[7:8], off
	s_movk_i32 s6, 0x7f
	s_waitcnt vmcnt(0)
	v_cmp_lt_i16_e32 vcc, s6, v5
	s_mov_b64 s[6:7], 0
	s_and_saveexec_b64 s[10:11], vcc
	s_xor_b64 s[10:11], exec, s[10:11]
	s_cbranch_execz .LBB56_1580
; %bb.1560:
	s_movk_i32 s6, 0x80
	v_cmp_eq_u16_e32 vcc, s6, v5
	s_mov_b64 s[6:7], -1
	s_and_saveexec_b64 s[12:13], vcc
; %bb.1561:
	s_xor_b64 s[6:7], exec, -1
; %bb.1562:
	s_or_b64 exec, exec, s[12:13]
	s_and_b64 s[6:7], s[6:7], exec
	s_or_saveexec_b64 s[10:11], s[10:11]
	v_mov_b32_e32 v9, 0x7e00
	s_xor_b64 exec, exec, s[10:11]
	s_cbranch_execnz .LBB56_1581
.LBB56_1563:
	s_or_b64 exec, exec, s[10:11]
	s_and_saveexec_b64 s[10:11], s[6:7]
	s_cbranch_execz .LBB56_1565
.LBB56_1564:
	v_lshlrev_b32_e32 v9, 24, v5
	v_and_b32_e32 v5, 0xffff, v5
	v_and_b32_e32 v11, 7, v5
	v_ffbh_u32_e32 v13, v11
	v_min_u32_e32 v13, 32, v13
	v_subrev_u32_e32 v14, 28, v13
	v_bfe_u32 v12, v5, 3, 4
	v_lshlrev_b32_e32 v5, v14, v5
	v_sub_u32_e32 v13, 29, v13
	v_and_b32_e32 v5, 7, v5
	v_cmp_eq_u32_e32 vcc, 0, v12
	v_cndmask_b32_e32 v12, v12, v13, vcc
	v_cndmask_b32_e32 v5, v11, v5, vcc
	v_mov_b32_e32 v11, 0x3b800000
	v_lshlrev_b32_e32 v5, 20, v5
	v_and_b32_e32 v9, 0x80000000, v9
	v_lshl_add_u32 v11, v12, 23, v11
	v_or3_b32 v5, v9, v11, v5
	v_cvt_f16_f32_e32 v9, v5
.LBB56_1565:
	s_or_b64 exec, exec, s[10:11]
.LBB56_1566:
	s_mov_b64 s[6:7], -1
.LBB56_1567:
	s_mov_b64 s[10:11], 0
.LBB56_1568:
	s_and_b64 vcc, exec, s[10:11]
	s_cbranch_vccz .LBB56_1601
; %bb.1569:
	s_cmp_gt_i32 s14, 22
	s_cbranch_scc0 .LBB56_1579
; %bb.1570:
	s_cmp_lt_i32 s14, 24
	s_cbranch_scc1 .LBB56_1582
; %bb.1571:
	s_cmp_gt_i32 s14, 24
	s_cbranch_scc0 .LBB56_1583
; %bb.1572:
	global_load_ubyte v5, v[7:8], off
	s_movk_i32 s4, 0x7f
	s_waitcnt vmcnt(0)
	v_cmp_lt_i16_e32 vcc, s4, v5
	s_mov_b64 s[4:5], 0
	s_and_saveexec_b64 s[6:7], vcc
	s_xor_b64 s[6:7], exec, s[6:7]
	s_cbranch_execz .LBB56_1595
; %bb.1573:
	s_movk_i32 s4, 0x80
	v_cmp_eq_u16_e32 vcc, s4, v5
	s_mov_b64 s[4:5], -1
	s_and_saveexec_b64 s[10:11], vcc
; %bb.1574:
	s_xor_b64 s[4:5], exec, -1
; %bb.1575:
	s_or_b64 exec, exec, s[10:11]
	s_and_b64 s[4:5], s[4:5], exec
	s_or_saveexec_b64 s[6:7], s[6:7]
	v_mov_b32_e32 v9, 0x7e00
	s_xor_b64 exec, exec, s[6:7]
	s_cbranch_execnz .LBB56_1596
.LBB56_1576:
	s_or_b64 exec, exec, s[6:7]
	s_and_saveexec_b64 s[6:7], s[4:5]
	s_cbranch_execz .LBB56_1578
.LBB56_1577:
	v_lshlrev_b32_e32 v9, 24, v5
	v_and_b32_e32 v5, 0xffff, v5
	v_and_b32_e32 v11, 3, v5
	v_ffbh_u32_e32 v13, v11
	v_min_u32_e32 v13, 32, v13
	v_subrev_u32_e32 v14, 29, v13
	v_bfe_u32 v12, v5, 2, 5
	v_lshlrev_b32_e32 v5, v14, v5
	v_sub_u32_e32 v13, 30, v13
	v_and_b32_e32 v5, 3, v5
	v_cmp_eq_u32_e32 vcc, 0, v12
	v_cndmask_b32_e32 v12, v12, v13, vcc
	v_cndmask_b32_e32 v5, v11, v5, vcc
	v_mov_b32_e32 v11, 0x37800000
	v_lshlrev_b32_e32 v5, 21, v5
	v_and_b32_e32 v9, 0x80000000, v9
	v_lshl_add_u32 v11, v12, 23, v11
	v_or3_b32 v5, v9, v11, v5
	v_cvt_f16_f32_e32 v9, v5
.LBB56_1578:
	s_or_b64 exec, exec, s[6:7]
	s_mov_b64 s[4:5], 0
	s_branch .LBB56_1584
.LBB56_1579:
	s_mov_b64 s[4:5], -1
                                        ; implicit-def: $vgpr9
	s_branch .LBB56_1590
.LBB56_1580:
	s_or_saveexec_b64 s[10:11], s[10:11]
	v_mov_b32_e32 v9, 0x7e00
	s_xor_b64 exec, exec, s[10:11]
	s_cbranch_execz .LBB56_1563
.LBB56_1581:
	v_cmp_ne_u16_e32 vcc, 0, v5
	s_andn2_b64 s[6:7], s[6:7], exec
	s_and_b64 s[12:13], vcc, exec
	s_or_b64 s[6:7], s[6:7], s[12:13]
	v_mov_b32_e32 v9, v5
	s_or_b64 exec, exec, s[10:11]
	s_and_saveexec_b64 s[10:11], s[6:7]
	s_cbranch_execnz .LBB56_1564
	s_branch .LBB56_1565
.LBB56_1582:
	s_mov_b64 s[4:5], -1
                                        ; implicit-def: $vgpr9
	s_branch .LBB56_1587
.LBB56_1583:
	s_mov_b64 s[4:5], -1
                                        ; implicit-def: $vgpr9
.LBB56_1584:
	s_and_b64 vcc, exec, s[4:5]
	s_cbranch_vccz .LBB56_1586
; %bb.1585:
	global_load_ubyte v5, v[7:8], off
	s_mov_b32 s4, 0x7f800000
	s_waitcnt vmcnt(0)
	v_lshlrev_b32_e32 v5, 24, v5
	v_and_b32_e32 v9, 0x7f000000, v5
	v_ffbh_u32_e32 v11, v9
	v_min_u32_e32 v11, 32, v11
	v_sub_u32_e64 v11, v11, 4 clamp
	v_lshlrev_b32_e32 v13, v11, v9
	v_lshlrev_b32_e32 v11, 23, v11
	v_lshrrev_b32_e32 v13, 4, v13
	v_add_u32_e32 v12, 0x1000000, v9
	v_sub_u32_e32 v11, v13, v11
	v_ashrrev_i32_e32 v12, 8, v12
	v_add_u32_e32 v11, 0x3c000000, v11
	v_and_or_b32 v11, v12, s4, v11
	v_cmp_ne_u32_e32 vcc, 0, v9
	v_cndmask_b32_e32 v9, 0, v11, vcc
	s_brev_b32 s4, 1
	v_and_or_b32 v5, v5, s4, v9
	v_cvt_f16_f32_e32 v9, v5
.LBB56_1586:
	s_mov_b64 s[4:5], 0
.LBB56_1587:
	s_andn2_b64 vcc, exec, s[4:5]
	s_cbranch_vccnz .LBB56_1589
; %bb.1588:
	global_load_ubyte v5, v[7:8], off
	s_movk_i32 s4, 0x7f00
	s_brev_b32 s5, 16
	s_waitcnt vmcnt(0)
	v_lshlrev_b16_e32 v9, 8, v5
	v_lshlrev_b32_e32 v5, 25, v5
	v_lshrrev_b32_e32 v11, 4, v5
	v_and_or_b32 v12, v9, s4, 0.5
	v_or_b32_e32 v11, 0x70000000, v11
	v_add_f32_e32 v12, -0.5, v12
	v_mul_f32_e32 v11, 0x7800000, v11
	v_cmp_gt_u32_e32 vcc, s5, v5
	v_bfe_i32 v9, v9, 0, 16
	v_cndmask_b32_e32 v5, v11, v12, vcc
	s_brev_b32 s4, 1
	v_and_or_b32 v5, v9, s4, v5
	v_cvt_f16_f32_e32 v9, v5
.LBB56_1589:
	s_mov_b64 s[4:5], 0
	s_mov_b64 s[6:7], -1
.LBB56_1590:
	s_andn2_b64 vcc, exec, s[4:5]
	s_mov_b64 s[4:5], 0
	s_cbranch_vccnz .LBB56_1601
; %bb.1591:
	s_cmp_gt_i32 s14, 14
	s_cbranch_scc0 .LBB56_1594
; %bb.1592:
	s_cmp_eq_u32 s14, 15
	s_cbranch_scc0 .LBB56_1597
; %bb.1593:
	global_load_ushort v5, v[7:8], off
	s_mov_b64 s[0:1], 0
	s_mov_b64 s[6:7], -1
	s_waitcnt vmcnt(0)
	v_lshlrev_b32_e32 v5, 16, v5
	v_cvt_f16_f32_e32 v9, v5
	s_branch .LBB56_1598
.LBB56_1594:
	s_mov_b64 s[10:11], -1
                                        ; implicit-def: $vgpr9
	s_branch .LBB56_1599
.LBB56_1595:
	s_or_saveexec_b64 s[6:7], s[6:7]
	v_mov_b32_e32 v9, 0x7e00
	s_xor_b64 exec, exec, s[6:7]
	s_cbranch_execz .LBB56_1576
.LBB56_1596:
	v_cmp_ne_u16_e32 vcc, 0, v5
	s_andn2_b64 s[4:5], s[4:5], exec
	s_and_b64 s[10:11], vcc, exec
	s_or_b64 s[4:5], s[4:5], s[10:11]
	v_mov_b32_e32 v9, v5
	s_or_b64 exec, exec, s[6:7]
	s_and_saveexec_b64 s[6:7], s[4:5]
	s_cbranch_execnz .LBB56_1577
	s_branch .LBB56_1578
.LBB56_1597:
	s_mov_b64 s[0:1], -1
                                        ; implicit-def: $vgpr9
.LBB56_1598:
	s_mov_b64 s[10:11], 0
.LBB56_1599:
	s_and_b64 vcc, exec, s[10:11]
	s_cbranch_vccz .LBB56_1601
; %bb.1600:
	s_cmp_lg_u32 s14, 11
	s_mov_b64 s[4:5], -1
	s_cselect_b64 s[0:1], -1, 0
.LBB56_1601:
	s_and_b64 vcc, exec, s[0:1]
	s_cbranch_vccnz .LBB56_2134
; %bb.1602:
	s_andn2_b64 vcc, exec, s[4:5]
	s_cbranch_vccnz .LBB56_1604
.LBB56_1603:
	global_load_ubyte v5, v[7:8], off
	v_mov_b32_e32 v9, 0x3c00
	s_mov_b64 s[6:7], -1
	s_waitcnt vmcnt(0)
	v_cmp_ne_u16_e32 vcc, 0, v5
	v_cndmask_b32_e32 v9, 0, v9, vcc
.LBB56_1604:
	s_mov_b64 s[0:1], 0
.LBB56_1605:
	s_and_b64 vcc, exec, s[0:1]
	s_cbranch_vccz .LBB56_1654
; %bb.1606:
	s_and_b32 s4, 0xffff, s17
	s_cmp_lt_i32 s4, 5
	s_cbranch_scc1 .LBB56_1611
; %bb.1607:
	s_cmp_lt_i32 s4, 8
	s_cbranch_scc1 .LBB56_1612
; %bb.1608:
	;; [unrolled: 3-line block ×3, first 2 shown]
	s_cmp_gt_i32 s4, 9
	s_cbranch_scc0 .LBB56_1614
; %bb.1610:
	global_load_dwordx2 v[11:12], v[7:8], off
	s_movk_i32 s0, 0x1ff
	s_movk_i32 s1, 0xffe
	v_mov_b32_e32 v5, 0x7c00
	v_mov_b32_e32 v9, 0x7e00
	s_movk_i32 s5, 0x40f
	s_mov_b32 s6, 0x8000
	s_waitcnt vmcnt(0)
	v_and_or_b32 v11, v12, s0, v11
	v_cmp_ne_u32_e32 vcc, 0, v11
	v_lshrrev_b32_e32 v13, 8, v12
	v_bfe_u32 v14, v12, 20, 11
	v_cndmask_b32_e64 v11, 0, 1, vcc
	v_sub_u32_e32 v15, 0x3f1, v14
	v_and_or_b32 v11, v13, s1, v11
	v_add_u32_e32 v14, 0xfffffc10, v14
	v_med3_i32 v13, v15, 0, 13
	v_or_b32_e32 v15, 0x1000, v11
	v_lshl_or_b32 v16, v14, 12, v11
	v_cmp_ne_u32_e32 vcc, 0, v11
	v_lshrrev_b32_e32 v11, v13, v15
	v_lshlrev_b32_e32 v13, v13, v11
	v_cndmask_b32_e32 v9, v5, v9, vcc
	v_cmp_ne_u32_e32 vcc, v13, v15
	v_cndmask_b32_e64 v13, 0, 1, vcc
	v_or_b32_e32 v11, v11, v13
	v_cmp_gt_i32_e32 vcc, 1, v14
	v_cndmask_b32_e32 v11, v16, v11, vcc
	v_and_b32_e32 v13, 7, v11
	v_cmp_lt_i32_e32 vcc, 5, v13
	v_cndmask_b32_e64 v15, 0, 1, vcc
	v_cmp_eq_u32_e32 vcc, 3, v13
	v_cndmask_b32_e64 v13, 0, 1, vcc
	v_lshrrev_b32_e32 v11, 2, v11
	v_or_b32_e32 v13, v13, v15
	v_add_u32_e32 v11, v11, v13
	v_cmp_gt_i32_e32 vcc, 31, v14
	v_cndmask_b32_e32 v5, v5, v11, vcc
	v_cmp_eq_u32_e32 vcc, s5, v14
	v_lshrrev_b32_e32 v12, 16, v12
	v_cndmask_b32_e32 v5, v5, v9, vcc
	v_and_or_b32 v9, v12, s6, v5
	s_mov_b64 s[0:1], 0
	s_branch .LBB56_1615
.LBB56_1611:
	s_mov_b64 s[0:1], -1
                                        ; implicit-def: $vgpr9
	s_branch .LBB56_1633
.LBB56_1612:
	s_mov_b64 s[0:1], -1
                                        ; implicit-def: $vgpr9
	s_branch .LBB56_1621
.LBB56_1613:
	s_mov_b64 s[0:1], -1
                                        ; implicit-def: $vgpr9
	s_branch .LBB56_1618
.LBB56_1614:
	s_mov_b64 s[0:1], -1
                                        ; implicit-def: $vgpr9
.LBB56_1615:
	s_andn2_b64 vcc, exec, s[0:1]
	s_cbranch_vccnz .LBB56_1617
; %bb.1616:
	global_load_dword v5, v[7:8], off
	s_waitcnt vmcnt(0)
	v_cvt_f16_f32_e32 v9, v5
.LBB56_1617:
	s_mov_b64 s[0:1], 0
.LBB56_1618:
	s_andn2_b64 vcc, exec, s[0:1]
	s_cbranch_vccnz .LBB56_1620
; %bb.1619:
	global_load_dword v9, v[7:8], off
.LBB56_1620:
	s_mov_b64 s[0:1], 0
.LBB56_1621:
	s_andn2_b64 vcc, exec, s[0:1]
	s_cbranch_vccnz .LBB56_1632
; %bb.1622:
	s_cmp_lt_i32 s4, 6
	s_cbranch_scc1 .LBB56_1625
; %bb.1623:
	s_cmp_gt_i32 s4, 6
	s_cbranch_scc0 .LBB56_1626
; %bb.1624:
	global_load_dwordx2 v[11:12], v[7:8], off
	s_movk_i32 s0, 0x1ff
	s_movk_i32 s1, 0xffe
	v_mov_b32_e32 v5, 0x7c00
	s_waitcnt vmcnt(1)
	v_mov_b32_e32 v9, 0x7e00
	s_movk_i32 s5, 0x40f
	s_mov_b32 s6, 0x8000
	s_waitcnt vmcnt(0)
	v_and_or_b32 v11, v12, s0, v11
	v_cmp_ne_u32_e32 vcc, 0, v11
	v_lshrrev_b32_e32 v13, 8, v12
	v_bfe_u32 v14, v12, 20, 11
	v_cndmask_b32_e64 v11, 0, 1, vcc
	v_sub_u32_e32 v15, 0x3f1, v14
	v_and_or_b32 v11, v13, s1, v11
	v_add_u32_e32 v14, 0xfffffc10, v14
	v_med3_i32 v13, v15, 0, 13
	v_or_b32_e32 v15, 0x1000, v11
	v_lshl_or_b32 v16, v14, 12, v11
	v_cmp_ne_u32_e32 vcc, 0, v11
	v_lshrrev_b32_e32 v11, v13, v15
	v_lshlrev_b32_e32 v13, v13, v11
	v_cndmask_b32_e32 v9, v5, v9, vcc
	v_cmp_ne_u32_e32 vcc, v13, v15
	v_cndmask_b32_e64 v13, 0, 1, vcc
	v_or_b32_e32 v11, v11, v13
	v_cmp_gt_i32_e32 vcc, 1, v14
	v_cndmask_b32_e32 v11, v16, v11, vcc
	v_and_b32_e32 v13, 7, v11
	v_cmp_lt_i32_e32 vcc, 5, v13
	v_cndmask_b32_e64 v15, 0, 1, vcc
	v_cmp_eq_u32_e32 vcc, 3, v13
	v_cndmask_b32_e64 v13, 0, 1, vcc
	v_lshrrev_b32_e32 v11, 2, v11
	v_or_b32_e32 v13, v13, v15
	v_add_u32_e32 v11, v11, v13
	v_cmp_gt_i32_e32 vcc, 31, v14
	v_cndmask_b32_e32 v5, v5, v11, vcc
	v_cmp_eq_u32_e32 vcc, s5, v14
	v_lshrrev_b32_e32 v12, 16, v12
	v_cndmask_b32_e32 v5, v5, v9, vcc
	v_and_or_b32 v9, v12, s6, v5
	s_mov_b64 s[0:1], 0
	s_branch .LBB56_1627
.LBB56_1625:
	s_mov_b64 s[0:1], -1
                                        ; implicit-def: $vgpr9
	s_branch .LBB56_1630
.LBB56_1626:
	s_mov_b64 s[0:1], -1
                                        ; implicit-def: $vgpr9
.LBB56_1627:
	s_andn2_b64 vcc, exec, s[0:1]
	s_cbranch_vccnz .LBB56_1629
; %bb.1628:
	global_load_dword v5, v[7:8], off
	s_waitcnt vmcnt(0)
	v_cvt_f16_f32_e32 v9, v5
.LBB56_1629:
	s_mov_b64 s[0:1], 0
.LBB56_1630:
	s_andn2_b64 vcc, exec, s[0:1]
	s_cbranch_vccnz .LBB56_1632
; %bb.1631:
	global_load_ushort v9, v[7:8], off
.LBB56_1632:
	s_mov_b64 s[0:1], 0
.LBB56_1633:
	s_andn2_b64 vcc, exec, s[0:1]
	s_cbranch_vccnz .LBB56_1653
; %bb.1634:
	s_cmp_lt_i32 s4, 2
	s_cbranch_scc1 .LBB56_1638
; %bb.1635:
	s_cmp_lt_i32 s4, 3
	s_cbranch_scc1 .LBB56_1639
; %bb.1636:
	s_cmp_gt_i32 s4, 3
	s_cbranch_scc0 .LBB56_1640
; %bb.1637:
	global_load_dwordx2 v[11:12], v[7:8], off
	s_mov_b64 s[0:1], 0
	s_waitcnt vmcnt(0)
	v_xor_b32_e32 v9, v11, v12
	v_ffbh_i32_e32 v5, v12
	v_ashrrev_i32_e32 v9, 31, v9
	v_add_u32_e32 v5, -1, v5
	v_add_u32_e32 v9, 32, v9
	v_min_u32_e32 v5, v5, v9
	v_lshlrev_b64 v[11:12], v5, v[11:12]
	v_sub_u32_e32 v5, 32, v5
	v_min_u32_e32 v9, 1, v11
	v_or_b32_e32 v9, v12, v9
	v_cvt_f32_i32_e32 v9, v9
	v_ldexp_f32 v5, v9, v5
	v_cvt_f16_f32_e32 v9, v5
	s_branch .LBB56_1641
.LBB56_1638:
	s_mov_b64 s[0:1], -1
                                        ; implicit-def: $vgpr9
	s_branch .LBB56_1647
.LBB56_1639:
	s_mov_b64 s[0:1], -1
                                        ; implicit-def: $vgpr9
	s_branch .LBB56_1644
.LBB56_1640:
	s_mov_b64 s[0:1], -1
                                        ; implicit-def: $vgpr9
.LBB56_1641:
	s_andn2_b64 vcc, exec, s[0:1]
	s_cbranch_vccnz .LBB56_1643
; %bb.1642:
	global_load_dword v5, v[7:8], off
	s_waitcnt vmcnt(0)
	v_cvt_f32_i32_e32 v5, v5
	v_cvt_f16_f32_e32 v9, v5
.LBB56_1643:
	s_mov_b64 s[0:1], 0
.LBB56_1644:
	s_andn2_b64 vcc, exec, s[0:1]
	s_cbranch_vccnz .LBB56_1646
; %bb.1645:
	global_load_ushort v5, v[7:8], off
	s_waitcnt vmcnt(0)
	v_cvt_f16_i16_e32 v9, v5
.LBB56_1646:
	s_mov_b64 s[0:1], 0
.LBB56_1647:
	s_andn2_b64 vcc, exec, s[0:1]
	s_cbranch_vccnz .LBB56_1653
; %bb.1648:
	s_cmp_gt_i32 s4, 0
	s_cbranch_scc0 .LBB56_1650
; %bb.1649:
	global_load_sbyte v5, v[7:8], off
	s_mov_b64 s[0:1], 0
	s_waitcnt vmcnt(0)
	v_cvt_f16_i16_e32 v9, v5
	s_branch .LBB56_1651
.LBB56_1650:
	s_mov_b64 s[0:1], -1
                                        ; implicit-def: $vgpr9
.LBB56_1651:
	s_andn2_b64 vcc, exec, s[0:1]
	s_cbranch_vccnz .LBB56_1653
; %bb.1652:
	global_load_ubyte v5, v[7:8], off
	s_waitcnt vmcnt(0)
	v_cvt_f16_u16_e32 v9, v5
.LBB56_1653:
	s_mov_b64 s[6:7], -1
.LBB56_1654:
	s_andn2_b64 vcc, exec, s[6:7]
	s_cbranch_vccnz .LBB56_2088
; %bb.1655:
	v_cvt_f32_f16_e32 v5, v1
	s_mov_b32 s0, -0.5
	v_mov_b32_e32 v7, 0.5
	v_fma_mix_f32 v7, |v1|, s0, v7 op_sel_hi:[1,0,0]
	v_mul_f32_e32 v8, v5, v5
	v_cmp_ge_f32_e64 vcc, |v5|, 0.5
	v_cndmask_b32_e32 v7, v8, v7, vcc
	v_mov_b32_e32 v8, 0x3c5fc5da
	v_fmac_f32_e32 v8, 0x3d1c21a7, v7
	v_mov_b32_e32 v11, 0x3d034c3c
	v_fmac_f32_e32 v11, v7, v8
	;; [unrolled: 2-line block ×4, first 2 shown]
	v_sqrt_f32_e32 v8, v7
	v_mov_b32_e32 v12, 0x3e2aaaac
	v_fmac_f32_e32 v12, v7, v11
	v_mul_f32_e32 v7, v7, v12
	v_fmac_f32_e32 v8, v8, v7
	v_add_f32_e32 v8, v8, v8
	v_sub_f32_e32 v8, 0x3fc90fdb, v8
	v_fma_mix_f32 v7, |v1|, v7, |v1| op_sel_hi:[1,0,1]
	v_cmp_lt_f32_e64 vcc, |v5|, 0.5
	v_cndmask_b32_e32 v5, v8, v7, vcc
	v_cvt_f16_f32_e32 v5, v5
	s_movk_i32 s0, 0x7fff
	s_bfe_u32 s14, s16, 0x80008
	v_mov_b32_e32 v7, s9
	v_bfi_b32 v1, s0, v5, v1
	v_add_co_u32_e32 v5, vcc, s8, v6
	s_cmp_lt_i32 s14, 11
	v_addc_co_u32_e32 v6, vcc, 0, v7, vcc
	s_cbranch_scc1 .LBB56_1733
; %bb.1656:
	s_and_b32 s15, 0xffff, s14
	s_mov_b64 s[10:11], -1
	s_mov_b64 s[4:5], 0
	s_cmp_gt_i32 s15, 25
	s_mov_b64 s[6:7], 0
	s_mov_b64 s[0:1], 0
	s_cbranch_scc0 .LBB56_1689
; %bb.1657:
	s_cmp_gt_i32 s15, 28
	s_cbranch_scc0 .LBB56_1672
; %bb.1658:
	s_cmp_gt_i32 s15, 43
	;; [unrolled: 3-line block ×3, first 2 shown]
	s_cbranch_scc0 .LBB56_1662
; %bb.1660:
	s_mov_b64 s[0:1], -1
	s_mov_b64 s[10:11], 0
	s_cmp_eq_u32 s15, 46
	s_cbranch_scc0 .LBB56_1662
; %bb.1661:
	v_cvt_f32_f16_e32 v7, v1
	s_movk_i32 s0, 0x7fff
	v_cmp_o_f16_e32 vcc, v1, v1
	v_mov_b32_e32 v8, 0x7fc0
	v_bfe_u32 v11, v7, 16, 1
	v_add3_u32 v7, v7, v11, s0
	v_cndmask_b32_sdwa v7, v8, v7, vcc dst_sel:DWORD dst_unused:UNUSED_PAD src0_sel:DWORD src1_sel:WORD_1
	global_store_dword v[5:6], v7, off
	s_mov_b64 s[0:1], 0
	s_mov_b64 s[6:7], -1
.LBB56_1662:
	s_and_b64 vcc, exec, s[10:11]
	s_cbranch_vccz .LBB56_1667
; %bb.1663:
	s_cmp_eq_u32 s15, 44
	s_mov_b64 s[0:1], -1
	s_cbranch_scc0 .LBB56_1667
; %bb.1664:
	v_cvt_f32_f16_e32 v7, v1
	s_movk_i32 s0, 0xff
	v_mov_b32_e32 v11, 0xff
	v_bfe_u32 v8, v7, 23, 8
	v_cmp_ne_u32_e32 vcc, s0, v8
	s_and_saveexec_b64 s[6:7], vcc
; %bb.1665:
	s_mov_b32 s0, 0x3fffff
	v_lshrrev_b32_e32 v11, 23, v7
	v_and_b32_e32 v12, 0x400000, v7
	v_and_or_b32 v7, v7, s0, v8
	v_cmp_ne_u32_e32 vcc, 0, v12
	v_cmp_ne_u32_e64 s[0:1], 0, v7
	s_and_b64 s[0:1], vcc, s[0:1]
	v_cndmask_b32_e64 v7, 0, 1, s[0:1]
	v_add_u32_e32 v11, v11, v7
; %bb.1666:
	s_or_b64 exec, exec, s[6:7]
	s_mov_b64 s[0:1], 0
	s_mov_b64 s[6:7], -1
	global_store_byte v[5:6], v11, off
.LBB56_1667:
	s_mov_b64 s[10:11], 0
.LBB56_1668:
	s_and_b64 vcc, exec, s[10:11]
	s_cbranch_vccz .LBB56_1671
; %bb.1669:
	s_cmp_eq_u32 s15, 29
	s_mov_b64 s[0:1], -1
	s_cbranch_scc0 .LBB56_1671
; %bb.1670:
	v_cvt_f32_f16_e32 v7, v1
	v_mov_b32_e32 v8, 0
	s_mov_b64 s[0:1], 0
	s_mov_b64 s[6:7], -1
	v_cvt_u32_f32_e32 v7, v7
	global_store_dwordx2 v[5:6], v[7:8], off
.LBB56_1671:
	s_mov_b64 s[10:11], 0
.LBB56_1672:
	s_and_b64 vcc, exec, s[10:11]
	s_cbranch_vccz .LBB56_1688
; %bb.1673:
	s_cmp_lt_i32 s15, 27
	s_mov_b64 s[6:7], -1
	s_cbranch_scc1 .LBB56_1679
; %bb.1674:
	s_cmp_gt_i32 s15, 27
	s_cbranch_scc0 .LBB56_1676
; %bb.1675:
	v_cvt_f32_f16_e32 v7, v1
	s_mov_b64 s[6:7], 0
	v_cvt_u32_f32_e32 v7, v7
	global_store_dword v[5:6], v7, off
.LBB56_1676:
	s_andn2_b64 vcc, exec, s[6:7]
	s_cbranch_vccnz .LBB56_1678
; %bb.1677:
	v_cvt_u16_f16_e32 v7, v1
	global_store_short v[5:6], v7, off
.LBB56_1678:
	s_mov_b64 s[6:7], 0
.LBB56_1679:
	s_andn2_b64 vcc, exec, s[6:7]
	s_cbranch_vccnz .LBB56_1687
; %bb.1680:
	v_cvt_f32_f16_e32 v7, v1
	s_mov_b32 s6, 0x43800000
	v_mov_b32_e32 v11, 0x80
	v_and_b32_e32 v8, 0x7fffffff, v7
	v_cmp_gt_u32_e32 vcc, s6, v8
	s_and_saveexec_b64 s[6:7], vcc
	s_cbranch_execz .LBB56_1686
; %bb.1681:
	s_mov_b32 s10, 0x3bffffff
	v_cmp_lt_u32_e32 vcc, s10, v8
	s_mov_b64 s[10:11], 0
                                        ; implicit-def: $vgpr8
	s_and_saveexec_b64 s[12:13], vcc
	s_xor_b64 s[12:13], exec, s[12:13]
	s_cbranch_execz .LBB56_2135
; %bb.1682:
	v_bfe_u32 v8, v7, 20, 1
	s_mov_b32 s17, 0x487ffff
	v_add3_u32 v8, v7, v8, s17
	s_mov_b64 s[10:11], exec
	v_lshrrev_b32_e32 v8, 20, v8
	s_andn2_saveexec_b64 s[12:13], s[12:13]
	s_cbranch_execnz .LBB56_2136
.LBB56_1683:
	s_or_b64 exec, exec, s[12:13]
	v_mov_b32_e32 v11, 0
	s_and_saveexec_b64 s[12:13], s[10:11]
.LBB56_1684:
	v_lshrrev_b32_e32 v7, 24, v7
	s_movk_i32 s10, 0x80
	v_and_or_b32 v11, v7, s10, v8
.LBB56_1685:
	s_or_b64 exec, exec, s[12:13]
.LBB56_1686:
	s_or_b64 exec, exec, s[6:7]
	global_store_byte v[5:6], v11, off
.LBB56_1687:
	s_mov_b64 s[6:7], -1
.LBB56_1688:
	s_mov_b64 s[10:11], 0
.LBB56_1689:
	s_and_b64 vcc, exec, s[10:11]
	s_cbranch_vccz .LBB56_1729
; %bb.1690:
	s_cmp_gt_i32 s15, 22
	s_mov_b64 s[4:5], -1
	s_cbranch_scc0 .LBB56_1722
; %bb.1691:
	s_cmp_lt_i32 s15, 24
	s_cbranch_scc1 .LBB56_1711
; %bb.1692:
	s_cmp_gt_i32 s15, 24
	s_cbranch_scc0 .LBB56_1700
; %bb.1693:
	v_cvt_f32_f16_e32 v7, v1
	s_mov_b32 s4, 0x47800000
	v_mov_b32_e32 v11, 0x80
	v_and_b32_e32 v8, 0x7fffffff, v7
	v_cmp_gt_u32_e32 vcc, s4, v8
	s_and_saveexec_b64 s[4:5], vcc
	s_cbranch_execz .LBB56_1699
; %bb.1694:
	s_mov_b32 s6, 0x37ffffff
	v_cmp_lt_u32_e32 vcc, s6, v8
	s_mov_b64 s[6:7], 0
                                        ; implicit-def: $vgpr8
	s_and_saveexec_b64 s[10:11], vcc
	s_xor_b64 s[10:11], exec, s[10:11]
	s_cbranch_execz .LBB56_2138
; %bb.1695:
	v_bfe_u32 v8, v7, 21, 1
	s_mov_b32 s12, 0x88fffff
	v_add3_u32 v8, v7, v8, s12
	s_mov_b64 s[6:7], exec
	v_lshrrev_b32_e32 v8, 21, v8
	s_andn2_saveexec_b64 s[10:11], s[10:11]
	s_cbranch_execnz .LBB56_2139
.LBB56_1696:
	s_or_b64 exec, exec, s[10:11]
	v_mov_b32_e32 v11, 0
	s_and_saveexec_b64 s[10:11], s[6:7]
.LBB56_1697:
	v_lshrrev_b32_e32 v7, 24, v7
	s_movk_i32 s6, 0x80
	v_and_or_b32 v11, v7, s6, v8
.LBB56_1698:
	s_or_b64 exec, exec, s[10:11]
.LBB56_1699:
	s_or_b64 exec, exec, s[4:5]
	s_mov_b64 s[4:5], 0
	global_store_byte v[5:6], v11, off
.LBB56_1700:
	s_and_b64 vcc, exec, s[4:5]
	s_cbranch_vccz .LBB56_1710
; %bb.1701:
	v_cvt_f32_f16_e32 v7, v1
	s_mov_b32 s4, 0x43f00000
                                        ; implicit-def: $vgpr8
	v_and_b32_e32 v11, 0x7fffffff, v7
	v_cmp_gt_u32_e32 vcc, s4, v11
	s_and_saveexec_b64 s[4:5], vcc
	s_xor_b64 s[4:5], exec, s[4:5]
	s_cbranch_execz .LBB56_1707
; %bb.1702:
	s_mov_b32 s6, 0x3c7fffff
	v_cmp_lt_u32_e32 vcc, s6, v11
                                        ; implicit-def: $vgpr8
	s_and_saveexec_b64 s[6:7], vcc
	s_xor_b64 s[6:7], exec, s[6:7]
; %bb.1703:
	v_bfe_u32 v8, v7, 20, 1
	s_mov_b32 s10, 0x407ffff
	v_add3_u32 v8, v7, v8, s10
	v_lshrrev_b32_e32 v11, 20, v8
	v_and_b32_e32 v8, 0xff00000, v8
	s_mov_b32 s10, 0x7f00000
	v_mov_b32_e32 v12, 0x7e
	v_cmp_ne_u32_e32 vcc, s10, v8
	v_cndmask_b32_e32 v8, v12, v11, vcc
; %bb.1704:
	s_andn2_saveexec_b64 s[6:7], s[6:7]
; %bb.1705:
	s_mov_b32 s10, 0x46800000
	v_add_f32_e64 v8, |v7|, s10
; %bb.1706:
	s_or_b64 exec, exec, s[6:7]
                                        ; implicit-def: $vgpr11
.LBB56_1707:
	s_andn2_saveexec_b64 s[4:5], s[4:5]
; %bb.1708:
	s_mov_b32 s6, 0x7f800000
	v_mov_b32_e32 v8, 0x7e
	v_mov_b32_e32 v12, 0x7f
	v_cmp_lt_u32_e32 vcc, s6, v11
	v_cndmask_b32_e32 v8, v8, v12, vcc
; %bb.1709:
	s_or_b64 exec, exec, s[4:5]
	v_lshrrev_b32_e32 v7, 24, v7
	s_movk_i32 s4, 0x80
	v_and_or_b32 v7, v7, s4, v8
	global_store_byte v[5:6], v7, off
.LBB56_1710:
	s_mov_b64 s[4:5], 0
.LBB56_1711:
	s_andn2_b64 vcc, exec, s[4:5]
	s_cbranch_vccnz .LBB56_1721
; %bb.1712:
	v_cvt_f32_f16_e32 v7, v1
	s_mov_b32 s4, 0x47800000
                                        ; implicit-def: $vgpr8
	v_and_b32_e32 v11, 0x7fffffff, v7
	v_cmp_gt_u32_e32 vcc, s4, v11
	s_and_saveexec_b64 s[4:5], vcc
	s_xor_b64 s[4:5], exec, s[4:5]
	s_cbranch_execz .LBB56_1718
; %bb.1713:
	s_mov_b32 s6, 0x387fffff
	v_cmp_lt_u32_e32 vcc, s6, v11
                                        ; implicit-def: $vgpr8
	s_and_saveexec_b64 s[6:7], vcc
	s_xor_b64 s[6:7], exec, s[6:7]
; %bb.1714:
	v_bfe_u32 v8, v7, 21, 1
	s_mov_b32 s10, 0x80fffff
	v_add3_u32 v8, v7, v8, s10
	v_lshrrev_b32_e32 v8, 21, v8
; %bb.1715:
	s_andn2_saveexec_b64 s[6:7], s[6:7]
; %bb.1716:
	s_mov_b32 s10, 0x43000000
	v_add_f32_e64 v8, |v7|, s10
; %bb.1717:
	s_or_b64 exec, exec, s[6:7]
                                        ; implicit-def: $vgpr11
.LBB56_1718:
	s_andn2_saveexec_b64 s[4:5], s[4:5]
; %bb.1719:
	s_mov_b32 s6, 0x7f800000
	v_mov_b32_e32 v8, 0x7c
	v_mov_b32_e32 v12, 0x7f
	v_cmp_lt_u32_e32 vcc, s6, v11
	v_cndmask_b32_e32 v8, v8, v12, vcc
; %bb.1720:
	s_or_b64 exec, exec, s[4:5]
	v_lshrrev_b32_e32 v7, 24, v7
	s_movk_i32 s4, 0x80
	v_and_or_b32 v7, v7, s4, v8
	global_store_byte v[5:6], v7, off
.LBB56_1721:
	s_mov_b64 s[4:5], 0
	s_mov_b64 s[6:7], -1
.LBB56_1722:
	s_andn2_b64 vcc, exec, s[4:5]
	s_mov_b64 s[4:5], 0
	s_cbranch_vccnz .LBB56_1729
; %bb.1723:
	s_cmp_gt_i32 s15, 14
	s_mov_b64 s[10:11], -1
	s_cbranch_scc0 .LBB56_1727
; %bb.1724:
	s_cmp_eq_u32 s15, 15
	s_mov_b64 s[0:1], -1
	s_cbranch_scc0 .LBB56_1726
; %bb.1725:
	v_cvt_f32_f16_e32 v7, v1
	s_movk_i32 s0, 0x7fff
	v_cmp_o_f16_e32 vcc, v1, v1
	v_mov_b32_e32 v8, 0x7fc0
	v_bfe_u32 v11, v7, 16, 1
	v_add3_u32 v7, v7, v11, s0
	v_cndmask_b32_sdwa v7, v8, v7, vcc dst_sel:DWORD dst_unused:UNUSED_PAD src0_sel:DWORD src1_sel:WORD_1
	global_store_short v[5:6], v7, off
	s_mov_b64 s[0:1], 0
	s_mov_b64 s[6:7], -1
.LBB56_1726:
	s_mov_b64 s[10:11], 0
.LBB56_1727:
	s_and_b64 vcc, exec, s[10:11]
	s_cbranch_vccz .LBB56_1729
; %bb.1728:
	s_cmp_lg_u32 s15, 11
	s_mov_b64 s[4:5], -1
	s_cselect_b64 s[0:1], -1, 0
.LBB56_1729:
	s_and_b64 vcc, exec, s[0:1]
	s_cbranch_vccnz .LBB56_2137
; %bb.1730:
	s_andn2_b64 vcc, exec, s[4:5]
	s_cbranch_vccnz .LBB56_1732
.LBB56_1731:
	v_cmp_neq_f16_e32 vcc, 0, v1
	v_cndmask_b32_e64 v7, 0, 1, vcc
	s_mov_b64 s[6:7], -1
	global_store_byte v[5:6], v7, off
.LBB56_1732:
	s_mov_b64 s[0:1], 0
	s_branch .LBB56_1734
.LBB56_1733:
	s_mov_b64 s[0:1], -1
	s_mov_b64 s[6:7], 0
.LBB56_1734:
	s_and_b64 vcc, exec, s[0:1]
	s_cbranch_vccz .LBB56_1773
; %bb.1735:
	s_and_b32 s4, 0xffff, s14
	s_cmp_lt_i32 s4, 5
	s_mov_b64 s[0:1], -1
	s_cbranch_scc1 .LBB56_1756
; %bb.1736:
	s_cmp_lt_i32 s4, 8
	s_cbranch_scc1 .LBB56_1746
; %bb.1737:
	s_cmp_lt_i32 s4, 9
	s_cbranch_scc1 .LBB56_1743
; %bb.1738:
	s_cmp_gt_i32 s4, 9
	s_cbranch_scc0 .LBB56_1740
; %bb.1739:
	v_cvt_f32_f16_e32 v7, v1
	v_mov_b32_e32 v13, 0
	v_mov_b32_e32 v14, v13
	s_mov_b64 s[0:1], 0
	v_cvt_f64_f32_e32 v[11:12], v7
	global_store_dwordx4 v[5:6], v[11:14], off
.LBB56_1740:
	s_andn2_b64 vcc, exec, s[0:1]
	s_cbranch_vccnz .LBB56_1742
; %bb.1741:
	v_cvt_f32_f16_e32 v7, v1
	v_mov_b32_e32 v8, 0
	global_store_dwordx2 v[5:6], v[7:8], off
.LBB56_1742:
	s_mov_b64 s[0:1], 0
.LBB56_1743:
	s_andn2_b64 vcc, exec, s[0:1]
	s_cbranch_vccnz .LBB56_1745
; %bb.1744:
	v_and_b32_e32 v7, 0xffff, v1
	global_store_dword v[5:6], v7, off
.LBB56_1745:
	s_mov_b64 s[0:1], 0
.LBB56_1746:
	s_andn2_b64 vcc, exec, s[0:1]
	s_cbranch_vccnz .LBB56_1755
; %bb.1747:
	s_cmp_lt_i32 s4, 6
	s_mov_b64 s[0:1], -1
	s_cbranch_scc1 .LBB56_1753
; %bb.1748:
	s_cmp_gt_i32 s4, 6
	s_cbranch_scc0 .LBB56_1750
; %bb.1749:
	v_cvt_f32_f16_e32 v7, v1
	s_mov_b64 s[0:1], 0
	v_cvt_f64_f32_e32 v[7:8], v7
	global_store_dwordx2 v[5:6], v[7:8], off
.LBB56_1750:
	s_andn2_b64 vcc, exec, s[0:1]
	s_cbranch_vccnz .LBB56_1752
; %bb.1751:
	v_cvt_f32_f16_e32 v7, v1
	global_store_dword v[5:6], v7, off
.LBB56_1752:
	s_mov_b64 s[0:1], 0
.LBB56_1753:
	s_andn2_b64 vcc, exec, s[0:1]
	s_cbranch_vccnz .LBB56_1755
; %bb.1754:
	global_store_short v[5:6], v1, off
.LBB56_1755:
	s_mov_b64 s[0:1], 0
.LBB56_1756:
	s_andn2_b64 vcc, exec, s[0:1]
	s_cbranch_vccnz .LBB56_1772
; %bb.1757:
	s_cmp_lt_i32 s4, 2
	s_mov_b64 s[0:1], -1
	s_cbranch_scc1 .LBB56_1767
; %bb.1758:
	s_cmp_lt_i32 s4, 3
	s_cbranch_scc1 .LBB56_1764
; %bb.1759:
	s_cmp_gt_i32 s4, 3
	s_cbranch_scc0 .LBB56_1761
; %bb.1760:
	v_cvt_f32_f16_e32 v7, v1
	s_mov_b64 s[0:1], 0
	v_cvt_i32_f32_e32 v7, v7
	v_ashrrev_i32_e32 v8, 31, v7
	global_store_dwordx2 v[5:6], v[7:8], off
.LBB56_1761:
	s_andn2_b64 vcc, exec, s[0:1]
	s_cbranch_vccnz .LBB56_1763
; %bb.1762:
	v_cvt_f32_f16_e32 v7, v1
	v_cvt_i32_f32_e32 v7, v7
	global_store_dword v[5:6], v7, off
.LBB56_1763:
	s_mov_b64 s[0:1], 0
.LBB56_1764:
	s_andn2_b64 vcc, exec, s[0:1]
	s_cbranch_vccnz .LBB56_1766
; %bb.1765:
	v_cvt_i16_f16_e32 v7, v1
	global_store_short v[5:6], v7, off
.LBB56_1766:
	s_mov_b64 s[0:1], 0
.LBB56_1767:
	s_andn2_b64 vcc, exec, s[0:1]
	s_cbranch_vccnz .LBB56_1772
; %bb.1768:
	s_cmp_gt_i32 s4, 0
	s_mov_b64 s[0:1], -1
	s_cbranch_scc0 .LBB56_1770
; %bb.1769:
	v_cvt_i16_f16_e32 v7, v1
	global_store_byte v[5:6], v7, off
	s_mov_b64 s[0:1], 0
.LBB56_1770:
	s_andn2_b64 vcc, exec, s[0:1]
	s_cbranch_vccnz .LBB56_1772
; %bb.1771:
	v_cvt_f32_f16_e32 v1, v1
	v_cvt_i32_f32_e32 v1, v1
	global_store_byte v[5:6], v1, off
.LBB56_1772:
	s_mov_b64 s[6:7], -1
.LBB56_1773:
	s_andn2_b64 vcc, exec, s[6:7]
	s_cbranch_vccnz .LBB56_2088
; %bb.1774:
	s_waitcnt vmcnt(0)
	v_cvt_f32_f16_e32 v1, v3
	s_mov_b32 s0, -0.5
	v_mov_b32_e32 v5, 0.5
	v_fma_mix_f32 v5, |v3|, s0, v5 op_sel_hi:[1,0,0]
	v_mul_f32_e32 v6, v1, v1
	v_cmp_ge_f32_e64 vcc, |v1|, 0.5
	v_cndmask_b32_e32 v5, v6, v5, vcc
	v_mov_b32_e32 v6, 0x3c5fc5da
	v_fmac_f32_e32 v6, 0x3d1c21a7, v5
	v_mov_b32_e32 v7, 0x3d034c3c
	v_fmac_f32_e32 v7, v5, v6
	;; [unrolled: 2-line block ×4, first 2 shown]
	v_sqrt_f32_e32 v6, v5
	v_mov_b32_e32 v8, 0x3e2aaaac
	v_fmac_f32_e32 v8, v5, v7
	v_mul_f32_e32 v5, v5, v8
	v_fmac_f32_e32 v6, v6, v5
	v_add_f32_e32 v6, v6, v6
	v_sub_f32_e32 v6, 0x3fc90fdb, v6
	v_fma_mix_f32 v5, |v3|, v5, |v3| op_sel_hi:[1,0,1]
	v_cmp_lt_f32_e64 vcc, |v1|, 0.5
	v_cndmask_b32_e32 v1, v6, v5, vcc
	v_cvt_f16_f32_e32 v1, v1
	s_lshr_b32 s0, s16, 8
	s_and_b32 s14, s0, 0xff
	s_movk_i32 s0, 0x7fff
	v_bfi_b32 v1, s0, v1, v3
	v_mov_b32_e32 v5, s9
	v_add_co_u32_e32 v3, vcc, s8, v4
	s_cmp_lt_i32 s14, 11
	v_addc_co_u32_e32 v4, vcc, 0, v5, vcc
	s_cbranch_scc1 .LBB56_1852
; %bb.1775:
	s_and_b32 s15, 0xffff, s14
	s_mov_b64 s[10:11], -1
	s_mov_b64 s[4:5], 0
	s_cmp_gt_i32 s15, 25
	s_mov_b64 s[6:7], 0
	s_mov_b64 s[0:1], 0
	s_cbranch_scc0 .LBB56_1808
; %bb.1776:
	s_cmp_gt_i32 s15, 28
	s_cbranch_scc0 .LBB56_1791
; %bb.1777:
	s_cmp_gt_i32 s15, 43
	;; [unrolled: 3-line block ×3, first 2 shown]
	s_cbranch_scc0 .LBB56_1781
; %bb.1779:
	s_mov_b64 s[0:1], -1
	s_mov_b64 s[10:11], 0
	s_cmp_eq_u32 s15, 46
	s_cbranch_scc0 .LBB56_1781
; %bb.1780:
	v_cvt_f32_f16_e32 v5, v1
	s_movk_i32 s0, 0x7fff
	v_cmp_o_f16_e32 vcc, v1, v1
	v_mov_b32_e32 v6, 0x7fc0
	v_bfe_u32 v7, v5, 16, 1
	v_add3_u32 v5, v5, v7, s0
	v_cndmask_b32_sdwa v5, v6, v5, vcc dst_sel:DWORD dst_unused:UNUSED_PAD src0_sel:DWORD src1_sel:WORD_1
	global_store_dword v[3:4], v5, off
	s_mov_b64 s[0:1], 0
	s_mov_b64 s[6:7], -1
.LBB56_1781:
	s_and_b64 vcc, exec, s[10:11]
	s_cbranch_vccz .LBB56_1786
; %bb.1782:
	s_cmp_eq_u32 s15, 44
	s_mov_b64 s[0:1], -1
	s_cbranch_scc0 .LBB56_1786
; %bb.1783:
	v_cvt_f32_f16_e32 v5, v1
	s_movk_i32 s0, 0xff
	v_mov_b32_e32 v7, 0xff
	v_bfe_u32 v6, v5, 23, 8
	v_cmp_ne_u32_e32 vcc, s0, v6
	s_and_saveexec_b64 s[6:7], vcc
; %bb.1784:
	s_mov_b32 s0, 0x3fffff
	v_lshrrev_b32_e32 v7, 23, v5
	v_and_b32_e32 v8, 0x400000, v5
	v_and_or_b32 v5, v5, s0, v6
	v_cmp_ne_u32_e32 vcc, 0, v8
	v_cmp_ne_u32_e64 s[0:1], 0, v5
	s_and_b64 s[0:1], vcc, s[0:1]
	v_cndmask_b32_e64 v5, 0, 1, s[0:1]
	v_add_u32_e32 v7, v7, v5
; %bb.1785:
	s_or_b64 exec, exec, s[6:7]
	s_mov_b64 s[0:1], 0
	s_mov_b64 s[6:7], -1
	global_store_byte v[3:4], v7, off
.LBB56_1786:
	s_mov_b64 s[10:11], 0
.LBB56_1787:
	s_and_b64 vcc, exec, s[10:11]
	s_cbranch_vccz .LBB56_1790
; %bb.1788:
	s_cmp_eq_u32 s15, 29
	s_mov_b64 s[0:1], -1
	s_cbranch_scc0 .LBB56_1790
; %bb.1789:
	v_cvt_f32_f16_e32 v5, v1
	v_mov_b32_e32 v6, 0
	s_mov_b64 s[0:1], 0
	s_mov_b64 s[6:7], -1
	v_cvt_u32_f32_e32 v5, v5
	global_store_dwordx2 v[3:4], v[5:6], off
.LBB56_1790:
	s_mov_b64 s[10:11], 0
.LBB56_1791:
	s_and_b64 vcc, exec, s[10:11]
	s_cbranch_vccz .LBB56_1807
; %bb.1792:
	s_cmp_lt_i32 s15, 27
	s_mov_b64 s[6:7], -1
	s_cbranch_scc1 .LBB56_1798
; %bb.1793:
	s_cmp_gt_i32 s15, 27
	s_cbranch_scc0 .LBB56_1795
; %bb.1794:
	v_cvt_f32_f16_e32 v5, v1
	s_mov_b64 s[6:7], 0
	v_cvt_u32_f32_e32 v5, v5
	global_store_dword v[3:4], v5, off
.LBB56_1795:
	s_andn2_b64 vcc, exec, s[6:7]
	s_cbranch_vccnz .LBB56_1797
; %bb.1796:
	v_cvt_u16_f16_e32 v5, v1
	global_store_short v[3:4], v5, off
.LBB56_1797:
	s_mov_b64 s[6:7], 0
.LBB56_1798:
	s_andn2_b64 vcc, exec, s[6:7]
	s_cbranch_vccnz .LBB56_1806
; %bb.1799:
	v_cvt_f32_f16_e32 v5, v1
	s_mov_b32 s6, 0x43800000
	v_mov_b32_e32 v7, 0x80
	v_and_b32_e32 v6, 0x7fffffff, v5
	v_cmp_gt_u32_e32 vcc, s6, v6
	s_and_saveexec_b64 s[6:7], vcc
	s_cbranch_execz .LBB56_1805
; %bb.1800:
	s_mov_b32 s10, 0x3bffffff
	v_cmp_lt_u32_e32 vcc, s10, v6
	s_mov_b64 s[10:11], 0
                                        ; implicit-def: $vgpr6
	s_and_saveexec_b64 s[12:13], vcc
	s_xor_b64 s[12:13], exec, s[12:13]
	s_cbranch_execz .LBB56_2140
; %bb.1801:
	v_bfe_u32 v6, v5, 20, 1
	s_mov_b32 s16, 0x487ffff
	v_add3_u32 v6, v5, v6, s16
	s_mov_b64 s[10:11], exec
	v_lshrrev_b32_e32 v6, 20, v6
	s_andn2_saveexec_b64 s[12:13], s[12:13]
	s_cbranch_execnz .LBB56_2141
.LBB56_1802:
	s_or_b64 exec, exec, s[12:13]
	v_mov_b32_e32 v7, 0
	s_and_saveexec_b64 s[12:13], s[10:11]
.LBB56_1803:
	v_lshrrev_b32_e32 v5, 24, v5
	s_movk_i32 s10, 0x80
	v_and_or_b32 v7, v5, s10, v6
.LBB56_1804:
	s_or_b64 exec, exec, s[12:13]
.LBB56_1805:
	s_or_b64 exec, exec, s[6:7]
	global_store_byte v[3:4], v7, off
.LBB56_1806:
	s_mov_b64 s[6:7], -1
.LBB56_1807:
	s_mov_b64 s[10:11], 0
.LBB56_1808:
	s_and_b64 vcc, exec, s[10:11]
	s_cbranch_vccz .LBB56_1848
; %bb.1809:
	s_cmp_gt_i32 s15, 22
	s_mov_b64 s[4:5], -1
	s_cbranch_scc0 .LBB56_1841
; %bb.1810:
	s_cmp_lt_i32 s15, 24
	s_cbranch_scc1 .LBB56_1830
; %bb.1811:
	s_cmp_gt_i32 s15, 24
	s_cbranch_scc0 .LBB56_1819
; %bb.1812:
	v_cvt_f32_f16_e32 v5, v1
	s_mov_b32 s4, 0x47800000
	v_mov_b32_e32 v7, 0x80
	v_and_b32_e32 v6, 0x7fffffff, v5
	v_cmp_gt_u32_e32 vcc, s4, v6
	s_and_saveexec_b64 s[4:5], vcc
	s_cbranch_execz .LBB56_1818
; %bb.1813:
	s_mov_b32 s6, 0x37ffffff
	v_cmp_lt_u32_e32 vcc, s6, v6
	s_mov_b64 s[6:7], 0
                                        ; implicit-def: $vgpr6
	s_and_saveexec_b64 s[10:11], vcc
	s_xor_b64 s[10:11], exec, s[10:11]
	s_cbranch_execz .LBB56_2143
; %bb.1814:
	v_bfe_u32 v6, v5, 21, 1
	s_mov_b32 s12, 0x88fffff
	v_add3_u32 v6, v5, v6, s12
	s_mov_b64 s[6:7], exec
	v_lshrrev_b32_e32 v6, 21, v6
	s_andn2_saveexec_b64 s[10:11], s[10:11]
	s_cbranch_execnz .LBB56_2144
.LBB56_1815:
	s_or_b64 exec, exec, s[10:11]
	v_mov_b32_e32 v7, 0
	s_and_saveexec_b64 s[10:11], s[6:7]
.LBB56_1816:
	v_lshrrev_b32_e32 v5, 24, v5
	s_movk_i32 s6, 0x80
	v_and_or_b32 v7, v5, s6, v6
.LBB56_1817:
	s_or_b64 exec, exec, s[10:11]
.LBB56_1818:
	s_or_b64 exec, exec, s[4:5]
	s_mov_b64 s[4:5], 0
	global_store_byte v[3:4], v7, off
.LBB56_1819:
	s_and_b64 vcc, exec, s[4:5]
	s_cbranch_vccz .LBB56_1829
; %bb.1820:
	v_cvt_f32_f16_e32 v5, v1
	s_mov_b32 s4, 0x43f00000
                                        ; implicit-def: $vgpr6
	v_and_b32_e32 v7, 0x7fffffff, v5
	v_cmp_gt_u32_e32 vcc, s4, v7
	s_and_saveexec_b64 s[4:5], vcc
	s_xor_b64 s[4:5], exec, s[4:5]
	s_cbranch_execz .LBB56_1826
; %bb.1821:
	s_mov_b32 s6, 0x3c7fffff
	v_cmp_lt_u32_e32 vcc, s6, v7
                                        ; implicit-def: $vgpr6
	s_and_saveexec_b64 s[6:7], vcc
	s_xor_b64 s[6:7], exec, s[6:7]
; %bb.1822:
	v_bfe_u32 v6, v5, 20, 1
	s_mov_b32 s10, 0x407ffff
	v_add3_u32 v6, v5, v6, s10
	v_lshrrev_b32_e32 v7, 20, v6
	v_and_b32_e32 v6, 0xff00000, v6
	s_mov_b32 s10, 0x7f00000
	v_mov_b32_e32 v8, 0x7e
	v_cmp_ne_u32_e32 vcc, s10, v6
	v_cndmask_b32_e32 v6, v8, v7, vcc
; %bb.1823:
	s_andn2_saveexec_b64 s[6:7], s[6:7]
; %bb.1824:
	s_mov_b32 s10, 0x46800000
	v_add_f32_e64 v6, |v5|, s10
; %bb.1825:
	s_or_b64 exec, exec, s[6:7]
                                        ; implicit-def: $vgpr7
.LBB56_1826:
	s_andn2_saveexec_b64 s[4:5], s[4:5]
; %bb.1827:
	s_mov_b32 s6, 0x7f800000
	v_mov_b32_e32 v6, 0x7e
	v_mov_b32_e32 v8, 0x7f
	v_cmp_lt_u32_e32 vcc, s6, v7
	v_cndmask_b32_e32 v6, v6, v8, vcc
; %bb.1828:
	s_or_b64 exec, exec, s[4:5]
	v_lshrrev_b32_e32 v5, 24, v5
	s_movk_i32 s4, 0x80
	v_and_or_b32 v5, v5, s4, v6
	global_store_byte v[3:4], v5, off
.LBB56_1829:
	s_mov_b64 s[4:5], 0
.LBB56_1830:
	s_andn2_b64 vcc, exec, s[4:5]
	s_cbranch_vccnz .LBB56_1840
; %bb.1831:
	v_cvt_f32_f16_e32 v5, v1
	s_mov_b32 s4, 0x47800000
                                        ; implicit-def: $vgpr6
	v_and_b32_e32 v7, 0x7fffffff, v5
	v_cmp_gt_u32_e32 vcc, s4, v7
	s_and_saveexec_b64 s[4:5], vcc
	s_xor_b64 s[4:5], exec, s[4:5]
	s_cbranch_execz .LBB56_1837
; %bb.1832:
	s_mov_b32 s6, 0x387fffff
	v_cmp_lt_u32_e32 vcc, s6, v7
                                        ; implicit-def: $vgpr6
	s_and_saveexec_b64 s[6:7], vcc
	s_xor_b64 s[6:7], exec, s[6:7]
; %bb.1833:
	v_bfe_u32 v6, v5, 21, 1
	s_mov_b32 s10, 0x80fffff
	v_add3_u32 v6, v5, v6, s10
	v_lshrrev_b32_e32 v6, 21, v6
; %bb.1834:
	s_andn2_saveexec_b64 s[6:7], s[6:7]
; %bb.1835:
	s_mov_b32 s10, 0x43000000
	v_add_f32_e64 v6, |v5|, s10
; %bb.1836:
	s_or_b64 exec, exec, s[6:7]
                                        ; implicit-def: $vgpr7
.LBB56_1837:
	s_andn2_saveexec_b64 s[4:5], s[4:5]
; %bb.1838:
	s_mov_b32 s6, 0x7f800000
	v_mov_b32_e32 v6, 0x7c
	v_mov_b32_e32 v8, 0x7f
	v_cmp_lt_u32_e32 vcc, s6, v7
	v_cndmask_b32_e32 v6, v6, v8, vcc
; %bb.1839:
	s_or_b64 exec, exec, s[4:5]
	v_lshrrev_b32_e32 v5, 24, v5
	s_movk_i32 s4, 0x80
	v_and_or_b32 v5, v5, s4, v6
	global_store_byte v[3:4], v5, off
.LBB56_1840:
	s_mov_b64 s[4:5], 0
	s_mov_b64 s[6:7], -1
.LBB56_1841:
	s_andn2_b64 vcc, exec, s[4:5]
	s_mov_b64 s[4:5], 0
	s_cbranch_vccnz .LBB56_1848
; %bb.1842:
	s_cmp_gt_i32 s15, 14
	s_mov_b64 s[10:11], -1
	s_cbranch_scc0 .LBB56_1846
; %bb.1843:
	s_cmp_eq_u32 s15, 15
	s_mov_b64 s[0:1], -1
	s_cbranch_scc0 .LBB56_1845
; %bb.1844:
	v_cvt_f32_f16_e32 v5, v1
	s_movk_i32 s0, 0x7fff
	v_cmp_o_f16_e32 vcc, v1, v1
	v_mov_b32_e32 v6, 0x7fc0
	v_bfe_u32 v7, v5, 16, 1
	v_add3_u32 v5, v5, v7, s0
	v_cndmask_b32_sdwa v5, v6, v5, vcc dst_sel:DWORD dst_unused:UNUSED_PAD src0_sel:DWORD src1_sel:WORD_1
	global_store_short v[3:4], v5, off
	s_mov_b64 s[0:1], 0
	s_mov_b64 s[6:7], -1
.LBB56_1845:
	s_mov_b64 s[10:11], 0
.LBB56_1846:
	s_and_b64 vcc, exec, s[10:11]
	s_cbranch_vccz .LBB56_1848
; %bb.1847:
	s_cmp_lg_u32 s15, 11
	s_mov_b64 s[4:5], -1
	s_cselect_b64 s[0:1], -1, 0
.LBB56_1848:
	s_and_b64 vcc, exec, s[0:1]
	s_cbranch_vccnz .LBB56_2142
; %bb.1849:
	s_andn2_b64 vcc, exec, s[4:5]
	s_cbranch_vccnz .LBB56_1851
.LBB56_1850:
	v_cmp_neq_f16_e32 vcc, 0, v1
	v_cndmask_b32_e64 v5, 0, 1, vcc
	s_mov_b64 s[6:7], -1
	global_store_byte v[3:4], v5, off
.LBB56_1851:
	s_mov_b64 s[0:1], 0
	s_branch .LBB56_1853
.LBB56_1852:
	s_mov_b64 s[0:1], -1
	s_mov_b64 s[6:7], 0
.LBB56_1853:
	s_and_b64 vcc, exec, s[0:1]
	s_cbranch_vccz .LBB56_1892
; %bb.1854:
	s_and_b32 s4, 0xffff, s14
	s_cmp_lt_i32 s4, 5
	s_mov_b64 s[0:1], -1
	s_cbranch_scc1 .LBB56_1875
; %bb.1855:
	s_cmp_lt_i32 s4, 8
	s_cbranch_scc1 .LBB56_1865
; %bb.1856:
	s_cmp_lt_i32 s4, 9
	s_cbranch_scc1 .LBB56_1862
; %bb.1857:
	s_cmp_gt_i32 s4, 9
	s_cbranch_scc0 .LBB56_1859
; %bb.1858:
	v_cvt_f32_f16_e32 v5, v1
	v_mov_b32_e32 v7, 0
	v_mov_b32_e32 v8, v7
	s_mov_b64 s[0:1], 0
	v_cvt_f64_f32_e32 v[5:6], v5
	global_store_dwordx4 v[3:4], v[5:8], off
.LBB56_1859:
	s_andn2_b64 vcc, exec, s[0:1]
	s_cbranch_vccnz .LBB56_1861
; %bb.1860:
	v_cvt_f32_f16_e32 v5, v1
	v_mov_b32_e32 v6, 0
	global_store_dwordx2 v[3:4], v[5:6], off
.LBB56_1861:
	s_mov_b64 s[0:1], 0
.LBB56_1862:
	s_andn2_b64 vcc, exec, s[0:1]
	s_cbranch_vccnz .LBB56_1864
; %bb.1863:
	v_and_b32_e32 v5, 0xffff, v1
	global_store_dword v[3:4], v5, off
.LBB56_1864:
	s_mov_b64 s[0:1], 0
.LBB56_1865:
	s_andn2_b64 vcc, exec, s[0:1]
	s_cbranch_vccnz .LBB56_1874
; %bb.1866:
	s_cmp_lt_i32 s4, 6
	s_mov_b64 s[0:1], -1
	s_cbranch_scc1 .LBB56_1872
; %bb.1867:
	s_cmp_gt_i32 s4, 6
	s_cbranch_scc0 .LBB56_1869
; %bb.1868:
	v_cvt_f32_f16_e32 v5, v1
	s_mov_b64 s[0:1], 0
	v_cvt_f64_f32_e32 v[5:6], v5
	global_store_dwordx2 v[3:4], v[5:6], off
.LBB56_1869:
	s_andn2_b64 vcc, exec, s[0:1]
	s_cbranch_vccnz .LBB56_1871
; %bb.1870:
	v_cvt_f32_f16_e32 v5, v1
	global_store_dword v[3:4], v5, off
.LBB56_1871:
	s_mov_b64 s[0:1], 0
.LBB56_1872:
	s_andn2_b64 vcc, exec, s[0:1]
	s_cbranch_vccnz .LBB56_1874
; %bb.1873:
	global_store_short v[3:4], v1, off
.LBB56_1874:
	s_mov_b64 s[0:1], 0
.LBB56_1875:
	s_andn2_b64 vcc, exec, s[0:1]
	s_cbranch_vccnz .LBB56_1891
; %bb.1876:
	s_cmp_lt_i32 s4, 2
	s_mov_b64 s[0:1], -1
	s_cbranch_scc1 .LBB56_1886
; %bb.1877:
	s_cmp_lt_i32 s4, 3
	s_cbranch_scc1 .LBB56_1883
; %bb.1878:
	s_cmp_gt_i32 s4, 3
	s_cbranch_scc0 .LBB56_1880
; %bb.1879:
	v_cvt_f32_f16_e32 v5, v1
	s_mov_b64 s[0:1], 0
	v_cvt_i32_f32_e32 v5, v5
	v_ashrrev_i32_e32 v6, 31, v5
	global_store_dwordx2 v[3:4], v[5:6], off
.LBB56_1880:
	s_andn2_b64 vcc, exec, s[0:1]
	s_cbranch_vccnz .LBB56_1882
; %bb.1881:
	v_cvt_f32_f16_e32 v5, v1
	v_cvt_i32_f32_e32 v5, v5
	global_store_dword v[3:4], v5, off
.LBB56_1882:
	s_mov_b64 s[0:1], 0
.LBB56_1883:
	s_andn2_b64 vcc, exec, s[0:1]
	s_cbranch_vccnz .LBB56_1885
; %bb.1884:
	v_cvt_i16_f16_e32 v5, v1
	global_store_short v[3:4], v5, off
.LBB56_1885:
	s_mov_b64 s[0:1], 0
.LBB56_1886:
	s_andn2_b64 vcc, exec, s[0:1]
	s_cbranch_vccnz .LBB56_1891
; %bb.1887:
	s_cmp_gt_i32 s4, 0
	s_mov_b64 s[0:1], -1
	s_cbranch_scc0 .LBB56_1889
; %bb.1888:
	v_cvt_i16_f16_e32 v5, v1
	global_store_byte v[3:4], v5, off
	s_mov_b64 s[0:1], 0
.LBB56_1889:
	s_andn2_b64 vcc, exec, s[0:1]
	s_cbranch_vccnz .LBB56_1891
; %bb.1890:
	v_cvt_f32_f16_e32 v1, v1
	v_cvt_i32_f32_e32 v1, v1
	global_store_byte v[3:4], v1, off
.LBB56_1891:
	s_mov_b64 s[6:7], -1
.LBB56_1892:
	s_andn2_b64 vcc, exec, s[6:7]
	s_cbranch_vccnz .LBB56_2088
; %bb.1893:
	v_cvt_f32_f16_e32 v1, v10
	s_mov_b32 s0, -0.5
	v_mov_b32_e32 v3, 0.5
	v_fma_mix_f32 v3, |v10|, s0, v3 op_sel_hi:[1,0,0]
	v_mul_f32_e32 v4, v1, v1
	v_cmp_ge_f32_e64 vcc, |v1|, 0.5
	v_cndmask_b32_e32 v3, v4, v3, vcc
	v_mov_b32_e32 v4, 0x3c5fc5da
	v_fmac_f32_e32 v4, 0x3d1c21a7, v3
	v_mov_b32_e32 v5, 0x3d034c3c
	v_fmac_f32_e32 v5, v3, v4
	;; [unrolled: 2-line block ×4, first 2 shown]
	v_sqrt_f32_e32 v4, v3
	v_mov_b32_e32 v6, 0x3e2aaaac
	v_fmac_f32_e32 v6, v3, v5
	v_mul_f32_e32 v3, v3, v6
	v_fmac_f32_e32 v4, v4, v3
	v_add_f32_e32 v4, v4, v4
	v_sub_f32_e32 v4, 0x3fc90fdb, v4
	v_fma_mix_f32 v3, |v10|, v3, |v10| op_sel_hi:[1,0,1]
	v_cmp_lt_f32_e64 vcc, |v1|, 0.5
	v_cndmask_b32_e32 v1, v4, v3, vcc
	v_cvt_f16_f32_e32 v1, v1
	s_movk_i32 s0, 0x7fff
	v_mov_b32_e32 v4, s9
	s_cmp_lt_i32 s14, 11
	v_bfi_b32 v3, s0, v1, v10
	v_add_co_u32_e32 v1, vcc, s8, v2
	v_addc_co_u32_e32 v2, vcc, 0, v4, vcc
	s_cbranch_scc1 .LBB56_1971
; %bb.1894:
	s_and_b32 s15, 0xffff, s14
	s_mov_b64 s[10:11], -1
	s_mov_b64 s[4:5], 0
	s_cmp_gt_i32 s15, 25
	s_mov_b64 s[6:7], 0
	s_mov_b64 s[0:1], 0
	s_cbranch_scc0 .LBB56_1927
; %bb.1895:
	s_cmp_gt_i32 s15, 28
	s_cbranch_scc0 .LBB56_1910
; %bb.1896:
	s_cmp_gt_i32 s15, 43
	;; [unrolled: 3-line block ×3, first 2 shown]
	s_cbranch_scc0 .LBB56_1900
; %bb.1898:
	s_mov_b64 s[0:1], -1
	s_mov_b64 s[10:11], 0
	s_cmp_eq_u32 s15, 46
	s_cbranch_scc0 .LBB56_1900
; %bb.1899:
	v_cvt_f32_f16_e32 v4, v3
	s_movk_i32 s0, 0x7fff
	v_cmp_o_f16_e32 vcc, v3, v3
	v_mov_b32_e32 v5, 0x7fc0
	v_bfe_u32 v6, v4, 16, 1
	v_add3_u32 v4, v4, v6, s0
	v_cndmask_b32_sdwa v4, v5, v4, vcc dst_sel:DWORD dst_unused:UNUSED_PAD src0_sel:DWORD src1_sel:WORD_1
	global_store_dword v[1:2], v4, off
	s_mov_b64 s[0:1], 0
	s_mov_b64 s[6:7], -1
.LBB56_1900:
	s_and_b64 vcc, exec, s[10:11]
	s_cbranch_vccz .LBB56_1905
; %bb.1901:
	s_cmp_eq_u32 s15, 44
	s_mov_b64 s[0:1], -1
	s_cbranch_scc0 .LBB56_1905
; %bb.1902:
	v_cvt_f32_f16_e32 v4, v3
	s_movk_i32 s0, 0xff
	v_mov_b32_e32 v6, 0xff
	v_bfe_u32 v5, v4, 23, 8
	v_cmp_ne_u32_e32 vcc, s0, v5
	s_and_saveexec_b64 s[6:7], vcc
; %bb.1903:
	s_mov_b32 s0, 0x3fffff
	v_lshrrev_b32_e32 v6, 23, v4
	v_and_b32_e32 v7, 0x400000, v4
	v_and_or_b32 v4, v4, s0, v5
	v_cmp_ne_u32_e32 vcc, 0, v7
	v_cmp_ne_u32_e64 s[0:1], 0, v4
	s_and_b64 s[0:1], vcc, s[0:1]
	v_cndmask_b32_e64 v4, 0, 1, s[0:1]
	v_add_u32_e32 v6, v6, v4
; %bb.1904:
	s_or_b64 exec, exec, s[6:7]
	s_mov_b64 s[0:1], 0
	s_mov_b64 s[6:7], -1
	global_store_byte v[1:2], v6, off
.LBB56_1905:
	s_mov_b64 s[10:11], 0
.LBB56_1906:
	s_and_b64 vcc, exec, s[10:11]
	s_cbranch_vccz .LBB56_1909
; %bb.1907:
	s_cmp_eq_u32 s15, 29
	s_mov_b64 s[0:1], -1
	s_cbranch_scc0 .LBB56_1909
; %bb.1908:
	v_cvt_f32_f16_e32 v4, v3
	v_mov_b32_e32 v5, 0
	s_mov_b64 s[0:1], 0
	s_mov_b64 s[6:7], -1
	v_cvt_u32_f32_e32 v4, v4
	global_store_dwordx2 v[1:2], v[4:5], off
.LBB56_1909:
	s_mov_b64 s[10:11], 0
.LBB56_1910:
	s_and_b64 vcc, exec, s[10:11]
	s_cbranch_vccz .LBB56_1926
; %bb.1911:
	s_cmp_lt_i32 s15, 27
	s_mov_b64 s[6:7], -1
	s_cbranch_scc1 .LBB56_1917
; %bb.1912:
	s_cmp_gt_i32 s15, 27
	s_cbranch_scc0 .LBB56_1914
; %bb.1913:
	v_cvt_f32_f16_e32 v4, v3
	s_mov_b64 s[6:7], 0
	v_cvt_u32_f32_e32 v4, v4
	global_store_dword v[1:2], v4, off
.LBB56_1914:
	s_andn2_b64 vcc, exec, s[6:7]
	s_cbranch_vccnz .LBB56_1916
; %bb.1915:
	v_cvt_u16_f16_e32 v4, v3
	global_store_short v[1:2], v4, off
.LBB56_1916:
	s_mov_b64 s[6:7], 0
.LBB56_1917:
	s_andn2_b64 vcc, exec, s[6:7]
	s_cbranch_vccnz .LBB56_1925
; %bb.1918:
	v_cvt_f32_f16_e32 v4, v3
	s_mov_b32 s6, 0x43800000
	v_mov_b32_e32 v6, 0x80
	v_and_b32_e32 v5, 0x7fffffff, v4
	v_cmp_gt_u32_e32 vcc, s6, v5
	s_and_saveexec_b64 s[6:7], vcc
	s_cbranch_execz .LBB56_1924
; %bb.1919:
	s_mov_b32 s10, 0x3bffffff
	v_cmp_lt_u32_e32 vcc, s10, v5
	s_mov_b64 s[10:11], 0
                                        ; implicit-def: $vgpr5
	s_and_saveexec_b64 s[12:13], vcc
	s_xor_b64 s[12:13], exec, s[12:13]
	s_cbranch_execz .LBB56_2145
; %bb.1920:
	v_bfe_u32 v5, v4, 20, 1
	s_mov_b32 s16, 0x487ffff
	v_add3_u32 v5, v4, v5, s16
	s_mov_b64 s[10:11], exec
	v_lshrrev_b32_e32 v5, 20, v5
	s_andn2_saveexec_b64 s[12:13], s[12:13]
	s_cbranch_execnz .LBB56_2146
.LBB56_1921:
	s_or_b64 exec, exec, s[12:13]
	v_mov_b32_e32 v6, 0
	s_and_saveexec_b64 s[12:13], s[10:11]
.LBB56_1922:
	v_lshrrev_b32_e32 v4, 24, v4
	s_movk_i32 s10, 0x80
	v_and_or_b32 v6, v4, s10, v5
.LBB56_1923:
	s_or_b64 exec, exec, s[12:13]
.LBB56_1924:
	s_or_b64 exec, exec, s[6:7]
	global_store_byte v[1:2], v6, off
.LBB56_1925:
	s_mov_b64 s[6:7], -1
.LBB56_1926:
	s_mov_b64 s[10:11], 0
.LBB56_1927:
	s_and_b64 vcc, exec, s[10:11]
	s_cbranch_vccz .LBB56_1967
; %bb.1928:
	s_cmp_gt_i32 s15, 22
	s_mov_b64 s[4:5], -1
	s_cbranch_scc0 .LBB56_1960
; %bb.1929:
	s_cmp_lt_i32 s15, 24
	s_cbranch_scc1 .LBB56_1949
; %bb.1930:
	s_cmp_gt_i32 s15, 24
	s_cbranch_scc0 .LBB56_1938
; %bb.1931:
	v_cvt_f32_f16_e32 v4, v3
	s_mov_b32 s4, 0x47800000
	v_mov_b32_e32 v6, 0x80
	v_and_b32_e32 v5, 0x7fffffff, v4
	v_cmp_gt_u32_e32 vcc, s4, v5
	s_and_saveexec_b64 s[4:5], vcc
	s_cbranch_execz .LBB56_1937
; %bb.1932:
	s_mov_b32 s6, 0x37ffffff
	v_cmp_lt_u32_e32 vcc, s6, v5
	s_mov_b64 s[6:7], 0
                                        ; implicit-def: $vgpr5
	s_and_saveexec_b64 s[10:11], vcc
	s_xor_b64 s[10:11], exec, s[10:11]
	s_cbranch_execz .LBB56_2148
; %bb.1933:
	v_bfe_u32 v5, v4, 21, 1
	s_mov_b32 s12, 0x88fffff
	v_add3_u32 v5, v4, v5, s12
	s_mov_b64 s[6:7], exec
	v_lshrrev_b32_e32 v5, 21, v5
	s_andn2_saveexec_b64 s[10:11], s[10:11]
	s_cbranch_execnz .LBB56_2149
.LBB56_1934:
	s_or_b64 exec, exec, s[10:11]
	v_mov_b32_e32 v6, 0
	s_and_saveexec_b64 s[10:11], s[6:7]
.LBB56_1935:
	v_lshrrev_b32_e32 v4, 24, v4
	s_movk_i32 s6, 0x80
	v_and_or_b32 v6, v4, s6, v5
.LBB56_1936:
	s_or_b64 exec, exec, s[10:11]
.LBB56_1937:
	s_or_b64 exec, exec, s[4:5]
	s_mov_b64 s[4:5], 0
	global_store_byte v[1:2], v6, off
.LBB56_1938:
	s_and_b64 vcc, exec, s[4:5]
	s_cbranch_vccz .LBB56_1948
; %bb.1939:
	v_cvt_f32_f16_e32 v4, v3
	s_mov_b32 s4, 0x43f00000
                                        ; implicit-def: $vgpr5
	v_and_b32_e32 v6, 0x7fffffff, v4
	v_cmp_gt_u32_e32 vcc, s4, v6
	s_and_saveexec_b64 s[4:5], vcc
	s_xor_b64 s[4:5], exec, s[4:5]
	s_cbranch_execz .LBB56_1945
; %bb.1940:
	s_mov_b32 s6, 0x3c7fffff
	v_cmp_lt_u32_e32 vcc, s6, v6
                                        ; implicit-def: $vgpr5
	s_and_saveexec_b64 s[6:7], vcc
	s_xor_b64 s[6:7], exec, s[6:7]
; %bb.1941:
	v_bfe_u32 v5, v4, 20, 1
	s_mov_b32 s10, 0x407ffff
	v_add3_u32 v5, v4, v5, s10
	v_lshrrev_b32_e32 v6, 20, v5
	v_and_b32_e32 v5, 0xff00000, v5
	s_mov_b32 s10, 0x7f00000
	v_mov_b32_e32 v7, 0x7e
	v_cmp_ne_u32_e32 vcc, s10, v5
	v_cndmask_b32_e32 v5, v7, v6, vcc
; %bb.1942:
	s_andn2_saveexec_b64 s[6:7], s[6:7]
; %bb.1943:
	s_mov_b32 s10, 0x46800000
	v_add_f32_e64 v5, |v4|, s10
; %bb.1944:
	s_or_b64 exec, exec, s[6:7]
                                        ; implicit-def: $vgpr6
.LBB56_1945:
	s_andn2_saveexec_b64 s[4:5], s[4:5]
; %bb.1946:
	s_mov_b32 s6, 0x7f800000
	v_mov_b32_e32 v5, 0x7e
	v_mov_b32_e32 v7, 0x7f
	v_cmp_lt_u32_e32 vcc, s6, v6
	v_cndmask_b32_e32 v5, v5, v7, vcc
; %bb.1947:
	s_or_b64 exec, exec, s[4:5]
	v_lshrrev_b32_e32 v4, 24, v4
	s_movk_i32 s4, 0x80
	v_and_or_b32 v4, v4, s4, v5
	global_store_byte v[1:2], v4, off
.LBB56_1948:
	s_mov_b64 s[4:5], 0
.LBB56_1949:
	s_andn2_b64 vcc, exec, s[4:5]
	s_cbranch_vccnz .LBB56_1959
; %bb.1950:
	v_cvt_f32_f16_e32 v4, v3
	s_mov_b32 s4, 0x47800000
                                        ; implicit-def: $vgpr5
	v_and_b32_e32 v6, 0x7fffffff, v4
	v_cmp_gt_u32_e32 vcc, s4, v6
	s_and_saveexec_b64 s[4:5], vcc
	s_xor_b64 s[4:5], exec, s[4:5]
	s_cbranch_execz .LBB56_1956
; %bb.1951:
	s_mov_b32 s6, 0x387fffff
	v_cmp_lt_u32_e32 vcc, s6, v6
                                        ; implicit-def: $vgpr5
	s_and_saveexec_b64 s[6:7], vcc
	s_xor_b64 s[6:7], exec, s[6:7]
; %bb.1952:
	v_bfe_u32 v5, v4, 21, 1
	s_mov_b32 s10, 0x80fffff
	v_add3_u32 v5, v4, v5, s10
	v_lshrrev_b32_e32 v5, 21, v5
; %bb.1953:
	s_andn2_saveexec_b64 s[6:7], s[6:7]
; %bb.1954:
	s_mov_b32 s10, 0x43000000
	v_add_f32_e64 v5, |v4|, s10
; %bb.1955:
	s_or_b64 exec, exec, s[6:7]
                                        ; implicit-def: $vgpr6
.LBB56_1956:
	s_andn2_saveexec_b64 s[4:5], s[4:5]
; %bb.1957:
	s_mov_b32 s6, 0x7f800000
	v_mov_b32_e32 v5, 0x7c
	v_mov_b32_e32 v7, 0x7f
	v_cmp_lt_u32_e32 vcc, s6, v6
	v_cndmask_b32_e32 v5, v5, v7, vcc
; %bb.1958:
	s_or_b64 exec, exec, s[4:5]
	v_lshrrev_b32_e32 v4, 24, v4
	s_movk_i32 s4, 0x80
	v_and_or_b32 v4, v4, s4, v5
	global_store_byte v[1:2], v4, off
.LBB56_1959:
	s_mov_b64 s[4:5], 0
	s_mov_b64 s[6:7], -1
.LBB56_1960:
	s_andn2_b64 vcc, exec, s[4:5]
	s_mov_b64 s[4:5], 0
	s_cbranch_vccnz .LBB56_1967
; %bb.1961:
	s_cmp_gt_i32 s15, 14
	s_mov_b64 s[10:11], -1
	s_cbranch_scc0 .LBB56_1965
; %bb.1962:
	s_cmp_eq_u32 s15, 15
	s_mov_b64 s[0:1], -1
	s_cbranch_scc0 .LBB56_1964
; %bb.1963:
	v_cvt_f32_f16_e32 v4, v3
	s_movk_i32 s0, 0x7fff
	v_cmp_o_f16_e32 vcc, v3, v3
	v_mov_b32_e32 v5, 0x7fc0
	v_bfe_u32 v6, v4, 16, 1
	v_add3_u32 v4, v4, v6, s0
	v_cndmask_b32_sdwa v4, v5, v4, vcc dst_sel:DWORD dst_unused:UNUSED_PAD src0_sel:DWORD src1_sel:WORD_1
	global_store_short v[1:2], v4, off
	s_mov_b64 s[0:1], 0
	s_mov_b64 s[6:7], -1
.LBB56_1964:
	s_mov_b64 s[10:11], 0
.LBB56_1965:
	s_and_b64 vcc, exec, s[10:11]
	s_cbranch_vccz .LBB56_1967
; %bb.1966:
	s_cmp_lg_u32 s15, 11
	s_mov_b64 s[4:5], -1
	s_cselect_b64 s[0:1], -1, 0
.LBB56_1967:
	s_and_b64 vcc, exec, s[0:1]
	s_cbranch_vccnz .LBB56_2147
; %bb.1968:
	s_andn2_b64 vcc, exec, s[4:5]
	s_cbranch_vccnz .LBB56_1970
.LBB56_1969:
	v_cmp_neq_f16_e32 vcc, 0, v3
	v_cndmask_b32_e64 v4, 0, 1, vcc
	s_mov_b64 s[6:7], -1
	global_store_byte v[1:2], v4, off
.LBB56_1970:
	s_mov_b64 s[0:1], 0
	s_branch .LBB56_1972
.LBB56_1971:
	s_mov_b64 s[0:1], -1
	s_mov_b64 s[6:7], 0
.LBB56_1972:
	s_and_b64 vcc, exec, s[0:1]
	s_cbranch_vccz .LBB56_2011
; %bb.1973:
	s_and_b32 s4, 0xffff, s14
	s_cmp_lt_i32 s4, 5
	s_mov_b64 s[0:1], -1
	s_cbranch_scc1 .LBB56_1994
; %bb.1974:
	s_cmp_lt_i32 s4, 8
	s_cbranch_scc1 .LBB56_1984
; %bb.1975:
	s_cmp_lt_i32 s4, 9
	s_cbranch_scc1 .LBB56_1981
; %bb.1976:
	s_cmp_gt_i32 s4, 9
	s_cbranch_scc0 .LBB56_1978
; %bb.1977:
	v_cvt_f32_f16_e32 v4, v3
	v_mov_b32_e32 v6, 0
	v_mov_b32_e32 v7, v6
	s_mov_b64 s[0:1], 0
	v_cvt_f64_f32_e32 v[4:5], v4
	global_store_dwordx4 v[1:2], v[4:7], off
.LBB56_1978:
	s_andn2_b64 vcc, exec, s[0:1]
	s_cbranch_vccnz .LBB56_1980
; %bb.1979:
	v_cvt_f32_f16_e32 v4, v3
	v_mov_b32_e32 v5, 0
	global_store_dwordx2 v[1:2], v[4:5], off
.LBB56_1980:
	s_mov_b64 s[0:1], 0
.LBB56_1981:
	s_andn2_b64 vcc, exec, s[0:1]
	s_cbranch_vccnz .LBB56_1983
; %bb.1982:
	v_and_b32_e32 v4, 0xffff, v3
	global_store_dword v[1:2], v4, off
.LBB56_1983:
	s_mov_b64 s[0:1], 0
.LBB56_1984:
	s_andn2_b64 vcc, exec, s[0:1]
	s_cbranch_vccnz .LBB56_1993
; %bb.1985:
	s_cmp_lt_i32 s4, 6
	s_mov_b64 s[0:1], -1
	s_cbranch_scc1 .LBB56_1991
; %bb.1986:
	s_cmp_gt_i32 s4, 6
	s_cbranch_scc0 .LBB56_1988
; %bb.1987:
	v_cvt_f32_f16_e32 v4, v3
	s_mov_b64 s[0:1], 0
	v_cvt_f64_f32_e32 v[4:5], v4
	global_store_dwordx2 v[1:2], v[4:5], off
.LBB56_1988:
	s_andn2_b64 vcc, exec, s[0:1]
	s_cbranch_vccnz .LBB56_1990
; %bb.1989:
	v_cvt_f32_f16_e32 v4, v3
	global_store_dword v[1:2], v4, off
.LBB56_1990:
	s_mov_b64 s[0:1], 0
.LBB56_1991:
	s_andn2_b64 vcc, exec, s[0:1]
	s_cbranch_vccnz .LBB56_1993
; %bb.1992:
	global_store_short v[1:2], v3, off
.LBB56_1993:
	s_mov_b64 s[0:1], 0
.LBB56_1994:
	s_andn2_b64 vcc, exec, s[0:1]
	s_cbranch_vccnz .LBB56_2010
; %bb.1995:
	s_cmp_lt_i32 s4, 2
	s_mov_b64 s[0:1], -1
	s_cbranch_scc1 .LBB56_2005
; %bb.1996:
	s_cmp_lt_i32 s4, 3
	s_cbranch_scc1 .LBB56_2002
; %bb.1997:
	s_cmp_gt_i32 s4, 3
	s_cbranch_scc0 .LBB56_1999
; %bb.1998:
	v_cvt_f32_f16_e32 v4, v3
	s_mov_b64 s[0:1], 0
	v_cvt_i32_f32_e32 v4, v4
	v_ashrrev_i32_e32 v5, 31, v4
	global_store_dwordx2 v[1:2], v[4:5], off
.LBB56_1999:
	s_andn2_b64 vcc, exec, s[0:1]
	s_cbranch_vccnz .LBB56_2001
; %bb.2000:
	v_cvt_f32_f16_e32 v4, v3
	v_cvt_i32_f32_e32 v4, v4
	global_store_dword v[1:2], v4, off
.LBB56_2001:
	s_mov_b64 s[0:1], 0
.LBB56_2002:
	s_andn2_b64 vcc, exec, s[0:1]
	s_cbranch_vccnz .LBB56_2004
; %bb.2003:
	v_cvt_i16_f16_e32 v4, v3
	global_store_short v[1:2], v4, off
.LBB56_2004:
	s_mov_b64 s[0:1], 0
.LBB56_2005:
	s_andn2_b64 vcc, exec, s[0:1]
	s_cbranch_vccnz .LBB56_2010
; %bb.2006:
	s_cmp_gt_i32 s4, 0
	s_mov_b64 s[0:1], -1
	s_cbranch_scc0 .LBB56_2008
; %bb.2007:
	v_cvt_i16_f16_e32 v4, v3
	global_store_byte v[1:2], v4, off
	s_mov_b64 s[0:1], 0
.LBB56_2008:
	s_andn2_b64 vcc, exec, s[0:1]
	s_cbranch_vccnz .LBB56_2010
; %bb.2009:
	v_cvt_f32_f16_e32 v3, v3
	v_cvt_i32_f32_e32 v3, v3
	global_store_byte v[1:2], v3, off
.LBB56_2010:
	s_mov_b64 s[6:7], -1
.LBB56_2011:
	s_andn2_b64 vcc, exec, s[6:7]
	s_cbranch_vccnz .LBB56_2088
; %bb.2012:
	v_cvt_f32_f16_e32 v1, v9
	s_mov_b32 s0, -0.5
	v_mov_b32_e32 v2, 0.5
	v_fma_mix_f32 v2, |v9|, s0, v2 op_sel_hi:[1,0,0]
	v_mul_f32_e32 v3, v1, v1
	v_cmp_ge_f32_e64 vcc, |v1|, 0.5
	v_cndmask_b32_e32 v2, v3, v2, vcc
	v_mov_b32_e32 v3, 0x3c5fc5da
	v_fmac_f32_e32 v3, 0x3d1c21a7, v2
	v_mov_b32_e32 v4, 0x3d034c3c
	v_fmac_f32_e32 v4, v2, v3
	;; [unrolled: 2-line block ×4, first 2 shown]
	v_sqrt_f32_e32 v3, v2
	v_mov_b32_e32 v5, 0x3e2aaaac
	v_fmac_f32_e32 v5, v2, v4
	v_mul_f32_e32 v2, v2, v5
	v_fmac_f32_e32 v3, v3, v2
	v_add_f32_e32 v3, v3, v3
	v_sub_f32_e32 v3, 0x3fc90fdb, v3
	v_fma_mix_f32 v2, |v9|, v2, |v9| op_sel_hi:[1,0,1]
	v_cmp_lt_f32_e64 vcc, |v1|, 0.5
	v_cndmask_b32_e32 v1, v3, v2, vcc
	v_cvt_f16_f32_e32 v1, v1
	s_movk_i32 s0, 0x7fff
	v_add_co_u32_e32 v0, vcc, s8, v0
	v_bfi_b32 v2, s0, v1, v9
	v_mov_b32_e32 v1, s9
	s_cmp_lt_i32 s14, 11
	v_addc_co_u32_e32 v1, vcc, 0, v1, vcc
	s_cbranch_scc1 .LBB56_2133
; %bb.2013:
	s_and_b32 s12, 0xffff, s14
	s_mov_b64 s[6:7], -1
	s_mov_b64 s[4:5], 0
	s_cmp_gt_i32 s12, 25
	s_mov_b64 s[0:1], 0
	s_cbranch_scc0 .LBB56_2046
; %bb.2014:
	s_cmp_gt_i32 s12, 28
	s_cbranch_scc0 .LBB56_2030
; %bb.2015:
	s_cmp_gt_i32 s12, 43
	;; [unrolled: 3-line block ×3, first 2 shown]
	s_cbranch_scc0 .LBB56_2020
; %bb.2017:
	s_cmp_eq_u32 s12, 46
	s_mov_b64 s[0:1], -1
	s_cbranch_scc0 .LBB56_2019
; %bb.2018:
	v_cvt_f32_f16_e32 v3, v2
	s_movk_i32 s0, 0x7fff
	v_cmp_o_f16_e32 vcc, v2, v2
	v_mov_b32_e32 v4, 0x7fc0
	v_bfe_u32 v5, v3, 16, 1
	v_add3_u32 v3, v3, v5, s0
	v_cndmask_b32_sdwa v3, v4, v3, vcc dst_sel:DWORD dst_unused:UNUSED_PAD src0_sel:DWORD src1_sel:WORD_1
	global_store_dword v[0:1], v3, off
	s_mov_b64 s[0:1], 0
.LBB56_2019:
	s_mov_b64 s[6:7], 0
.LBB56_2020:
	s_and_b64 vcc, exec, s[6:7]
	s_cbranch_vccz .LBB56_2025
; %bb.2021:
	s_cmp_eq_u32 s12, 44
	s_mov_b64 s[0:1], -1
	s_cbranch_scc0 .LBB56_2025
; %bb.2022:
	v_cvt_f32_f16_e32 v3, v2
	s_movk_i32 s0, 0xff
	v_mov_b32_e32 v5, 0xff
	v_bfe_u32 v4, v3, 23, 8
	v_cmp_ne_u32_e32 vcc, s0, v4
	s_and_saveexec_b64 s[6:7], vcc
; %bb.2023:
	s_mov_b32 s0, 0x3fffff
	v_lshrrev_b32_e32 v5, 23, v3
	v_and_b32_e32 v6, 0x400000, v3
	v_and_or_b32 v3, v3, s0, v4
	v_cmp_ne_u32_e32 vcc, 0, v6
	v_cmp_ne_u32_e64 s[0:1], 0, v3
	s_and_b64 s[0:1], vcc, s[0:1]
	v_cndmask_b32_e64 v3, 0, 1, s[0:1]
	v_add_u32_e32 v5, v5, v3
; %bb.2024:
	s_or_b64 exec, exec, s[6:7]
	s_mov_b64 s[0:1], 0
	global_store_byte v[0:1], v5, off
.LBB56_2025:
	s_mov_b64 s[6:7], 0
.LBB56_2026:
	s_and_b64 vcc, exec, s[6:7]
	s_cbranch_vccz .LBB56_2029
; %bb.2027:
	s_cmp_eq_u32 s12, 29
	s_mov_b64 s[0:1], -1
	s_cbranch_scc0 .LBB56_2029
; %bb.2028:
	v_cvt_f32_f16_e32 v3, v2
	v_mov_b32_e32 v4, 0
	s_mov_b64 s[0:1], 0
	v_cvt_u32_f32_e32 v3, v3
	global_store_dwordx2 v[0:1], v[3:4], off
.LBB56_2029:
	s_mov_b64 s[6:7], 0
.LBB56_2030:
	s_and_b64 vcc, exec, s[6:7]
	s_cbranch_vccz .LBB56_2045
; %bb.2031:
	s_cmp_lt_i32 s12, 27
	s_mov_b64 s[6:7], -1
	s_cbranch_scc1 .LBB56_2037
; %bb.2032:
	s_cmp_gt_i32 s12, 27
	s_cbranch_scc0 .LBB56_2034
; %bb.2033:
	v_cvt_f32_f16_e32 v3, v2
	s_mov_b64 s[6:7], 0
	v_cvt_u32_f32_e32 v3, v3
	global_store_dword v[0:1], v3, off
.LBB56_2034:
	s_andn2_b64 vcc, exec, s[6:7]
	s_cbranch_vccnz .LBB56_2036
; %bb.2035:
	v_cvt_u16_f16_e32 v3, v2
	global_store_short v[0:1], v3, off
.LBB56_2036:
	s_mov_b64 s[6:7], 0
.LBB56_2037:
	s_andn2_b64 vcc, exec, s[6:7]
	s_cbranch_vccnz .LBB56_2045
; %bb.2038:
	v_cvt_f32_f16_e32 v3, v2
	s_mov_b32 s6, 0x43800000
	v_mov_b32_e32 v5, 0x80
	v_and_b32_e32 v4, 0x7fffffff, v3
	v_cmp_gt_u32_e32 vcc, s6, v4
	s_and_saveexec_b64 s[6:7], vcc
	s_cbranch_execz .LBB56_2044
; %bb.2039:
	s_mov_b32 s8, 0x3bffffff
	v_cmp_lt_u32_e32 vcc, s8, v4
	s_mov_b64 s[8:9], 0
                                        ; implicit-def: $vgpr4
	s_and_saveexec_b64 s[10:11], vcc
	s_xor_b64 s[10:11], exec, s[10:11]
	s_cbranch_execz .LBB56_2150
; %bb.2040:
	v_bfe_u32 v4, v3, 20, 1
	s_mov_b32 s13, 0x487ffff
	v_add3_u32 v4, v3, v4, s13
	s_mov_b64 s[8:9], exec
	v_lshrrev_b32_e32 v4, 20, v4
	s_andn2_saveexec_b64 s[10:11], s[10:11]
	s_cbranch_execnz .LBB56_2151
.LBB56_2041:
	s_or_b64 exec, exec, s[10:11]
	v_mov_b32_e32 v5, 0
	s_and_saveexec_b64 s[10:11], s[8:9]
.LBB56_2042:
	v_lshrrev_b32_e32 v3, 24, v3
	s_movk_i32 s8, 0x80
	v_and_or_b32 v5, v3, s8, v4
.LBB56_2043:
	s_or_b64 exec, exec, s[10:11]
.LBB56_2044:
	s_or_b64 exec, exec, s[6:7]
	global_store_byte v[0:1], v5, off
.LBB56_2045:
	s_mov_b64 s[6:7], 0
.LBB56_2046:
	s_and_b64 vcc, exec, s[6:7]
	s_cbranch_vccz .LBB56_2086
; %bb.2047:
	s_cmp_gt_i32 s12, 22
	s_mov_b64 s[4:5], -1
	s_cbranch_scc0 .LBB56_2079
; %bb.2048:
	s_cmp_lt_i32 s12, 24
	s_cbranch_scc1 .LBB56_2068
; %bb.2049:
	s_cmp_gt_i32 s12, 24
	s_cbranch_scc0 .LBB56_2057
; %bb.2050:
	v_cvt_f32_f16_e32 v3, v2
	s_mov_b32 s4, 0x47800000
	v_mov_b32_e32 v5, 0x80
	v_and_b32_e32 v4, 0x7fffffff, v3
	v_cmp_gt_u32_e32 vcc, s4, v4
	s_and_saveexec_b64 s[4:5], vcc
	s_cbranch_execz .LBB56_2056
; %bb.2051:
	s_mov_b32 s6, 0x37ffffff
	v_cmp_lt_u32_e32 vcc, s6, v4
	s_mov_b64 s[6:7], 0
                                        ; implicit-def: $vgpr4
	s_and_saveexec_b64 s[8:9], vcc
	s_xor_b64 s[8:9], exec, s[8:9]
	s_cbranch_execz .LBB56_2153
; %bb.2052:
	v_bfe_u32 v4, v3, 21, 1
	s_mov_b32 s10, 0x88fffff
	v_add3_u32 v4, v3, v4, s10
	s_mov_b64 s[6:7], exec
	v_lshrrev_b32_e32 v4, 21, v4
	s_andn2_saveexec_b64 s[8:9], s[8:9]
	s_cbranch_execnz .LBB56_2154
.LBB56_2053:
	s_or_b64 exec, exec, s[8:9]
	v_mov_b32_e32 v5, 0
	s_and_saveexec_b64 s[8:9], s[6:7]
.LBB56_2054:
	v_lshrrev_b32_e32 v3, 24, v3
	s_movk_i32 s6, 0x80
	v_and_or_b32 v5, v3, s6, v4
.LBB56_2055:
	s_or_b64 exec, exec, s[8:9]
.LBB56_2056:
	s_or_b64 exec, exec, s[4:5]
	s_mov_b64 s[4:5], 0
	global_store_byte v[0:1], v5, off
.LBB56_2057:
	s_and_b64 vcc, exec, s[4:5]
	s_cbranch_vccz .LBB56_2067
; %bb.2058:
	v_cvt_f32_f16_e32 v3, v2
	s_mov_b32 s4, 0x43f00000
                                        ; implicit-def: $vgpr4
	v_and_b32_e32 v5, 0x7fffffff, v3
	v_cmp_gt_u32_e32 vcc, s4, v5
	s_and_saveexec_b64 s[4:5], vcc
	s_xor_b64 s[4:5], exec, s[4:5]
	s_cbranch_execz .LBB56_2064
; %bb.2059:
	s_mov_b32 s6, 0x3c7fffff
	v_cmp_lt_u32_e32 vcc, s6, v5
                                        ; implicit-def: $vgpr4
	s_and_saveexec_b64 s[6:7], vcc
	s_xor_b64 s[6:7], exec, s[6:7]
; %bb.2060:
	v_bfe_u32 v4, v3, 20, 1
	s_mov_b32 s8, 0x407ffff
	v_add3_u32 v4, v3, v4, s8
	v_lshrrev_b32_e32 v5, 20, v4
	v_and_b32_e32 v4, 0xff00000, v4
	s_mov_b32 s8, 0x7f00000
	v_mov_b32_e32 v6, 0x7e
	v_cmp_ne_u32_e32 vcc, s8, v4
	v_cndmask_b32_e32 v4, v6, v5, vcc
; %bb.2061:
	s_andn2_saveexec_b64 s[6:7], s[6:7]
; %bb.2062:
	s_mov_b32 s8, 0x46800000
	v_add_f32_e64 v4, |v3|, s8
; %bb.2063:
	s_or_b64 exec, exec, s[6:7]
                                        ; implicit-def: $vgpr5
.LBB56_2064:
	s_andn2_saveexec_b64 s[4:5], s[4:5]
; %bb.2065:
	s_mov_b32 s6, 0x7f800000
	v_mov_b32_e32 v4, 0x7e
	v_mov_b32_e32 v6, 0x7f
	v_cmp_lt_u32_e32 vcc, s6, v5
	v_cndmask_b32_e32 v4, v4, v6, vcc
; %bb.2066:
	s_or_b64 exec, exec, s[4:5]
	v_lshrrev_b32_e32 v3, 24, v3
	s_movk_i32 s4, 0x80
	v_and_or_b32 v3, v3, s4, v4
	global_store_byte v[0:1], v3, off
.LBB56_2067:
	s_mov_b64 s[4:5], 0
.LBB56_2068:
	s_andn2_b64 vcc, exec, s[4:5]
	s_cbranch_vccnz .LBB56_2078
; %bb.2069:
	v_cvt_f32_f16_e32 v3, v2
	s_mov_b32 s4, 0x47800000
                                        ; implicit-def: $vgpr4
	v_and_b32_e32 v5, 0x7fffffff, v3
	v_cmp_gt_u32_e32 vcc, s4, v5
	s_and_saveexec_b64 s[4:5], vcc
	s_xor_b64 s[4:5], exec, s[4:5]
	s_cbranch_execz .LBB56_2075
; %bb.2070:
	s_mov_b32 s6, 0x387fffff
	v_cmp_lt_u32_e32 vcc, s6, v5
                                        ; implicit-def: $vgpr4
	s_and_saveexec_b64 s[6:7], vcc
	s_xor_b64 s[6:7], exec, s[6:7]
; %bb.2071:
	v_bfe_u32 v4, v3, 21, 1
	s_mov_b32 s8, 0x80fffff
	v_add3_u32 v4, v3, v4, s8
	v_lshrrev_b32_e32 v4, 21, v4
; %bb.2072:
	s_andn2_saveexec_b64 s[6:7], s[6:7]
; %bb.2073:
	s_mov_b32 s8, 0x43000000
	v_add_f32_e64 v4, |v3|, s8
; %bb.2074:
	s_or_b64 exec, exec, s[6:7]
                                        ; implicit-def: $vgpr5
.LBB56_2075:
	s_andn2_saveexec_b64 s[4:5], s[4:5]
; %bb.2076:
	s_mov_b32 s6, 0x7f800000
	v_mov_b32_e32 v4, 0x7c
	v_mov_b32_e32 v6, 0x7f
	v_cmp_lt_u32_e32 vcc, s6, v5
	v_cndmask_b32_e32 v4, v4, v6, vcc
; %bb.2077:
	s_or_b64 exec, exec, s[4:5]
	v_lshrrev_b32_e32 v3, 24, v3
	s_movk_i32 s4, 0x80
	v_and_or_b32 v3, v3, s4, v4
	global_store_byte v[0:1], v3, off
.LBB56_2078:
	s_mov_b64 s[4:5], 0
.LBB56_2079:
	s_andn2_b64 vcc, exec, s[4:5]
	s_mov_b64 s[4:5], 0
	s_cbranch_vccnz .LBB56_2086
; %bb.2080:
	s_cmp_gt_i32 s12, 14
	s_mov_b64 s[6:7], -1
	s_cbranch_scc0 .LBB56_2084
; %bb.2081:
	s_cmp_eq_u32 s12, 15
	s_mov_b64 s[0:1], -1
	s_cbranch_scc0 .LBB56_2083
; %bb.2082:
	v_cvt_f32_f16_e32 v3, v2
	s_movk_i32 s0, 0x7fff
	v_cmp_o_f16_e32 vcc, v2, v2
	v_mov_b32_e32 v4, 0x7fc0
	v_bfe_u32 v5, v3, 16, 1
	v_add3_u32 v3, v3, v5, s0
	v_cndmask_b32_sdwa v3, v4, v3, vcc dst_sel:DWORD dst_unused:UNUSED_PAD src0_sel:DWORD src1_sel:WORD_1
	global_store_short v[0:1], v3, off
	s_mov_b64 s[0:1], 0
.LBB56_2083:
	s_mov_b64 s[6:7], 0
.LBB56_2084:
	s_and_b64 vcc, exec, s[6:7]
	s_cbranch_vccz .LBB56_2086
; %bb.2085:
	s_cmp_lg_u32 s12, 11
	s_mov_b64 s[4:5], -1
	s_cselect_b64 s[0:1], -1, 0
.LBB56_2086:
	s_and_b64 vcc, exec, s[0:1]
	s_cbranch_vccnz .LBB56_2152
.LBB56_2087:
	s_mov_b64 s[0:1], 0
	s_branch .LBB56_2089
.LBB56_2088:
	s_mov_b64 s[0:1], 0
	s_mov_b64 s[4:5], 0
                                        ; implicit-def: $vgpr0_vgpr1
                                        ; implicit-def: $sgpr14
                                        ; implicit-def: $vgpr2
.LBB56_2089:
	s_and_b64 s[6:7], s[4:5], exec
	s_andn2_b64 s[4:5], s[28:29], exec
	s_and_b64 s[2:3], s[2:3], exec
	s_and_b64 s[0:1], s[0:1], exec
	s_or_b64 s[28:29], s[4:5], s[2:3]
.LBB56_2090:
	s_or_b64 exec, exec, s[30:31]
	s_and_saveexec_b64 s[2:3], s[28:29]
	s_cbranch_execz .LBB56_2093
; %bb.2091:
	; divergent unreachable
	s_or_b64 exec, exec, s[2:3]
	s_and_saveexec_b64 s[2:3], s[6:7]
	s_xor_b64 s[2:3], exec, s[2:3]
	s_cbranch_execnz .LBB56_2094
.LBB56_2092:
	s_or_b64 exec, exec, s[2:3]
	s_and_saveexec_b64 s[2:3], s[0:1]
	s_cbranch_execnz .LBB56_2095
	s_branch .LBB56_2132
.LBB56_2093:
	s_or_b64 exec, exec, s[2:3]
	s_and_saveexec_b64 s[2:3], s[6:7]
	s_xor_b64 s[2:3], exec, s[2:3]
	s_cbranch_execz .LBB56_2092
.LBB56_2094:
	v_cmp_neq_f16_e32 vcc, 0, v2
	s_waitcnt vmcnt(0)
	v_cndmask_b32_e64 v3, 0, 1, vcc
	global_store_byte v[0:1], v3, off
	s_or_b64 exec, exec, s[2:3]
	s_and_saveexec_b64 s[2:3], s[0:1]
	s_cbranch_execz .LBB56_2132
.LBB56_2095:
	s_sext_i32_i16 s2, s14
	s_cmp_lt_i32 s2, 5
	s_mov_b64 s[0:1], -1
	s_cbranch_scc1 .LBB56_2116
; %bb.2096:
	s_cmp_lt_i32 s2, 8
	s_cbranch_scc1 .LBB56_2106
; %bb.2097:
	s_cmp_lt_i32 s2, 9
	s_cbranch_scc1 .LBB56_2103
; %bb.2098:
	s_cmp_gt_i32 s2, 9
	s_cbranch_scc0 .LBB56_2100
; %bb.2099:
	s_waitcnt vmcnt(0)
	v_cvt_f32_f16_e32 v3, v2
	v_mov_b32_e32 v5, 0
	v_mov_b32_e32 v6, v5
	s_mov_b64 s[0:1], 0
	v_cvt_f64_f32_e32 v[3:4], v3
	global_store_dwordx4 v[0:1], v[3:6], off
.LBB56_2100:
	s_andn2_b64 vcc, exec, s[0:1]
	s_cbranch_vccnz .LBB56_2102
; %bb.2101:
	s_waitcnt vmcnt(0)
	v_cvt_f32_f16_e32 v3, v2
	v_mov_b32_e32 v4, 0
	global_store_dwordx2 v[0:1], v[3:4], off
.LBB56_2102:
	s_mov_b64 s[0:1], 0
.LBB56_2103:
	s_andn2_b64 vcc, exec, s[0:1]
	s_cbranch_vccnz .LBB56_2105
; %bb.2104:
	s_waitcnt vmcnt(0)
	v_and_b32_e32 v3, 0xffff, v2
	global_store_dword v[0:1], v3, off
.LBB56_2105:
	s_mov_b64 s[0:1], 0
.LBB56_2106:
	s_andn2_b64 vcc, exec, s[0:1]
	s_cbranch_vccnz .LBB56_2115
; %bb.2107:
	s_sext_i32_i16 s2, s14
	s_cmp_lt_i32 s2, 6
	s_mov_b64 s[0:1], -1
	s_cbranch_scc1 .LBB56_2113
; %bb.2108:
	s_cmp_gt_i32 s2, 6
	s_cbranch_scc0 .LBB56_2110
; %bb.2109:
	s_waitcnt vmcnt(0)
	v_cvt_f32_f16_e32 v3, v2
	s_mov_b64 s[0:1], 0
	v_cvt_f64_f32_e32 v[3:4], v3
	global_store_dwordx2 v[0:1], v[3:4], off
.LBB56_2110:
	s_andn2_b64 vcc, exec, s[0:1]
	s_cbranch_vccnz .LBB56_2112
; %bb.2111:
	s_waitcnt vmcnt(0)
	v_cvt_f32_f16_e32 v3, v2
	global_store_dword v[0:1], v3, off
.LBB56_2112:
	s_mov_b64 s[0:1], 0
.LBB56_2113:
	s_andn2_b64 vcc, exec, s[0:1]
	s_cbranch_vccnz .LBB56_2115
; %bb.2114:
	s_waitcnt vmcnt(0)
	global_store_short v[0:1], v2, off
.LBB56_2115:
	s_mov_b64 s[0:1], 0
.LBB56_2116:
	s_andn2_b64 vcc, exec, s[0:1]
	s_cbranch_vccnz .LBB56_2132
; %bb.2117:
	s_sext_i32_i16 s2, s14
	s_cmp_lt_i32 s2, 2
	s_mov_b64 s[0:1], -1
	s_cbranch_scc1 .LBB56_2127
; %bb.2118:
	s_cmp_lt_i32 s2, 3
	s_cbranch_scc1 .LBB56_2124
; %bb.2119:
	s_cmp_gt_i32 s2, 3
	s_cbranch_scc0 .LBB56_2121
; %bb.2120:
	s_waitcnt vmcnt(0)
	v_cvt_f32_f16_e32 v3, v2
	s_mov_b64 s[0:1], 0
	v_cvt_i32_f32_e32 v3, v3
	v_ashrrev_i32_e32 v4, 31, v3
	global_store_dwordx2 v[0:1], v[3:4], off
.LBB56_2121:
	s_andn2_b64 vcc, exec, s[0:1]
	s_cbranch_vccnz .LBB56_2123
; %bb.2122:
	s_waitcnt vmcnt(0)
	v_cvt_f32_f16_e32 v3, v2
	v_cvt_i32_f32_e32 v3, v3
	global_store_dword v[0:1], v3, off
.LBB56_2123:
	s_mov_b64 s[0:1], 0
.LBB56_2124:
	s_andn2_b64 vcc, exec, s[0:1]
	s_cbranch_vccnz .LBB56_2126
; %bb.2125:
	s_waitcnt vmcnt(0)
	v_cvt_i16_f16_e32 v3, v2
	global_store_short v[0:1], v3, off
.LBB56_2126:
	s_mov_b64 s[0:1], 0
.LBB56_2127:
	s_andn2_b64 vcc, exec, s[0:1]
	s_cbranch_vccnz .LBB56_2132
; %bb.2128:
	s_sext_i32_i16 s0, s14
	s_cmp_gt_i32 s0, 0
	s_mov_b64 s[0:1], -1
	s_cbranch_scc0 .LBB56_2130
; %bb.2129:
	s_waitcnt vmcnt(0)
	v_cvt_i16_f16_e32 v3, v2
	global_store_byte v[0:1], v3, off
	s_mov_b64 s[0:1], 0
.LBB56_2130:
	s_andn2_b64 vcc, exec, s[0:1]
	s_cbranch_vccnz .LBB56_2132
; %bb.2131:
	v_cvt_f32_f16_e32 v2, v2
	v_cvt_i32_f32_e32 v2, v2
	s_waitcnt vmcnt(0)
	global_store_byte v[0:1], v2, off
	s_endpgm
.LBB56_2132:
	s_endpgm
.LBB56_2133:
	s_mov_b64 s[4:5], 0
	s_mov_b64 s[0:1], -1
	s_branch .LBB56_2089
.LBB56_2134:
	s_trap 2
	s_or_b64 s[2:3], s[2:3], exec
	s_cbranch_execz .LBB56_1603
	s_branch .LBB56_1604
.LBB56_2135:
	s_andn2_saveexec_b64 s[12:13], s[12:13]
	s_cbranch_execz .LBB56_1683
.LBB56_2136:
	s_mov_b32 s17, 0x46000000
	v_add_f32_e64 v8, |v7|, s17
	v_and_b32_e32 v8, 0xff, v8
	v_cmp_ne_u32_e32 vcc, 0, v8
	s_andn2_b64 s[10:11], s[10:11], exec
	s_and_b64 s[18:19], vcc, exec
	s_or_b64 s[10:11], s[10:11], s[18:19]
	s_or_b64 exec, exec, s[12:13]
	v_mov_b32_e32 v11, 0
	s_and_saveexec_b64 s[12:13], s[10:11]
	s_cbranch_execnz .LBB56_1684
	s_branch .LBB56_1685
.LBB56_2137:
	s_trap 2
	s_or_b64 s[2:3], s[2:3], exec
	s_cbranch_execz .LBB56_1731
	s_branch .LBB56_1732
.LBB56_2138:
	s_andn2_saveexec_b64 s[10:11], s[10:11]
	s_cbranch_execz .LBB56_1696
.LBB56_2139:
	s_mov_b32 s12, 0x42800000
	v_add_f32_e64 v8, |v7|, s12
	v_and_b32_e32 v8, 0xff, v8
	v_cmp_ne_u32_e32 vcc, 0, v8
	s_andn2_b64 s[6:7], s[6:7], exec
	s_and_b64 s[12:13], vcc, exec
	s_or_b64 s[6:7], s[6:7], s[12:13]
	s_or_b64 exec, exec, s[10:11]
	v_mov_b32_e32 v11, 0
	s_and_saveexec_b64 s[10:11], s[6:7]
	s_cbranch_execnz .LBB56_1697
	s_branch .LBB56_1698
.LBB56_2140:
	s_andn2_saveexec_b64 s[12:13], s[12:13]
	s_cbranch_execz .LBB56_1802
.LBB56_2141:
	s_mov_b32 s16, 0x46000000
	v_add_f32_e64 v6, |v5|, s16
	v_and_b32_e32 v6, 0xff, v6
	v_cmp_ne_u32_e32 vcc, 0, v6
	s_andn2_b64 s[10:11], s[10:11], exec
	s_and_b64 s[16:17], vcc, exec
	s_or_b64 s[10:11], s[10:11], s[16:17]
	s_or_b64 exec, exec, s[12:13]
	v_mov_b32_e32 v7, 0
	s_and_saveexec_b64 s[12:13], s[10:11]
	s_cbranch_execnz .LBB56_1803
	s_branch .LBB56_1804
.LBB56_2142:
	s_trap 2
	s_or_b64 s[2:3], s[2:3], exec
	s_cbranch_execz .LBB56_1850
	s_branch .LBB56_1851
.LBB56_2143:
	s_andn2_saveexec_b64 s[10:11], s[10:11]
	s_cbranch_execz .LBB56_1815
.LBB56_2144:
	s_mov_b32 s12, 0x42800000
	v_add_f32_e64 v6, |v5|, s12
	v_and_b32_e32 v6, 0xff, v6
	v_cmp_ne_u32_e32 vcc, 0, v6
	s_andn2_b64 s[6:7], s[6:7], exec
	s_and_b64 s[12:13], vcc, exec
	s_or_b64 s[6:7], s[6:7], s[12:13]
	s_or_b64 exec, exec, s[10:11]
	v_mov_b32_e32 v7, 0
	s_and_saveexec_b64 s[10:11], s[6:7]
	s_cbranch_execnz .LBB56_1816
	s_branch .LBB56_1817
.LBB56_2145:
	s_andn2_saveexec_b64 s[12:13], s[12:13]
	s_cbranch_execz .LBB56_1921
.LBB56_2146:
	s_mov_b32 s16, 0x46000000
	v_add_f32_e64 v5, |v4|, s16
	v_and_b32_e32 v5, 0xff, v5
	v_cmp_ne_u32_e32 vcc, 0, v5
	s_andn2_b64 s[10:11], s[10:11], exec
	s_and_b64 s[16:17], vcc, exec
	s_or_b64 s[10:11], s[10:11], s[16:17]
	s_or_b64 exec, exec, s[12:13]
	v_mov_b32_e32 v6, 0
	s_and_saveexec_b64 s[12:13], s[10:11]
	s_cbranch_execnz .LBB56_1922
	s_branch .LBB56_1923
.LBB56_2147:
	s_trap 2
	s_or_b64 s[2:3], s[2:3], exec
	s_cbranch_execz .LBB56_1969
	s_branch .LBB56_1970
.LBB56_2148:
	s_andn2_saveexec_b64 s[10:11], s[10:11]
	s_cbranch_execz .LBB56_1934
.LBB56_2149:
	s_mov_b32 s12, 0x42800000
	v_add_f32_e64 v5, |v4|, s12
	v_and_b32_e32 v5, 0xff, v5
	v_cmp_ne_u32_e32 vcc, 0, v5
	s_andn2_b64 s[6:7], s[6:7], exec
	s_and_b64 s[12:13], vcc, exec
	s_or_b64 s[6:7], s[6:7], s[12:13]
	s_or_b64 exec, exec, s[10:11]
	v_mov_b32_e32 v6, 0
	s_and_saveexec_b64 s[10:11], s[6:7]
	s_cbranch_execnz .LBB56_1935
	s_branch .LBB56_1936
.LBB56_2150:
	s_andn2_saveexec_b64 s[10:11], s[10:11]
	s_cbranch_execz .LBB56_2041
.LBB56_2151:
	s_mov_b32 s13, 0x46000000
	v_add_f32_e64 v4, |v3|, s13
	v_and_b32_e32 v4, 0xff, v4
	v_cmp_ne_u32_e32 vcc, 0, v4
	s_andn2_b64 s[8:9], s[8:9], exec
	s_and_b64 s[16:17], vcc, exec
	s_or_b64 s[8:9], s[8:9], s[16:17]
	s_or_b64 exec, exec, s[10:11]
	v_mov_b32_e32 v5, 0
	s_and_saveexec_b64 s[10:11], s[8:9]
	s_cbranch_execnz .LBB56_2042
	s_branch .LBB56_2043
.LBB56_2152:
	s_mov_b64 s[4:5], 0
	s_or_b64 s[2:3], s[2:3], exec
	s_trap 2
	s_branch .LBB56_2087
.LBB56_2153:
	s_andn2_saveexec_b64 s[8:9], s[8:9]
	s_cbranch_execz .LBB56_2053
.LBB56_2154:
	s_mov_b32 s10, 0x42800000
	v_add_f32_e64 v4, |v3|, s10
	v_and_b32_e32 v4, 0xff, v4
	v_cmp_ne_u32_e32 vcc, 0, v4
	s_andn2_b64 s[6:7], s[6:7], exec
	s_and_b64 s[10:11], vcc, exec
	s_or_b64 s[6:7], s[6:7], s[10:11]
	s_or_b64 exec, exec, s[8:9]
	v_mov_b32_e32 v5, 0
	s_and_saveexec_b64 s[8:9], s[6:7]
	s_cbranch_execnz .LBB56_2054
	s_branch .LBB56_2055
	.section	.rodata,"a",@progbits
	.p2align	6, 0x0
	.amdhsa_kernel _ZN2at6native32elementwise_kernel_manual_unrollILi128ELi4EZNS0_15gpu_kernel_implIZZZNS0_16asin_kernel_cudaERNS_18TensorIteratorBaseEENKUlvE0_clEvENKUlvE1_clEvEUlN3c104HalfEE_EEvS4_RKT_EUlibE0_EEviT1_
		.amdhsa_group_segment_fixed_size 0
		.amdhsa_private_segment_fixed_size 0
		.amdhsa_kernarg_size 360
		.amdhsa_user_sgpr_count 6
		.amdhsa_user_sgpr_private_segment_buffer 1
		.amdhsa_user_sgpr_dispatch_ptr 0
		.amdhsa_user_sgpr_queue_ptr 0
		.amdhsa_user_sgpr_kernarg_segment_ptr 1
		.amdhsa_user_sgpr_dispatch_id 0
		.amdhsa_user_sgpr_flat_scratch_init 0
		.amdhsa_user_sgpr_private_segment_size 0
		.amdhsa_uses_dynamic_stack 0
		.amdhsa_system_sgpr_private_segment_wavefront_offset 0
		.amdhsa_system_sgpr_workgroup_id_x 1
		.amdhsa_system_sgpr_workgroup_id_y 0
		.amdhsa_system_sgpr_workgroup_id_z 0
		.amdhsa_system_sgpr_workgroup_info 0
		.amdhsa_system_vgpr_workitem_id 0
		.amdhsa_next_free_vgpr 18
		.amdhsa_next_free_sgpr 78
		.amdhsa_reserve_vcc 1
		.amdhsa_reserve_flat_scratch 0
		.amdhsa_float_round_mode_32 0
		.amdhsa_float_round_mode_16_64 0
		.amdhsa_float_denorm_mode_32 3
		.amdhsa_float_denorm_mode_16_64 3
		.amdhsa_dx10_clamp 1
		.amdhsa_ieee_mode 1
		.amdhsa_fp16_overflow 0
		.amdhsa_exception_fp_ieee_invalid_op 0
		.amdhsa_exception_fp_denorm_src 0
		.amdhsa_exception_fp_ieee_div_zero 0
		.amdhsa_exception_fp_ieee_overflow 0
		.amdhsa_exception_fp_ieee_underflow 0
		.amdhsa_exception_fp_ieee_inexact 0
		.amdhsa_exception_int_div_zero 0
	.end_amdhsa_kernel
	.section	.text._ZN2at6native32elementwise_kernel_manual_unrollILi128ELi4EZNS0_15gpu_kernel_implIZZZNS0_16asin_kernel_cudaERNS_18TensorIteratorBaseEENKUlvE0_clEvENKUlvE1_clEvEUlN3c104HalfEE_EEvS4_RKT_EUlibE0_EEviT1_,"axG",@progbits,_ZN2at6native32elementwise_kernel_manual_unrollILi128ELi4EZNS0_15gpu_kernel_implIZZZNS0_16asin_kernel_cudaERNS_18TensorIteratorBaseEENKUlvE0_clEvENKUlvE1_clEvEUlN3c104HalfEE_EEvS4_RKT_EUlibE0_EEviT1_,comdat
.Lfunc_end56:
	.size	_ZN2at6native32elementwise_kernel_manual_unrollILi128ELi4EZNS0_15gpu_kernel_implIZZZNS0_16asin_kernel_cudaERNS_18TensorIteratorBaseEENKUlvE0_clEvENKUlvE1_clEvEUlN3c104HalfEE_EEvS4_RKT_EUlibE0_EEviT1_, .Lfunc_end56-_ZN2at6native32elementwise_kernel_manual_unrollILi128ELi4EZNS0_15gpu_kernel_implIZZZNS0_16asin_kernel_cudaERNS_18TensorIteratorBaseEENKUlvE0_clEvENKUlvE1_clEvEUlN3c104HalfEE_EEvS4_RKT_EUlibE0_EEviT1_
                                        ; -- End function
	.set _ZN2at6native32elementwise_kernel_manual_unrollILi128ELi4EZNS0_15gpu_kernel_implIZZZNS0_16asin_kernel_cudaERNS_18TensorIteratorBaseEENKUlvE0_clEvENKUlvE1_clEvEUlN3c104HalfEE_EEvS4_RKT_EUlibE0_EEviT1_.num_vgpr, 18
	.set _ZN2at6native32elementwise_kernel_manual_unrollILi128ELi4EZNS0_15gpu_kernel_implIZZZNS0_16asin_kernel_cudaERNS_18TensorIteratorBaseEENKUlvE0_clEvENKUlvE1_clEvEUlN3c104HalfEE_EEvS4_RKT_EUlibE0_EEviT1_.num_agpr, 0
	.set _ZN2at6native32elementwise_kernel_manual_unrollILi128ELi4EZNS0_15gpu_kernel_implIZZZNS0_16asin_kernel_cudaERNS_18TensorIteratorBaseEENKUlvE0_clEvENKUlvE1_clEvEUlN3c104HalfEE_EEvS4_RKT_EUlibE0_EEviT1_.numbered_sgpr, 78
	.set _ZN2at6native32elementwise_kernel_manual_unrollILi128ELi4EZNS0_15gpu_kernel_implIZZZNS0_16asin_kernel_cudaERNS_18TensorIteratorBaseEENKUlvE0_clEvENKUlvE1_clEvEUlN3c104HalfEE_EEvS4_RKT_EUlibE0_EEviT1_.num_named_barrier, 0
	.set _ZN2at6native32elementwise_kernel_manual_unrollILi128ELi4EZNS0_15gpu_kernel_implIZZZNS0_16asin_kernel_cudaERNS_18TensorIteratorBaseEENKUlvE0_clEvENKUlvE1_clEvEUlN3c104HalfEE_EEvS4_RKT_EUlibE0_EEviT1_.private_seg_size, 0
	.set _ZN2at6native32elementwise_kernel_manual_unrollILi128ELi4EZNS0_15gpu_kernel_implIZZZNS0_16asin_kernel_cudaERNS_18TensorIteratorBaseEENKUlvE0_clEvENKUlvE1_clEvEUlN3c104HalfEE_EEvS4_RKT_EUlibE0_EEviT1_.uses_vcc, 1
	.set _ZN2at6native32elementwise_kernel_manual_unrollILi128ELi4EZNS0_15gpu_kernel_implIZZZNS0_16asin_kernel_cudaERNS_18TensorIteratorBaseEENKUlvE0_clEvENKUlvE1_clEvEUlN3c104HalfEE_EEvS4_RKT_EUlibE0_EEviT1_.uses_flat_scratch, 0
	.set _ZN2at6native32elementwise_kernel_manual_unrollILi128ELi4EZNS0_15gpu_kernel_implIZZZNS0_16asin_kernel_cudaERNS_18TensorIteratorBaseEENKUlvE0_clEvENKUlvE1_clEvEUlN3c104HalfEE_EEvS4_RKT_EUlibE0_EEviT1_.has_dyn_sized_stack, 0
	.set _ZN2at6native32elementwise_kernel_manual_unrollILi128ELi4EZNS0_15gpu_kernel_implIZZZNS0_16asin_kernel_cudaERNS_18TensorIteratorBaseEENKUlvE0_clEvENKUlvE1_clEvEUlN3c104HalfEE_EEvS4_RKT_EUlibE0_EEviT1_.has_recursion, 0
	.set _ZN2at6native32elementwise_kernel_manual_unrollILi128ELi4EZNS0_15gpu_kernel_implIZZZNS0_16asin_kernel_cudaERNS_18TensorIteratorBaseEENKUlvE0_clEvENKUlvE1_clEvEUlN3c104HalfEE_EEvS4_RKT_EUlibE0_EEviT1_.has_indirect_call, 0
	.section	.AMDGPU.csdata,"",@progbits
; Kernel info:
; codeLenInByte = 42128
; TotalNumSgprs: 82
; NumVgprs: 18
; ScratchSize: 0
; MemoryBound: 0
; FloatMode: 240
; IeeeMode: 1
; LDSByteSize: 0 bytes/workgroup (compile time only)
; SGPRBlocks: 10
; VGPRBlocks: 4
; NumSGPRsForWavesPerEU: 82
; NumVGPRsForWavesPerEU: 18
; Occupancy: 9
; WaveLimiterHint : 1
; COMPUTE_PGM_RSRC2:SCRATCH_EN: 0
; COMPUTE_PGM_RSRC2:USER_SGPR: 6
; COMPUTE_PGM_RSRC2:TRAP_HANDLER: 0
; COMPUTE_PGM_RSRC2:TGID_X_EN: 1
; COMPUTE_PGM_RSRC2:TGID_Y_EN: 0
; COMPUTE_PGM_RSRC2:TGID_Z_EN: 0
; COMPUTE_PGM_RSRC2:TIDIG_COMP_CNT: 0
	.section	.text._ZN2at6native29vectorized_elementwise_kernelILi16EZZZNS0_16asin_kernel_cudaERNS_18TensorIteratorBaseEENKUlvE0_clEvENKUlvE2_clEvEUlN3c108BFloat16EE_St5arrayIPcLm2EEEEviT0_T1_,"axG",@progbits,_ZN2at6native29vectorized_elementwise_kernelILi16EZZZNS0_16asin_kernel_cudaERNS_18TensorIteratorBaseEENKUlvE0_clEvENKUlvE2_clEvEUlN3c108BFloat16EE_St5arrayIPcLm2EEEEviT0_T1_,comdat
	.globl	_ZN2at6native29vectorized_elementwise_kernelILi16EZZZNS0_16asin_kernel_cudaERNS_18TensorIteratorBaseEENKUlvE0_clEvENKUlvE2_clEvEUlN3c108BFloat16EE_St5arrayIPcLm2EEEEviT0_T1_ ; -- Begin function _ZN2at6native29vectorized_elementwise_kernelILi16EZZZNS0_16asin_kernel_cudaERNS_18TensorIteratorBaseEENKUlvE0_clEvENKUlvE2_clEvEUlN3c108BFloat16EE_St5arrayIPcLm2EEEEviT0_T1_
	.p2align	8
	.type	_ZN2at6native29vectorized_elementwise_kernelILi16EZZZNS0_16asin_kernel_cudaERNS_18TensorIteratorBaseEENKUlvE0_clEvENKUlvE2_clEvEUlN3c108BFloat16EE_St5arrayIPcLm2EEEEviT0_T1_,@function
_ZN2at6native29vectorized_elementwise_kernelILi16EZZZNS0_16asin_kernel_cudaERNS_18TensorIteratorBaseEENKUlvE0_clEvENKUlvE2_clEvEUlN3c108BFloat16EE_St5arrayIPcLm2EEEEviT0_T1_: ; @_ZN2at6native29vectorized_elementwise_kernelILi16EZZZNS0_16asin_kernel_cudaERNS_18TensorIteratorBaseEENKUlvE0_clEvENKUlvE2_clEvEUlN3c108BFloat16EE_St5arrayIPcLm2EEEEviT0_T1_
; %bb.0:
	s_load_dword s0, s[4:5], 0x0
	s_load_dwordx4 s[8:11], s[4:5], 0x8
	s_lshl_b32 s12, s6, 11
	s_waitcnt lgkmcnt(0)
	s_sub_i32 s16, s0, s12
	s_cmpk_gt_i32 s16, 0x7ff
	s_mov_b64 s[0:1], -1
	s_cbranch_scc0 .LBB57_2
; %bb.1:
	s_ashr_i32 s13, s12, 31
	s_lshl_b64 s[14:15], s[12:13], 1
	s_add_u32 s0, s10, s14
	s_addc_u32 s1, s11, s15
	v_lshlrev_b32_e32 v5, 4, v0
	global_load_dwordx4 v[1:4], v5, s[0:1]
	v_mov_b32_e32 v7, 0x3c5fc5da
	v_mov_b32_e32 v6, 0x3c5fc5da
	;; [unrolled: 1-line block ×5, first 2 shown]
	s_brev_b32 s13, -2
	s_movk_i32 s17, 0x7fff
	s_waitcnt vmcnt(0)
	v_and_b32_e32 v11, 0xffff0000, v1
	v_lshlrev_b32_e32 v1, 16, v1
	v_fma_f32 v14, |v11|, -0.5, 0.5
	v_mul_f32_e32 v16, v11, v11
	v_cmp_ge_f32_e64 vcc, |v11|, 0.5
	v_fma_f32 v13, |v1|, -0.5, 0.5
	v_mul_f32_e32 v15, v1, v1
	v_cndmask_b32_e32 v14, v16, v14, vcc
	v_cmp_ge_f32_e64 vcc, |v1|, 0.5
	v_and_b32_e32 v12, 0xffff0000, v2
	v_cndmask_b32_e32 v13, v15, v13, vcc
	v_fmac_f32_e32 v7, 0x3d1c21a7, v14
	v_lshlrev_b32_e32 v2, 16, v2
	v_fma_f32 v16, |v12|, -0.5, 0.5
	v_mul_f32_e32 v15, v12, v12
	v_cmp_ge_f32_e64 vcc, |v12|, 0.5
	v_fmac_f32_e32 v6, 0x3d1c21a7, v13
	v_fma_f32 v7, v14, v7, v8
	v_fma_f32 v17, |v2|, -0.5, 0.5
	v_cndmask_b32_e32 v15, v15, v16, vcc
	v_mul_f32_e32 v16, v2, v2
	v_cmp_ge_f32_e64 vcc, |v2|, 0.5
	v_fma_f32 v7, v14, v7, v9
	v_fma_f32 v6, v13, v6, v8
	v_cndmask_b32_e32 v16, v16, v17, vcc
	v_mov_b32_e32 v17, 0x3e2aaaac
	v_fma_f32 v7, v14, v7, v10
	v_fma_f32 v6, v13, v6, v9
	;; [unrolled: 1-line block ×4, first 2 shown]
	v_mul_f32_e32 v7, v14, v7
	v_sqrt_f32_e32 v14, v14
	v_fma_f32 v6, v13, v6, v17
	v_mul_f32_e32 v6, v13, v6
	v_sqrt_f32_e32 v13, v13
	v_fmac_f32_e32 v14, v14, v7
	v_add_f32_e32 v14, v14, v14
	v_fma_f32 v7, |v11|, v7, |v11|
	v_fmac_f32_e32 v13, v13, v6
	v_sub_f32_e32 v14, 0x3fc90fdb, v14
	v_cmp_lt_f32_e64 vcc, |v11|, 0.5
	v_add_f32_e32 v13, v13, v13
	v_cndmask_b32_e32 v7, v14, v7, vcc
	v_fma_f32 v6, |v1|, v6, |v1|
	v_sub_f32_e32 v13, 0x3fc90fdb, v13
	v_cmp_lt_f32_e64 vcc, |v1|, 0.5
	v_cndmask_b32_e32 v6, v13, v6, vcc
	v_mov_b32_e32 v13, 0x3c5fc5da
	v_fmac_f32_e32 v13, 0x3d1c21a7, v15
	v_mov_b32_e32 v14, 0x3c5fc5da
	v_fma_f32 v13, v15, v13, v8
	v_fmac_f32_e32 v14, 0x3d1c21a7, v16
	v_fma_f32 v13, v15, v13, v9
	v_fma_f32 v13, v15, v13, v10
	;; [unrolled: 1-line block ×5, first 2 shown]
	v_mul_f32_e32 v13, v15, v13
	v_sqrt_f32_e32 v15, v15
	v_fma_f32 v14, v16, v14, v10
	v_fma_f32 v14, v16, v14, v17
	v_mul_f32_e32 v14, v16, v14
	v_sqrt_f32_e32 v16, v16
	v_fmac_f32_e32 v15, v15, v13
	v_add_f32_e32 v15, v15, v15
	v_fma_f32 v13, |v12|, v13, |v12|
	v_sub_f32_e32 v15, 0x3fc90fdb, v15
	v_cmp_lt_f32_e64 vcc, |v12|, 0.5
	v_fmac_f32_e32 v16, v16, v14
	v_cndmask_b32_e32 v13, v15, v13, vcc
	v_mov_b32_e32 v15, 1
	v_add_f32_e32 v16, v16, v16
	v_bfi_b32 v1, s13, v6, v1
	v_fma_f32 v14, |v2|, v14, |v2|
	v_sub_f32_e32 v16, 0x3fc90fdb, v16
	v_cmp_lt_f32_e64 vcc, |v2|, 0.5
	v_bfi_b32 v6, s13, v7, v11
	v_and_b32_sdwa v11, v1, v15 dst_sel:DWORD dst_unused:UNUSED_PAD src0_sel:WORD_1 src1_sel:DWORD
	v_cndmask_b32_e32 v14, v16, v14, vcc
	v_and_b32_sdwa v7, v6, v15 dst_sel:DWORD dst_unused:UNUSED_PAD src0_sel:WORD_1 src1_sel:DWORD
	v_add3_u32 v11, v1, v11, s17
	v_cmp_o_f32_e32 vcc, v1, v1
	v_bfi_b32 v1, s13, v13, v12
	v_bfi_b32 v2, s13, v14, v2
	v_add3_u32 v7, v6, v7, s17
	v_cmp_o_f32_e64 s[0:1], v6, v6
	v_and_b32_sdwa v6, v1, v15 dst_sel:DWORD dst_unused:UNUSED_PAD src0_sel:WORD_1 src1_sel:DWORD
	v_and_b32_sdwa v12, v2, v15 dst_sel:DWORD dst_unused:UNUSED_PAD src0_sel:WORD_1 src1_sel:DWORD
	v_add3_u32 v6, v1, v6, s17
	v_cmp_o_f32_e64 s[4:5], v1, v1
	v_and_b32_e32 v1, 0xffff0000, v3
	v_add3_u32 v12, v2, v12, s17
	v_cmp_o_f32_e64 s[2:3], v2, v2
	v_lshlrev_b32_e32 v2, 16, v3
	v_fma_f32 v3, |v1|, -0.5, 0.5
	v_mul_f32_e32 v13, v1, v1
	v_cmp_ge_f32_e64 s[6:7], |v1|, 0.5
	v_cndmask_b32_e64 v3, v13, v3, s[6:7]
	v_fma_f32 v13, |v2|, -0.5, 0.5
	v_mul_f32_e32 v14, v2, v2
	v_cmp_ge_f32_e64 s[6:7], |v2|, 0.5
	v_cndmask_b32_e64 v13, v14, v13, s[6:7]
	v_mov_b32_e32 v14, 0x3c5fc5da
	v_fmac_f32_e32 v14, 0x3d1c21a7, v3
	v_fma_f32 v14, v3, v14, v8
	v_fma_f32 v14, v3, v14, v9
	;; [unrolled: 1-line block ×4, first 2 shown]
	v_mul_f32_e32 v14, v3, v14
	v_sqrt_f32_e32 v3, v3
	v_cmp_lt_f32_e64 s[6:7], |v1|, 0.5
	v_mov_b32_e32 v16, 0x7fc0
	v_lshrrev_b32_e32 v11, 16, v11
	v_fmac_f32_e32 v3, v3, v14
	v_add_f32_e32 v3, v3, v3
	v_sub_f32_e32 v3, 0x3fc90fdb, v3
	v_fma_f32 v14, |v1|, v14, |v1|
	v_cndmask_b32_e64 v3, v3, v14, s[6:7]
	v_mov_b32_e32 v14, 0x3c5fc5da
	v_fmac_f32_e32 v14, 0x3d1c21a7, v13
	v_fma_f32 v14, v13, v14, v8
	v_fma_f32 v14, v13, v14, v9
	;; [unrolled: 1-line block ×4, first 2 shown]
	v_mul_f32_e32 v14, v13, v14
	v_sqrt_f32_e32 v13, v13
	v_cmp_lt_f32_e64 s[6:7], |v2|, 0.5
	v_bfi_b32 v1, s13, v3, v1
	v_cndmask_b32_e32 v11, v16, v11, vcc
	v_fmac_f32_e32 v13, v13, v14
	v_add_f32_e32 v13, v13, v13
	v_sub_f32_e32 v13, 0x3fc90fdb, v13
	v_fma_f32 v14, |v2|, v14, |v2|
	v_cndmask_b32_e64 v13, v13, v14, s[6:7]
	v_bfi_b32 v2, s13, v13, v2
	v_and_b32_sdwa v3, v2, v15 dst_sel:DWORD dst_unused:UNUSED_PAD src0_sel:WORD_1 src1_sel:DWORD
	v_add3_u32 v3, v2, v3, s17
	v_cmp_o_f32_e32 vcc, v2, v2
	v_and_b32_sdwa v2, v1, v15 dst_sel:DWORD dst_unused:UNUSED_PAD src0_sel:WORD_1 src1_sel:DWORD
	v_lshrrev_b32_e32 v3, 16, v3
	v_add3_u32 v2, v1, v2, s17
	v_lshrrev_b32_e32 v2, 16, v2
	v_cndmask_b32_e32 v3, v16, v3, vcc
	v_cmp_o_f32_e32 vcc, v1, v1
	v_cndmask_b32_e32 v1, v16, v2, vcc
	v_and_b32_e32 v2, 0xffff0000, v4
	v_lshlrev_b32_e32 v4, 16, v4
	v_fma_f32 v18, |v2|, -0.5, 0.5
	v_mul_f32_e32 v19, v2, v2
	v_cmp_ge_f32_e64 vcc, |v2|, 0.5
	v_fma_f32 v14, |v4|, -0.5, 0.5
	v_cndmask_b32_e32 v18, v19, v18, vcc
	v_mul_f32_e32 v19, v4, v4
	v_cmp_ge_f32_e64 vcc, |v4|, 0.5
	v_mov_b32_e32 v13, 0x3c5fc5da
	v_cndmask_b32_e32 v14, v19, v14, vcc
	v_mov_b32_e32 v19, 0x3c5fc5da
	v_fmac_f32_e32 v19, 0x3d1c21a7, v14
	v_fmac_f32_e32 v13, 0x3d1c21a7, v18
	v_fma_f32 v13, v18, v13, v8
	v_fmac_f32_e32 v8, v14, v19
	v_fma_f32 v8, v14, v8, v9
	;; [unrolled: 2-line block ×4, first 2 shown]
	v_fmac_f32_e32 v17, v18, v9
	v_sqrt_f32_e32 v9, v18
	v_sqrt_f32_e32 v19, v14
	v_mul_f32_e32 v10, v18, v17
	v_mul_f32_e32 v8, v14, v8
	v_fmac_f32_e32 v9, v9, v10
	v_fmac_f32_e32 v19, v19, v8
	v_add_f32_e32 v9, v9, v9
	v_add_f32_e32 v13, v19, v19
	v_sub_f32_e32 v9, 0x3fc90fdb, v9
	v_fma_f32 v10, |v2|, v10, |v2|
	v_cmp_lt_f32_e64 vcc, |v2|, 0.5
	v_sub_f32_e32 v13, 0x3fc90fdb, v13
	v_fma_f32 v8, |v4|, v8, |v4|
	v_cndmask_b32_e32 v9, v9, v10, vcc
	v_cmp_lt_f32_e64 vcc, |v4|, 0.5
	v_cndmask_b32_e32 v8, v13, v8, vcc
	v_bfi_b32 v4, s13, v8, v4
	v_bfi_b32 v2, s13, v9, v2
	v_and_b32_sdwa v9, v4, v15 dst_sel:DWORD dst_unused:UNUSED_PAD src0_sel:WORD_1 src1_sel:DWORD
	v_and_b32_sdwa v8, v2, v15 dst_sel:DWORD dst_unused:UNUSED_PAD src0_sel:WORD_1 src1_sel:DWORD
	v_add3_u32 v9, v4, v9, s17
	v_cmp_o_f32_e32 vcc, v4, v4
	v_lshrrev_b32_e32 v7, 16, v7
	v_lshrrev_b32_e32 v12, 16, v12
	;; [unrolled: 1-line block ×3, first 2 shown]
	v_add3_u32 v8, v2, v8, s17
	v_cndmask_b32_sdwa v4, v16, v9, vcc dst_sel:DWORD dst_unused:UNUSED_PAD src0_sel:DWORD src1_sel:WORD_1
	v_cmp_o_f32_e32 vcc, v2, v2
	s_add_u32 s6, s8, s14
	v_cndmask_b32_e64 v7, v16, v7, s[0:1]
	v_cndmask_b32_e64 v12, v16, v12, s[2:3]
	;; [unrolled: 1-line block ×3, first 2 shown]
	v_cndmask_b32_sdwa v2, v16, v8, vcc dst_sel:DWORD dst_unused:UNUSED_PAD src0_sel:DWORD src1_sel:WORD_1
	s_mov_b32 s0, 0x5040100
	s_addc_u32 s7, s9, s15
	v_perm_b32 v4, v2, v4, s0
	v_perm_b32 v3, v1, v3, s0
	;; [unrolled: 1-line block ×4, first 2 shown]
	global_store_dwordx4 v5, v[1:4], s[6:7]
	s_mov_b64 s[0:1], 0
.LBB57_2:
	s_andn2_b64 vcc, exec, s[0:1]
	s_cbranch_vccnz .LBB57_41
; %bb.3:
	v_cmp_gt_i32_e64 s[0:1], s16, v0
	v_mov_b32_e32 v10, 0
	v_or_b32_e32 v1, s12, v0
	v_mov_b32_e32 v6, 0
	v_mov_b32_e32 v4, v0
	s_and_saveexec_b64 s[2:3], s[0:1]
	s_cbranch_execz .LBB57_5
; %bb.4:
	v_mov_b32_e32 v2, 0
	v_lshlrev_b64 v[2:3], 1, v[1:2]
	v_mov_b32_e32 v4, s11
	v_add_co_u32_e32 v2, vcc, s10, v2
	v_addc_co_u32_e32 v3, vcc, v4, v3, vcc
	global_load_ushort v2, v[2:3], off
	v_or_b32_e32 v4, 0x100, v0
	s_waitcnt vmcnt(0)
	v_lshlrev_b32_e32 v6, 16, v2
.LBB57_5:
	s_or_b64 exec, exec, s[2:3]
	v_cmp_gt_i32_e32 vcc, s16, v4
	s_and_saveexec_b64 s[2:3], vcc
	s_cbranch_execz .LBB57_7
; %bb.6:
	v_add_u32_e32 v2, s12, v4
	v_mov_b32_e32 v3, 0
	v_lshlrev_b64 v[2:3], 1, v[2:3]
	v_mov_b32_e32 v5, s11
	v_add_co_u32_e32 v2, vcc, s10, v2
	v_addc_co_u32_e32 v3, vcc, v5, v3, vcc
	global_load_ushort v2, v[2:3], off
	v_add_u32_e32 v4, 0x100, v4
	s_waitcnt vmcnt(0)
	v_lshlrev_b32_e32 v10, 16, v2
.LBB57_7:
	s_or_b64 exec, exec, s[2:3]
	v_cmp_gt_i32_e32 vcc, s16, v4
	v_mov_b32_e32 v8, 0
	v_mov_b32_e32 v11, 0
	s_and_saveexec_b64 s[2:3], vcc
	s_cbranch_execz .LBB57_9
; %bb.8:
	v_add_u32_e32 v2, s12, v4
	v_mov_b32_e32 v3, 0
	v_lshlrev_b64 v[2:3], 1, v[2:3]
	v_mov_b32_e32 v5, s11
	v_add_co_u32_e32 v2, vcc, s10, v2
	v_addc_co_u32_e32 v3, vcc, v5, v3, vcc
	global_load_ushort v2, v[2:3], off
	v_add_u32_e32 v4, 0x100, v4
	s_waitcnt vmcnt(0)
	v_lshlrev_b32_e32 v11, 16, v2
.LBB57_9:
	s_or_b64 exec, exec, s[2:3]
	v_cmp_gt_i32_e32 vcc, s16, v4
	s_and_saveexec_b64 s[2:3], vcc
	s_cbranch_execz .LBB57_11
; %bb.10:
	v_add_u32_e32 v2, s12, v4
	v_mov_b32_e32 v3, 0
	v_lshlrev_b64 v[2:3], 1, v[2:3]
	v_mov_b32_e32 v5, s11
	v_add_co_u32_e32 v2, vcc, s10, v2
	v_addc_co_u32_e32 v3, vcc, v5, v3, vcc
	global_load_ushort v2, v[2:3], off
	v_add_u32_e32 v4, 0x100, v4
	s_waitcnt vmcnt(0)
	v_lshlrev_b32_e32 v8, 16, v2
.LBB57_11:
	s_or_b64 exec, exec, s[2:3]
	v_cmp_gt_i32_e32 vcc, s16, v4
	v_mov_b32_e32 v3, 0
	v_mov_b32_e32 v9, 0
	s_and_saveexec_b64 s[2:3], vcc
	s_cbranch_execz .LBB57_13
; %bb.12:
	v_add_u32_e32 v12, s12, v4
	v_mov_b32_e32 v13, 0
	v_lshlrev_b64 v[12:13], 1, v[12:13]
	v_mov_b32_e32 v2, s11
	v_add_co_u32_e32 v12, vcc, s10, v12
	v_addc_co_u32_e32 v13, vcc, v2, v13, vcc
	global_load_ushort v2, v[12:13], off
	v_add_u32_e32 v4, 0x100, v4
	s_waitcnt vmcnt(0)
	v_lshlrev_b32_e32 v9, 16, v2
.LBB57_13:
	s_or_b64 exec, exec, s[2:3]
	v_cmp_gt_i32_e32 vcc, s16, v4
	s_and_saveexec_b64 s[2:3], vcc
	s_cbranch_execz .LBB57_15
; %bb.14:
	v_add_u32_e32 v2, s12, v4
	v_mov_b32_e32 v3, 0
	v_lshlrev_b64 v[2:3], 1, v[2:3]
	v_mov_b32_e32 v5, s11
	v_add_co_u32_e32 v2, vcc, s10, v2
	v_addc_co_u32_e32 v3, vcc, v5, v3, vcc
	global_load_ushort v2, v[2:3], off
	v_add_u32_e32 v4, 0x100, v4
	s_waitcnt vmcnt(0)
	v_lshlrev_b32_e32 v3, 16, v2
.LBB57_15:
	s_or_b64 exec, exec, s[2:3]
	v_cmp_gt_i32_e32 vcc, s16, v4
	v_mov_b32_e32 v2, 0
	v_mov_b32_e32 v5, 0
	s_and_saveexec_b64 s[2:3], vcc
	s_cbranch_execnz .LBB57_42
; %bb.16:
	s_or_b64 exec, exec, s[2:3]
	v_cmp_gt_i32_e32 vcc, s16, v4
	s_and_saveexec_b64 s[2:3], vcc
	s_cbranch_execnz .LBB57_43
.LBB57_17:
	s_or_b64 exec, exec, s[2:3]
                                        ; implicit-def: $vgpr4
	s_and_saveexec_b64 s[2:3], s[0:1]
	s_cbranch_execz .LBB57_19
.LBB57_18:
	v_fma_f32 v4, |v6|, -0.5, 0.5
	v_mul_f32_e32 v7, v6, v6
	v_cmp_ge_f32_e64 vcc, |v6|, 0.5
	v_cndmask_b32_e32 v4, v7, v4, vcc
	v_mov_b32_e32 v7, 0x3c5fc5da
	v_fmac_f32_e32 v7, 0x3d1c21a7, v4
	v_mov_b32_e32 v12, 0x3d034c3c
	v_fmac_f32_e32 v12, v4, v7
	v_mov_b32_e32 v7, 0x3d3641b1
	v_fmac_f32_e32 v7, v4, v12
	v_mov_b32_e32 v12, 0x3d999bc8
	v_fmac_f32_e32 v12, v4, v7
	v_sqrt_f32_e32 v7, v4
	v_mov_b32_e32 v13, 0x3e2aaaac
	v_fmac_f32_e32 v13, v4, v12
	v_mul_f32_e32 v4, v4, v13
	v_fmac_f32_e32 v7, v7, v4
	v_add_f32_e32 v7, v7, v7
	v_sub_f32_e32 v7, 0x3fc90fdb, v7
	v_fma_f32 v4, |v6|, v4, |v6|
	v_cmp_lt_f32_e64 vcc, |v6|, 0.5
	v_cndmask_b32_e32 v4, v7, v4, vcc
	s_brev_b32 s4, -2
	v_bfi_b32 v4, s4, v4, v6
	v_bfe_u32 v6, v4, 16, 1
	s_movk_i32 s4, 0x7fff
	v_add3_u32 v6, v4, v6, s4
	v_cmp_o_f32_e32 vcc, v4, v4
	v_mov_b32_e32 v4, 0x7fc0
	v_cndmask_b32_sdwa v4, v4, v6, vcc dst_sel:DWORD dst_unused:UNUSED_PAD src0_sel:DWORD src1_sel:WORD_1
.LBB57_19:
	s_or_b64 exec, exec, s[2:3]
	v_or_b32_e32 v6, 0x100, v0
	v_cmp_gt_i32_e32 vcc, s16, v6
                                        ; implicit-def: $vgpr7
	s_and_saveexec_b64 s[2:3], vcc
	s_cbranch_execz .LBB57_21
; %bb.20:
	v_fma_f32 v7, |v10|, -0.5, 0.5
	v_mul_f32_e32 v12, v10, v10
	v_cmp_ge_f32_e64 vcc, |v10|, 0.5
	v_cndmask_b32_e32 v7, v12, v7, vcc
	v_mov_b32_e32 v12, 0x3c5fc5da
	v_fmac_f32_e32 v12, 0x3d1c21a7, v7
	v_mov_b32_e32 v13, 0x3d034c3c
	v_fmac_f32_e32 v13, v7, v12
	;; [unrolled: 2-line block ×4, first 2 shown]
	v_sqrt_f32_e32 v12, v7
	v_mov_b32_e32 v14, 0x3e2aaaac
	v_fmac_f32_e32 v14, v7, v13
	v_mul_f32_e32 v7, v7, v14
	v_fmac_f32_e32 v12, v12, v7
	v_add_f32_e32 v12, v12, v12
	v_sub_f32_e32 v12, 0x3fc90fdb, v12
	v_fma_f32 v7, |v10|, v7, |v10|
	v_cmp_lt_f32_e64 vcc, |v10|, 0.5
	v_cndmask_b32_e32 v7, v12, v7, vcc
	s_brev_b32 s4, -2
	v_bfi_b32 v7, s4, v7, v10
	v_bfe_u32 v10, v7, 16, 1
	s_movk_i32 s4, 0x7fff
	v_add3_u32 v10, v7, v10, s4
	v_cmp_o_f32_e32 vcc, v7, v7
	v_mov_b32_e32 v7, 0x7fc0
	v_cndmask_b32_sdwa v7, v7, v10, vcc dst_sel:DWORD dst_unused:UNUSED_PAD src0_sel:DWORD src1_sel:WORD_1
.LBB57_21:
	s_or_b64 exec, exec, s[2:3]
	v_or_b32_e32 v10, 0x200, v0
	v_cmp_gt_i32_e32 vcc, s16, v10
                                        ; implicit-def: $vgpr10
	s_and_saveexec_b64 s[2:3], vcc
	s_cbranch_execz .LBB57_23
; %bb.22:
	v_fma_f32 v10, |v11|, -0.5, 0.5
	v_mul_f32_e32 v12, v11, v11
	v_cmp_ge_f32_e64 vcc, |v11|, 0.5
	v_cndmask_b32_e32 v10, v12, v10, vcc
	v_mov_b32_e32 v12, 0x3c5fc5da
	v_fmac_f32_e32 v12, 0x3d1c21a7, v10
	v_mov_b32_e32 v13, 0x3d034c3c
	v_fmac_f32_e32 v13, v10, v12
	;; [unrolled: 2-line block ×4, first 2 shown]
	v_sqrt_f32_e32 v12, v10
	v_mov_b32_e32 v14, 0x3e2aaaac
	v_fmac_f32_e32 v14, v10, v13
	v_mul_f32_e32 v10, v10, v14
	v_fmac_f32_e32 v12, v12, v10
	v_add_f32_e32 v12, v12, v12
	v_sub_f32_e32 v12, 0x3fc90fdb, v12
	v_fma_f32 v10, |v11|, v10, |v11|
	v_cmp_lt_f32_e64 vcc, |v11|, 0.5
	v_cndmask_b32_e32 v10, v12, v10, vcc
	s_brev_b32 s4, -2
	v_bfi_b32 v10, s4, v10, v11
	v_bfe_u32 v11, v10, 16, 1
	s_movk_i32 s4, 0x7fff
	v_add3_u32 v11, v10, v11, s4
	v_cmp_o_f32_e32 vcc, v10, v10
	v_mov_b32_e32 v10, 0x7fc0
	v_cndmask_b32_sdwa v10, v10, v11, vcc dst_sel:DWORD dst_unused:UNUSED_PAD src0_sel:DWORD src1_sel:WORD_1
.LBB57_23:
	s_or_b64 exec, exec, s[2:3]
	v_or_b32_e32 v11, 0x300, v0
	v_cmp_gt_i32_e32 vcc, s16, v11
                                        ; implicit-def: $vgpr11
	s_and_saveexec_b64 s[2:3], vcc
	s_cbranch_execz .LBB57_25
; %bb.24:
	v_fma_f32 v11, |v8|, -0.5, 0.5
	v_mul_f32_e32 v12, v8, v8
	v_cmp_ge_f32_e64 vcc, |v8|, 0.5
	v_cndmask_b32_e32 v11, v12, v11, vcc
	v_mov_b32_e32 v12, 0x3c5fc5da
	v_fmac_f32_e32 v12, 0x3d1c21a7, v11
	v_mov_b32_e32 v13, 0x3d034c3c
	v_fmac_f32_e32 v13, v11, v12
	;; [unrolled: 2-line block ×4, first 2 shown]
	v_sqrt_f32_e32 v12, v11
	v_mov_b32_e32 v14, 0x3e2aaaac
	v_fmac_f32_e32 v14, v11, v13
	v_mul_f32_e32 v11, v11, v14
	v_fmac_f32_e32 v12, v12, v11
	v_add_f32_e32 v12, v12, v12
	v_sub_f32_e32 v12, 0x3fc90fdb, v12
	v_fma_f32 v11, |v8|, v11, |v8|
	v_cmp_lt_f32_e64 vcc, |v8|, 0.5
	v_cndmask_b32_e32 v11, v12, v11, vcc
	s_brev_b32 s4, -2
	v_bfi_b32 v8, s4, v11, v8
	v_bfe_u32 v11, v8, 16, 1
	s_movk_i32 s4, 0x7fff
	v_add3_u32 v11, v8, v11, s4
	v_cmp_o_f32_e32 vcc, v8, v8
	v_mov_b32_e32 v8, 0x7fc0
	v_cndmask_b32_sdwa v11, v8, v11, vcc dst_sel:DWORD dst_unused:UNUSED_PAD src0_sel:DWORD src1_sel:WORD_1
.LBB57_25:
	s_or_b64 exec, exec, s[2:3]
	v_or_b32_e32 v8, 0x400, v0
	v_cmp_gt_i32_e32 vcc, s16, v8
                                        ; implicit-def: $vgpr8
	s_and_saveexec_b64 s[2:3], vcc
	s_cbranch_execz .LBB57_27
; %bb.26:
	v_fma_f32 v8, |v9|, -0.5, 0.5
	v_mul_f32_e32 v12, v9, v9
	v_cmp_ge_f32_e64 vcc, |v9|, 0.5
	v_cndmask_b32_e32 v8, v12, v8, vcc
	v_mov_b32_e32 v12, 0x3c5fc5da
	v_fmac_f32_e32 v12, 0x3d1c21a7, v8
	v_mov_b32_e32 v13, 0x3d034c3c
	v_fmac_f32_e32 v13, v8, v12
	v_mov_b32_e32 v12, 0x3d3641b1
	v_fmac_f32_e32 v12, v8, v13
	v_mov_b32_e32 v13, 0x3d999bc8
	v_fmac_f32_e32 v13, v8, v12
	v_sqrt_f32_e32 v12, v8
	v_mov_b32_e32 v14, 0x3e2aaaac
	v_fmac_f32_e32 v14, v8, v13
	v_mul_f32_e32 v8, v8, v14
	v_fmac_f32_e32 v12, v12, v8
	v_add_f32_e32 v12, v12, v12
	v_sub_f32_e32 v12, 0x3fc90fdb, v12
	v_fma_f32 v8, |v9|, v8, |v9|
	v_cmp_lt_f32_e64 vcc, |v9|, 0.5
	v_cndmask_b32_e32 v8, v12, v8, vcc
	s_brev_b32 s4, -2
	v_bfi_b32 v8, s4, v8, v9
	v_bfe_u32 v9, v8, 16, 1
	s_movk_i32 s4, 0x7fff
	v_add3_u32 v9, v8, v9, s4
	v_cmp_o_f32_e32 vcc, v8, v8
	v_mov_b32_e32 v8, 0x7fc0
	v_cndmask_b32_sdwa v8, v8, v9, vcc dst_sel:DWORD dst_unused:UNUSED_PAD src0_sel:DWORD src1_sel:WORD_1
.LBB57_27:
	s_or_b64 exec, exec, s[2:3]
	v_or_b32_e32 v9, 0x500, v0
	v_cmp_gt_i32_e32 vcc, s16, v9
                                        ; implicit-def: $vgpr9
	s_and_saveexec_b64 s[2:3], vcc
	s_cbranch_execz .LBB57_29
; %bb.28:
	v_fma_f32 v9, |v3|, -0.5, 0.5
	v_mul_f32_e32 v12, v3, v3
	v_cmp_ge_f32_e64 vcc, |v3|, 0.5
	v_cndmask_b32_e32 v9, v12, v9, vcc
	v_mov_b32_e32 v12, 0x3c5fc5da
	v_fmac_f32_e32 v12, 0x3d1c21a7, v9
	v_mov_b32_e32 v13, 0x3d034c3c
	v_fmac_f32_e32 v13, v9, v12
	;; [unrolled: 2-line block ×4, first 2 shown]
	v_sqrt_f32_e32 v12, v9
	v_mov_b32_e32 v14, 0x3e2aaaac
	v_fmac_f32_e32 v14, v9, v13
	v_mul_f32_e32 v9, v9, v14
	v_fmac_f32_e32 v12, v12, v9
	v_add_f32_e32 v12, v12, v12
	v_sub_f32_e32 v12, 0x3fc90fdb, v12
	v_fma_f32 v9, |v3|, v9, |v3|
	v_cmp_lt_f32_e64 vcc, |v3|, 0.5
	v_cndmask_b32_e32 v9, v12, v9, vcc
	s_brev_b32 s4, -2
	v_bfi_b32 v3, s4, v9, v3
	v_bfe_u32 v9, v3, 16, 1
	s_movk_i32 s4, 0x7fff
	v_add3_u32 v9, v3, v9, s4
	v_cmp_o_f32_e32 vcc, v3, v3
	v_mov_b32_e32 v3, 0x7fc0
	v_cndmask_b32_sdwa v9, v3, v9, vcc dst_sel:DWORD dst_unused:UNUSED_PAD src0_sel:DWORD src1_sel:WORD_1
.LBB57_29:
	s_or_b64 exec, exec, s[2:3]
	v_or_b32_e32 v3, 0x600, v0
	v_cmp_gt_i32_e32 vcc, s16, v3
                                        ; implicit-def: $vgpr3
	s_and_saveexec_b64 s[2:3], vcc
	s_cbranch_execz .LBB57_31
; %bb.30:
	v_fma_f32 v3, |v5|, -0.5, 0.5
	v_mul_f32_e32 v12, v5, v5
	v_cmp_ge_f32_e64 vcc, |v5|, 0.5
	v_cndmask_b32_e32 v3, v12, v3, vcc
	v_mov_b32_e32 v12, 0x3c5fc5da
	v_fmac_f32_e32 v12, 0x3d1c21a7, v3
	v_mov_b32_e32 v13, 0x3d034c3c
	v_fmac_f32_e32 v13, v3, v12
	v_mov_b32_e32 v12, 0x3d3641b1
	v_fmac_f32_e32 v12, v3, v13
	v_mov_b32_e32 v13, 0x3d999bc8
	v_fmac_f32_e32 v13, v3, v12
	v_sqrt_f32_e32 v12, v3
	v_mov_b32_e32 v14, 0x3e2aaaac
	v_fmac_f32_e32 v14, v3, v13
	v_mul_f32_e32 v3, v3, v14
	v_fmac_f32_e32 v12, v12, v3
	v_add_f32_e32 v12, v12, v12
	v_sub_f32_e32 v12, 0x3fc90fdb, v12
	v_fma_f32 v3, |v5|, v3, |v5|
	v_cmp_lt_f32_e64 vcc, |v5|, 0.5
	v_cndmask_b32_e32 v3, v12, v3, vcc
	s_brev_b32 s4, -2
	v_bfi_b32 v3, s4, v3, v5
	v_bfe_u32 v5, v3, 16, 1
	s_movk_i32 s4, 0x7fff
	v_add3_u32 v5, v3, v5, s4
	v_cmp_o_f32_e32 vcc, v3, v3
	v_mov_b32_e32 v3, 0x7fc0
	v_cndmask_b32_sdwa v3, v3, v5, vcc dst_sel:DWORD dst_unused:UNUSED_PAD src0_sel:DWORD src1_sel:WORD_1
.LBB57_31:
	s_or_b64 exec, exec, s[2:3]
	v_or_b32_e32 v5, 0x700, v0
	v_cmp_gt_i32_e32 vcc, s16, v5
                                        ; implicit-def: $vgpr5
	s_and_saveexec_b64 s[2:3], vcc
	s_cbranch_execnz .LBB57_44
; %bb.32:
	s_or_b64 exec, exec, s[2:3]
	s_and_saveexec_b64 s[2:3], s[0:1]
	s_xor_b64 s[0:1], exec, s[2:3]
	s_cbranch_execnz .LBB57_45
.LBB57_33:
	s_or_b64 exec, exec, s[0:1]
	v_cmp_gt_i32_e32 vcc, s16, v0
	s_and_saveexec_b64 s[0:1], vcc
	s_cbranch_execnz .LBB57_46
.LBB57_34:
	s_or_b64 exec, exec, s[0:1]
	v_cmp_gt_i32_e32 vcc, s16, v0
	s_and_saveexec_b64 s[0:1], vcc
	s_cbranch_execnz .LBB57_47
.LBB57_35:
	s_or_b64 exec, exec, s[0:1]
	v_cmp_gt_i32_e32 vcc, s16, v0
	s_and_saveexec_b64 s[0:1], vcc
	s_cbranch_execnz .LBB57_48
.LBB57_36:
	s_or_b64 exec, exec, s[0:1]
	v_cmp_gt_i32_e32 vcc, s16, v0
	s_and_saveexec_b64 s[0:1], vcc
	s_cbranch_execnz .LBB57_49
.LBB57_37:
	s_or_b64 exec, exec, s[0:1]
	v_cmp_gt_i32_e32 vcc, s16, v0
	s_and_saveexec_b64 s[0:1], vcc
	s_cbranch_execnz .LBB57_50
.LBB57_38:
	s_or_b64 exec, exec, s[0:1]
	v_cmp_gt_i32_e32 vcc, s16, v0
	s_and_saveexec_b64 s[0:1], vcc
	s_cbranch_execnz .LBB57_51
.LBB57_39:
	s_or_b64 exec, exec, s[0:1]
	v_cmp_gt_i32_e32 vcc, s16, v0
	s_and_saveexec_b64 s[0:1], vcc
	s_cbranch_execz .LBB57_41
.LBB57_40:
	v_add_u32_e32 v0, s12, v0
	v_mov_b32_e32 v1, 0
	v_lshlrev_b64 v[0:1], 1, v[0:1]
	v_mov_b32_e32 v2, s9
	v_add_co_u32_e32 v0, vcc, s8, v0
	v_addc_co_u32_e32 v1, vcc, v2, v1, vcc
	global_store_short v[0:1], v5, off
.LBB57_41:
	s_endpgm
.LBB57_42:
	v_add_u32_e32 v12, s12, v4
	v_mov_b32_e32 v13, 0
	v_lshlrev_b64 v[12:13], 1, v[12:13]
	v_mov_b32_e32 v5, s11
	v_add_co_u32_e32 v12, vcc, s10, v12
	v_addc_co_u32_e32 v13, vcc, v5, v13, vcc
	global_load_ushort v5, v[12:13], off
	v_add_u32_e32 v4, 0x100, v4
	s_waitcnt vmcnt(0)
	v_lshlrev_b32_e32 v5, 16, v5
	s_or_b64 exec, exec, s[2:3]
	v_cmp_gt_i32_e32 vcc, s16, v4
	s_and_saveexec_b64 s[2:3], vcc
	s_cbranch_execz .LBB57_17
.LBB57_43:
	v_add_u32_e32 v12, s12, v4
	v_mov_b32_e32 v13, 0
	v_lshlrev_b64 v[12:13], 1, v[12:13]
	v_mov_b32_e32 v2, s11
	v_add_co_u32_e32 v12, vcc, s10, v12
	v_addc_co_u32_e32 v13, vcc, v2, v13, vcc
	global_load_ushort v2, v[12:13], off
	s_waitcnt vmcnt(0)
	v_lshlrev_b32_e32 v2, 16, v2
	s_or_b64 exec, exec, s[2:3]
                                        ; implicit-def: $vgpr4
	s_and_saveexec_b64 s[2:3], s[0:1]
	s_cbranch_execnz .LBB57_18
	s_branch .LBB57_19
.LBB57_44:
	v_fma_f32 v5, |v2|, -0.5, 0.5
	v_mul_f32_e32 v12, v2, v2
	v_cmp_ge_f32_e64 vcc, |v2|, 0.5
	v_cndmask_b32_e32 v5, v12, v5, vcc
	v_mov_b32_e32 v12, 0x3c5fc5da
	v_fmac_f32_e32 v12, 0x3d1c21a7, v5
	v_mov_b32_e32 v13, 0x3d034c3c
	v_fmac_f32_e32 v13, v5, v12
	;; [unrolled: 2-line block ×4, first 2 shown]
	v_sqrt_f32_e32 v12, v5
	v_mov_b32_e32 v14, 0x3e2aaaac
	v_fmac_f32_e32 v14, v5, v13
	v_mul_f32_e32 v5, v5, v14
	v_fmac_f32_e32 v12, v12, v5
	v_add_f32_e32 v12, v12, v12
	v_sub_f32_e32 v12, 0x3fc90fdb, v12
	v_fma_f32 v5, |v2|, v5, |v2|
	v_cmp_lt_f32_e64 vcc, |v2|, 0.5
	v_cndmask_b32_e32 v5, v12, v5, vcc
	s_brev_b32 s4, -2
	v_bfi_b32 v2, s4, v5, v2
	v_bfe_u32 v5, v2, 16, 1
	s_movk_i32 s4, 0x7fff
	v_add3_u32 v5, v2, v5, s4
	v_cmp_o_f32_e32 vcc, v2, v2
	v_mov_b32_e32 v2, 0x7fc0
	v_cndmask_b32_sdwa v5, v2, v5, vcc dst_sel:DWORD dst_unused:UNUSED_PAD src0_sel:DWORD src1_sel:WORD_1
	s_or_b64 exec, exec, s[2:3]
	s_and_saveexec_b64 s[2:3], s[0:1]
	s_xor_b64 s[0:1], exec, s[2:3]
	s_cbranch_execz .LBB57_33
.LBB57_45:
	v_mov_b32_e32 v2, 0
	v_lshlrev_b64 v[0:1], 1, v[1:2]
	v_mov_b32_e32 v2, s9
	v_add_co_u32_e32 v0, vcc, s8, v0
	v_addc_co_u32_e32 v1, vcc, v2, v1, vcc
	global_store_short v[0:1], v4, off
	v_mov_b32_e32 v0, v6
	s_or_b64 exec, exec, s[0:1]
	v_cmp_gt_i32_e32 vcc, s16, v0
	s_and_saveexec_b64 s[0:1], vcc
	s_cbranch_execz .LBB57_34
.LBB57_46:
	v_add_u32_e32 v1, s12, v0
	v_mov_b32_e32 v2, 0
	v_lshlrev_b64 v[1:2], 1, v[1:2]
	v_mov_b32_e32 v4, s9
	v_add_co_u32_e32 v1, vcc, s8, v1
	v_addc_co_u32_e32 v2, vcc, v4, v2, vcc
	v_add_u32_e32 v0, 0x100, v0
	global_store_short v[1:2], v7, off
	s_or_b64 exec, exec, s[0:1]
	v_cmp_gt_i32_e32 vcc, s16, v0
	s_and_saveexec_b64 s[0:1], vcc
	s_cbranch_execz .LBB57_35
.LBB57_47:
	v_add_u32_e32 v1, s12, v0
	v_mov_b32_e32 v2, 0
	v_lshlrev_b64 v[1:2], 1, v[1:2]
	v_mov_b32_e32 v4, s9
	v_add_co_u32_e32 v1, vcc, s8, v1
	v_addc_co_u32_e32 v2, vcc, v4, v2, vcc
	v_add_u32_e32 v0, 0x100, v0
	global_store_short v[1:2], v10, off
	s_or_b64 exec, exec, s[0:1]
	v_cmp_gt_i32_e32 vcc, s16, v0
	s_and_saveexec_b64 s[0:1], vcc
	s_cbranch_execz .LBB57_36
.LBB57_48:
	v_add_u32_e32 v1, s12, v0
	v_mov_b32_e32 v2, 0
	v_lshlrev_b64 v[1:2], 1, v[1:2]
	v_mov_b32_e32 v4, s9
	v_add_co_u32_e32 v1, vcc, s8, v1
	v_addc_co_u32_e32 v2, vcc, v4, v2, vcc
	v_add_u32_e32 v0, 0x100, v0
	global_store_short v[1:2], v11, off
	s_or_b64 exec, exec, s[0:1]
	v_cmp_gt_i32_e32 vcc, s16, v0
	s_and_saveexec_b64 s[0:1], vcc
	s_cbranch_execz .LBB57_37
.LBB57_49:
	v_add_u32_e32 v1, s12, v0
	v_mov_b32_e32 v2, 0
	v_lshlrev_b64 v[1:2], 1, v[1:2]
	v_mov_b32_e32 v4, s9
	v_add_co_u32_e32 v1, vcc, s8, v1
	v_addc_co_u32_e32 v2, vcc, v4, v2, vcc
	v_add_u32_e32 v0, 0x100, v0
	global_store_short v[1:2], v8, off
	s_or_b64 exec, exec, s[0:1]
	v_cmp_gt_i32_e32 vcc, s16, v0
	s_and_saveexec_b64 s[0:1], vcc
	s_cbranch_execz .LBB57_38
.LBB57_50:
	v_add_u32_e32 v1, s12, v0
	v_mov_b32_e32 v2, 0
	v_lshlrev_b64 v[1:2], 1, v[1:2]
	v_mov_b32_e32 v4, s9
	v_add_co_u32_e32 v1, vcc, s8, v1
	v_addc_co_u32_e32 v2, vcc, v4, v2, vcc
	v_add_u32_e32 v0, 0x100, v0
	global_store_short v[1:2], v9, off
	s_or_b64 exec, exec, s[0:1]
	v_cmp_gt_i32_e32 vcc, s16, v0
	s_and_saveexec_b64 s[0:1], vcc
	s_cbranch_execz .LBB57_39
.LBB57_51:
	v_add_u32_e32 v1, s12, v0
	v_mov_b32_e32 v2, 0
	v_lshlrev_b64 v[1:2], 1, v[1:2]
	v_mov_b32_e32 v4, s9
	v_add_co_u32_e32 v1, vcc, s8, v1
	v_addc_co_u32_e32 v2, vcc, v4, v2, vcc
	v_add_u32_e32 v0, 0x100, v0
	global_store_short v[1:2], v3, off
	s_or_b64 exec, exec, s[0:1]
	v_cmp_gt_i32_e32 vcc, s16, v0
	s_and_saveexec_b64 s[0:1], vcc
	s_cbranch_execnz .LBB57_40
	s_branch .LBB57_41
	.section	.rodata,"a",@progbits
	.p2align	6, 0x0
	.amdhsa_kernel _ZN2at6native29vectorized_elementwise_kernelILi16EZZZNS0_16asin_kernel_cudaERNS_18TensorIteratorBaseEENKUlvE0_clEvENKUlvE2_clEvEUlN3c108BFloat16EE_St5arrayIPcLm2EEEEviT0_T1_
		.amdhsa_group_segment_fixed_size 0
		.amdhsa_private_segment_fixed_size 0
		.amdhsa_kernarg_size 24
		.amdhsa_user_sgpr_count 6
		.amdhsa_user_sgpr_private_segment_buffer 1
		.amdhsa_user_sgpr_dispatch_ptr 0
		.amdhsa_user_sgpr_queue_ptr 0
		.amdhsa_user_sgpr_kernarg_segment_ptr 1
		.amdhsa_user_sgpr_dispatch_id 0
		.amdhsa_user_sgpr_flat_scratch_init 0
		.amdhsa_user_sgpr_private_segment_size 0
		.amdhsa_uses_dynamic_stack 0
		.amdhsa_system_sgpr_private_segment_wavefront_offset 0
		.amdhsa_system_sgpr_workgroup_id_x 1
		.amdhsa_system_sgpr_workgroup_id_y 0
		.amdhsa_system_sgpr_workgroup_id_z 0
		.amdhsa_system_sgpr_workgroup_info 0
		.amdhsa_system_vgpr_workitem_id 0
		.amdhsa_next_free_vgpr 20
		.amdhsa_next_free_sgpr 18
		.amdhsa_reserve_vcc 1
		.amdhsa_reserve_flat_scratch 0
		.amdhsa_float_round_mode_32 0
		.amdhsa_float_round_mode_16_64 0
		.amdhsa_float_denorm_mode_32 3
		.amdhsa_float_denorm_mode_16_64 3
		.amdhsa_dx10_clamp 1
		.amdhsa_ieee_mode 1
		.amdhsa_fp16_overflow 0
		.amdhsa_exception_fp_ieee_invalid_op 0
		.amdhsa_exception_fp_denorm_src 0
		.amdhsa_exception_fp_ieee_div_zero 0
		.amdhsa_exception_fp_ieee_overflow 0
		.amdhsa_exception_fp_ieee_underflow 0
		.amdhsa_exception_fp_ieee_inexact 0
		.amdhsa_exception_int_div_zero 0
	.end_amdhsa_kernel
	.section	.text._ZN2at6native29vectorized_elementwise_kernelILi16EZZZNS0_16asin_kernel_cudaERNS_18TensorIteratorBaseEENKUlvE0_clEvENKUlvE2_clEvEUlN3c108BFloat16EE_St5arrayIPcLm2EEEEviT0_T1_,"axG",@progbits,_ZN2at6native29vectorized_elementwise_kernelILi16EZZZNS0_16asin_kernel_cudaERNS_18TensorIteratorBaseEENKUlvE0_clEvENKUlvE2_clEvEUlN3c108BFloat16EE_St5arrayIPcLm2EEEEviT0_T1_,comdat
.Lfunc_end57:
	.size	_ZN2at6native29vectorized_elementwise_kernelILi16EZZZNS0_16asin_kernel_cudaERNS_18TensorIteratorBaseEENKUlvE0_clEvENKUlvE2_clEvEUlN3c108BFloat16EE_St5arrayIPcLm2EEEEviT0_T1_, .Lfunc_end57-_ZN2at6native29vectorized_elementwise_kernelILi16EZZZNS0_16asin_kernel_cudaERNS_18TensorIteratorBaseEENKUlvE0_clEvENKUlvE2_clEvEUlN3c108BFloat16EE_St5arrayIPcLm2EEEEviT0_T1_
                                        ; -- End function
	.set _ZN2at6native29vectorized_elementwise_kernelILi16EZZZNS0_16asin_kernel_cudaERNS_18TensorIteratorBaseEENKUlvE0_clEvENKUlvE2_clEvEUlN3c108BFloat16EE_St5arrayIPcLm2EEEEviT0_T1_.num_vgpr, 20
	.set _ZN2at6native29vectorized_elementwise_kernelILi16EZZZNS0_16asin_kernel_cudaERNS_18TensorIteratorBaseEENKUlvE0_clEvENKUlvE2_clEvEUlN3c108BFloat16EE_St5arrayIPcLm2EEEEviT0_T1_.num_agpr, 0
	.set _ZN2at6native29vectorized_elementwise_kernelILi16EZZZNS0_16asin_kernel_cudaERNS_18TensorIteratorBaseEENKUlvE0_clEvENKUlvE2_clEvEUlN3c108BFloat16EE_St5arrayIPcLm2EEEEviT0_T1_.numbered_sgpr, 18
	.set _ZN2at6native29vectorized_elementwise_kernelILi16EZZZNS0_16asin_kernel_cudaERNS_18TensorIteratorBaseEENKUlvE0_clEvENKUlvE2_clEvEUlN3c108BFloat16EE_St5arrayIPcLm2EEEEviT0_T1_.num_named_barrier, 0
	.set _ZN2at6native29vectorized_elementwise_kernelILi16EZZZNS0_16asin_kernel_cudaERNS_18TensorIteratorBaseEENKUlvE0_clEvENKUlvE2_clEvEUlN3c108BFloat16EE_St5arrayIPcLm2EEEEviT0_T1_.private_seg_size, 0
	.set _ZN2at6native29vectorized_elementwise_kernelILi16EZZZNS0_16asin_kernel_cudaERNS_18TensorIteratorBaseEENKUlvE0_clEvENKUlvE2_clEvEUlN3c108BFloat16EE_St5arrayIPcLm2EEEEviT0_T1_.uses_vcc, 1
	.set _ZN2at6native29vectorized_elementwise_kernelILi16EZZZNS0_16asin_kernel_cudaERNS_18TensorIteratorBaseEENKUlvE0_clEvENKUlvE2_clEvEUlN3c108BFloat16EE_St5arrayIPcLm2EEEEviT0_T1_.uses_flat_scratch, 0
	.set _ZN2at6native29vectorized_elementwise_kernelILi16EZZZNS0_16asin_kernel_cudaERNS_18TensorIteratorBaseEENKUlvE0_clEvENKUlvE2_clEvEUlN3c108BFloat16EE_St5arrayIPcLm2EEEEviT0_T1_.has_dyn_sized_stack, 0
	.set _ZN2at6native29vectorized_elementwise_kernelILi16EZZZNS0_16asin_kernel_cudaERNS_18TensorIteratorBaseEENKUlvE0_clEvENKUlvE2_clEvEUlN3c108BFloat16EE_St5arrayIPcLm2EEEEviT0_T1_.has_recursion, 0
	.set _ZN2at6native29vectorized_elementwise_kernelILi16EZZZNS0_16asin_kernel_cudaERNS_18TensorIteratorBaseEENKUlvE0_clEvENKUlvE2_clEvEUlN3c108BFloat16EE_St5arrayIPcLm2EEEEviT0_T1_.has_indirect_call, 0
	.section	.AMDGPU.csdata,"",@progbits
; Kernel info:
; codeLenInByte = 4336
; TotalNumSgprs: 22
; NumVgprs: 20
; ScratchSize: 0
; MemoryBound: 0
; FloatMode: 240
; IeeeMode: 1
; LDSByteSize: 0 bytes/workgroup (compile time only)
; SGPRBlocks: 2
; VGPRBlocks: 4
; NumSGPRsForWavesPerEU: 22
; NumVGPRsForWavesPerEU: 20
; Occupancy: 10
; WaveLimiterHint : 0
; COMPUTE_PGM_RSRC2:SCRATCH_EN: 0
; COMPUTE_PGM_RSRC2:USER_SGPR: 6
; COMPUTE_PGM_RSRC2:TRAP_HANDLER: 0
; COMPUTE_PGM_RSRC2:TGID_X_EN: 1
; COMPUTE_PGM_RSRC2:TGID_Y_EN: 0
; COMPUTE_PGM_RSRC2:TGID_Z_EN: 0
; COMPUTE_PGM_RSRC2:TIDIG_COMP_CNT: 0
	.section	.text._ZN2at6native29vectorized_elementwise_kernelILi8EZZZNS0_16asin_kernel_cudaERNS_18TensorIteratorBaseEENKUlvE0_clEvENKUlvE2_clEvEUlN3c108BFloat16EE_St5arrayIPcLm2EEEEviT0_T1_,"axG",@progbits,_ZN2at6native29vectorized_elementwise_kernelILi8EZZZNS0_16asin_kernel_cudaERNS_18TensorIteratorBaseEENKUlvE0_clEvENKUlvE2_clEvEUlN3c108BFloat16EE_St5arrayIPcLm2EEEEviT0_T1_,comdat
	.globl	_ZN2at6native29vectorized_elementwise_kernelILi8EZZZNS0_16asin_kernel_cudaERNS_18TensorIteratorBaseEENKUlvE0_clEvENKUlvE2_clEvEUlN3c108BFloat16EE_St5arrayIPcLm2EEEEviT0_T1_ ; -- Begin function _ZN2at6native29vectorized_elementwise_kernelILi8EZZZNS0_16asin_kernel_cudaERNS_18TensorIteratorBaseEENKUlvE0_clEvENKUlvE2_clEvEUlN3c108BFloat16EE_St5arrayIPcLm2EEEEviT0_T1_
	.p2align	8
	.type	_ZN2at6native29vectorized_elementwise_kernelILi8EZZZNS0_16asin_kernel_cudaERNS_18TensorIteratorBaseEENKUlvE0_clEvENKUlvE2_clEvEUlN3c108BFloat16EE_St5arrayIPcLm2EEEEviT0_T1_,@function
_ZN2at6native29vectorized_elementwise_kernelILi8EZZZNS0_16asin_kernel_cudaERNS_18TensorIteratorBaseEENKUlvE0_clEvENKUlvE2_clEvEUlN3c108BFloat16EE_St5arrayIPcLm2EEEEviT0_T1_: ; @_ZN2at6native29vectorized_elementwise_kernelILi8EZZZNS0_16asin_kernel_cudaERNS_18TensorIteratorBaseEENKUlvE0_clEvENKUlvE2_clEvEUlN3c108BFloat16EE_St5arrayIPcLm2EEEEviT0_T1_
; %bb.0:
	s_load_dword s0, s[4:5], 0x0
	s_load_dwordx4 s[8:11], s[4:5], 0x8
	s_lshl_b32 s12, s6, 11
	s_waitcnt lgkmcnt(0)
	s_sub_i32 s16, s0, s12
	s_cmpk_gt_i32 s16, 0x7ff
	s_mov_b64 s[0:1], -1
	s_cbranch_scc0 .LBB58_2
; %bb.1:
	s_ashr_i32 s13, s12, 31
	s_lshl_b64 s[14:15], s[12:13], 1
	s_add_u32 s0, s10, s14
	s_addc_u32 s1, s11, s15
	v_lshlrev_b32_e32 v5, 4, v0
	global_load_dwordx4 v[1:4], v5, s[0:1]
	v_mov_b32_e32 v7, 0x3c5fc5da
	v_mov_b32_e32 v6, 0x3c5fc5da
	;; [unrolled: 1-line block ×5, first 2 shown]
	s_brev_b32 s13, -2
	s_movk_i32 s17, 0x7fff
	s_waitcnt vmcnt(0)
	v_and_b32_e32 v11, 0xffff0000, v1
	v_lshlrev_b32_e32 v1, 16, v1
	v_fma_f32 v14, |v11|, -0.5, 0.5
	v_mul_f32_e32 v16, v11, v11
	v_cmp_ge_f32_e64 vcc, |v11|, 0.5
	v_fma_f32 v13, |v1|, -0.5, 0.5
	v_mul_f32_e32 v15, v1, v1
	v_cndmask_b32_e32 v14, v16, v14, vcc
	v_cmp_ge_f32_e64 vcc, |v1|, 0.5
	v_and_b32_e32 v12, 0xffff0000, v2
	v_cndmask_b32_e32 v13, v15, v13, vcc
	v_fmac_f32_e32 v7, 0x3d1c21a7, v14
	v_lshlrev_b32_e32 v2, 16, v2
	v_fma_f32 v16, |v12|, -0.5, 0.5
	v_mul_f32_e32 v15, v12, v12
	v_cmp_ge_f32_e64 vcc, |v12|, 0.5
	v_fmac_f32_e32 v6, 0x3d1c21a7, v13
	v_fma_f32 v7, v14, v7, v8
	v_fma_f32 v17, |v2|, -0.5, 0.5
	v_cndmask_b32_e32 v15, v15, v16, vcc
	v_mul_f32_e32 v16, v2, v2
	v_cmp_ge_f32_e64 vcc, |v2|, 0.5
	v_fma_f32 v7, v14, v7, v9
	v_fma_f32 v6, v13, v6, v8
	v_cndmask_b32_e32 v16, v16, v17, vcc
	v_mov_b32_e32 v17, 0x3e2aaaac
	v_fma_f32 v7, v14, v7, v10
	v_fma_f32 v6, v13, v6, v9
	;; [unrolled: 1-line block ×4, first 2 shown]
	v_mul_f32_e32 v7, v14, v7
	v_sqrt_f32_e32 v14, v14
	v_fma_f32 v6, v13, v6, v17
	v_mul_f32_e32 v6, v13, v6
	v_sqrt_f32_e32 v13, v13
	v_fmac_f32_e32 v14, v14, v7
	v_add_f32_e32 v14, v14, v14
	v_fma_f32 v7, |v11|, v7, |v11|
	v_fmac_f32_e32 v13, v13, v6
	v_sub_f32_e32 v14, 0x3fc90fdb, v14
	v_cmp_lt_f32_e64 vcc, |v11|, 0.5
	v_add_f32_e32 v13, v13, v13
	v_cndmask_b32_e32 v7, v14, v7, vcc
	v_fma_f32 v6, |v1|, v6, |v1|
	v_sub_f32_e32 v13, 0x3fc90fdb, v13
	v_cmp_lt_f32_e64 vcc, |v1|, 0.5
	v_cndmask_b32_e32 v6, v13, v6, vcc
	v_mov_b32_e32 v13, 0x3c5fc5da
	v_fmac_f32_e32 v13, 0x3d1c21a7, v15
	v_mov_b32_e32 v14, 0x3c5fc5da
	v_fma_f32 v13, v15, v13, v8
	v_fmac_f32_e32 v14, 0x3d1c21a7, v16
	v_fma_f32 v13, v15, v13, v9
	v_fma_f32 v13, v15, v13, v10
	;; [unrolled: 1-line block ×5, first 2 shown]
	v_mul_f32_e32 v13, v15, v13
	v_sqrt_f32_e32 v15, v15
	v_fma_f32 v14, v16, v14, v10
	v_fma_f32 v14, v16, v14, v17
	v_mul_f32_e32 v14, v16, v14
	v_sqrt_f32_e32 v16, v16
	v_fmac_f32_e32 v15, v15, v13
	v_add_f32_e32 v15, v15, v15
	v_fma_f32 v13, |v12|, v13, |v12|
	v_sub_f32_e32 v15, 0x3fc90fdb, v15
	v_cmp_lt_f32_e64 vcc, |v12|, 0.5
	v_fmac_f32_e32 v16, v16, v14
	v_cndmask_b32_e32 v13, v15, v13, vcc
	v_mov_b32_e32 v15, 1
	v_add_f32_e32 v16, v16, v16
	v_bfi_b32 v1, s13, v6, v1
	v_fma_f32 v14, |v2|, v14, |v2|
	v_sub_f32_e32 v16, 0x3fc90fdb, v16
	v_cmp_lt_f32_e64 vcc, |v2|, 0.5
	v_bfi_b32 v6, s13, v7, v11
	v_and_b32_sdwa v11, v1, v15 dst_sel:DWORD dst_unused:UNUSED_PAD src0_sel:WORD_1 src1_sel:DWORD
	v_cndmask_b32_e32 v14, v16, v14, vcc
	v_and_b32_sdwa v7, v6, v15 dst_sel:DWORD dst_unused:UNUSED_PAD src0_sel:WORD_1 src1_sel:DWORD
	v_add3_u32 v11, v1, v11, s17
	v_cmp_o_f32_e32 vcc, v1, v1
	v_bfi_b32 v1, s13, v13, v12
	v_bfi_b32 v2, s13, v14, v2
	v_add3_u32 v7, v6, v7, s17
	v_cmp_o_f32_e64 s[0:1], v6, v6
	v_and_b32_sdwa v6, v1, v15 dst_sel:DWORD dst_unused:UNUSED_PAD src0_sel:WORD_1 src1_sel:DWORD
	v_and_b32_sdwa v12, v2, v15 dst_sel:DWORD dst_unused:UNUSED_PAD src0_sel:WORD_1 src1_sel:DWORD
	v_add3_u32 v6, v1, v6, s17
	v_cmp_o_f32_e64 s[4:5], v1, v1
	v_and_b32_e32 v1, 0xffff0000, v3
	v_add3_u32 v12, v2, v12, s17
	v_cmp_o_f32_e64 s[2:3], v2, v2
	v_lshlrev_b32_e32 v2, 16, v3
	v_fma_f32 v3, |v1|, -0.5, 0.5
	v_mul_f32_e32 v13, v1, v1
	v_cmp_ge_f32_e64 s[6:7], |v1|, 0.5
	v_cndmask_b32_e64 v3, v13, v3, s[6:7]
	v_fma_f32 v13, |v2|, -0.5, 0.5
	v_mul_f32_e32 v14, v2, v2
	v_cmp_ge_f32_e64 s[6:7], |v2|, 0.5
	v_cndmask_b32_e64 v13, v14, v13, s[6:7]
	v_mov_b32_e32 v14, 0x3c5fc5da
	v_fmac_f32_e32 v14, 0x3d1c21a7, v3
	v_fma_f32 v14, v3, v14, v8
	v_fma_f32 v14, v3, v14, v9
	;; [unrolled: 1-line block ×4, first 2 shown]
	v_mul_f32_e32 v14, v3, v14
	v_sqrt_f32_e32 v3, v3
	v_cmp_lt_f32_e64 s[6:7], |v1|, 0.5
	v_mov_b32_e32 v16, 0x7fc0
	v_lshrrev_b32_e32 v11, 16, v11
	v_fmac_f32_e32 v3, v3, v14
	v_add_f32_e32 v3, v3, v3
	v_sub_f32_e32 v3, 0x3fc90fdb, v3
	v_fma_f32 v14, |v1|, v14, |v1|
	v_cndmask_b32_e64 v3, v3, v14, s[6:7]
	v_mov_b32_e32 v14, 0x3c5fc5da
	v_fmac_f32_e32 v14, 0x3d1c21a7, v13
	v_fma_f32 v14, v13, v14, v8
	v_fma_f32 v14, v13, v14, v9
	;; [unrolled: 1-line block ×4, first 2 shown]
	v_mul_f32_e32 v14, v13, v14
	v_sqrt_f32_e32 v13, v13
	v_cmp_lt_f32_e64 s[6:7], |v2|, 0.5
	v_bfi_b32 v1, s13, v3, v1
	v_cndmask_b32_e32 v11, v16, v11, vcc
	v_fmac_f32_e32 v13, v13, v14
	v_add_f32_e32 v13, v13, v13
	v_sub_f32_e32 v13, 0x3fc90fdb, v13
	v_fma_f32 v14, |v2|, v14, |v2|
	v_cndmask_b32_e64 v13, v13, v14, s[6:7]
	v_bfi_b32 v2, s13, v13, v2
	v_and_b32_sdwa v3, v2, v15 dst_sel:DWORD dst_unused:UNUSED_PAD src0_sel:WORD_1 src1_sel:DWORD
	v_add3_u32 v3, v2, v3, s17
	v_cmp_o_f32_e32 vcc, v2, v2
	v_and_b32_sdwa v2, v1, v15 dst_sel:DWORD dst_unused:UNUSED_PAD src0_sel:WORD_1 src1_sel:DWORD
	v_lshrrev_b32_e32 v3, 16, v3
	v_add3_u32 v2, v1, v2, s17
	v_lshrrev_b32_e32 v2, 16, v2
	v_cndmask_b32_e32 v3, v16, v3, vcc
	v_cmp_o_f32_e32 vcc, v1, v1
	v_cndmask_b32_e32 v1, v16, v2, vcc
	v_and_b32_e32 v2, 0xffff0000, v4
	v_lshlrev_b32_e32 v4, 16, v4
	v_fma_f32 v18, |v2|, -0.5, 0.5
	v_mul_f32_e32 v19, v2, v2
	v_cmp_ge_f32_e64 vcc, |v2|, 0.5
	v_fma_f32 v14, |v4|, -0.5, 0.5
	v_cndmask_b32_e32 v18, v19, v18, vcc
	v_mul_f32_e32 v19, v4, v4
	v_cmp_ge_f32_e64 vcc, |v4|, 0.5
	v_mov_b32_e32 v13, 0x3c5fc5da
	v_cndmask_b32_e32 v14, v19, v14, vcc
	v_mov_b32_e32 v19, 0x3c5fc5da
	v_fmac_f32_e32 v19, 0x3d1c21a7, v14
	v_fmac_f32_e32 v13, 0x3d1c21a7, v18
	v_fma_f32 v13, v18, v13, v8
	v_fmac_f32_e32 v8, v14, v19
	v_fma_f32 v8, v14, v8, v9
	;; [unrolled: 2-line block ×4, first 2 shown]
	v_fmac_f32_e32 v17, v18, v9
	v_sqrt_f32_e32 v9, v18
	v_sqrt_f32_e32 v19, v14
	v_mul_f32_e32 v10, v18, v17
	v_mul_f32_e32 v8, v14, v8
	v_fmac_f32_e32 v9, v9, v10
	v_fmac_f32_e32 v19, v19, v8
	v_add_f32_e32 v9, v9, v9
	v_add_f32_e32 v13, v19, v19
	v_sub_f32_e32 v9, 0x3fc90fdb, v9
	v_fma_f32 v10, |v2|, v10, |v2|
	v_cmp_lt_f32_e64 vcc, |v2|, 0.5
	v_sub_f32_e32 v13, 0x3fc90fdb, v13
	v_fma_f32 v8, |v4|, v8, |v4|
	v_cndmask_b32_e32 v9, v9, v10, vcc
	v_cmp_lt_f32_e64 vcc, |v4|, 0.5
	v_cndmask_b32_e32 v8, v13, v8, vcc
	v_bfi_b32 v4, s13, v8, v4
	v_bfi_b32 v2, s13, v9, v2
	v_and_b32_sdwa v9, v4, v15 dst_sel:DWORD dst_unused:UNUSED_PAD src0_sel:WORD_1 src1_sel:DWORD
	v_and_b32_sdwa v8, v2, v15 dst_sel:DWORD dst_unused:UNUSED_PAD src0_sel:WORD_1 src1_sel:DWORD
	v_add3_u32 v9, v4, v9, s17
	v_cmp_o_f32_e32 vcc, v4, v4
	v_lshrrev_b32_e32 v7, 16, v7
	v_lshrrev_b32_e32 v12, 16, v12
	;; [unrolled: 1-line block ×3, first 2 shown]
	v_add3_u32 v8, v2, v8, s17
	v_cndmask_b32_sdwa v4, v16, v9, vcc dst_sel:DWORD dst_unused:UNUSED_PAD src0_sel:DWORD src1_sel:WORD_1
	v_cmp_o_f32_e32 vcc, v2, v2
	s_add_u32 s6, s8, s14
	v_cndmask_b32_e64 v7, v16, v7, s[0:1]
	v_cndmask_b32_e64 v12, v16, v12, s[2:3]
	;; [unrolled: 1-line block ×3, first 2 shown]
	v_cndmask_b32_sdwa v2, v16, v8, vcc dst_sel:DWORD dst_unused:UNUSED_PAD src0_sel:DWORD src1_sel:WORD_1
	s_mov_b32 s0, 0x5040100
	s_addc_u32 s7, s9, s15
	v_perm_b32 v4, v2, v4, s0
	v_perm_b32 v3, v1, v3, s0
	;; [unrolled: 1-line block ×4, first 2 shown]
	global_store_dwordx4 v5, v[1:4], s[6:7]
	s_mov_b64 s[0:1], 0
.LBB58_2:
	s_andn2_b64 vcc, exec, s[0:1]
	s_cbranch_vccnz .LBB58_41
; %bb.3:
	v_cmp_gt_i32_e64 s[0:1], s16, v0
	v_mov_b32_e32 v10, 0
	v_or_b32_e32 v1, s12, v0
	v_mov_b32_e32 v6, 0
	v_mov_b32_e32 v4, v0
	s_and_saveexec_b64 s[2:3], s[0:1]
	s_cbranch_execz .LBB58_5
; %bb.4:
	v_mov_b32_e32 v2, 0
	v_lshlrev_b64 v[2:3], 1, v[1:2]
	v_mov_b32_e32 v4, s11
	v_add_co_u32_e32 v2, vcc, s10, v2
	v_addc_co_u32_e32 v3, vcc, v4, v3, vcc
	global_load_ushort v2, v[2:3], off
	v_or_b32_e32 v4, 0x100, v0
	s_waitcnt vmcnt(0)
	v_lshlrev_b32_e32 v6, 16, v2
.LBB58_5:
	s_or_b64 exec, exec, s[2:3]
	v_cmp_gt_i32_e32 vcc, s16, v4
	s_and_saveexec_b64 s[2:3], vcc
	s_cbranch_execz .LBB58_7
; %bb.6:
	v_add_u32_e32 v2, s12, v4
	v_mov_b32_e32 v3, 0
	v_lshlrev_b64 v[2:3], 1, v[2:3]
	v_mov_b32_e32 v5, s11
	v_add_co_u32_e32 v2, vcc, s10, v2
	v_addc_co_u32_e32 v3, vcc, v5, v3, vcc
	global_load_ushort v2, v[2:3], off
	v_add_u32_e32 v4, 0x100, v4
	s_waitcnt vmcnt(0)
	v_lshlrev_b32_e32 v10, 16, v2
.LBB58_7:
	s_or_b64 exec, exec, s[2:3]
	v_cmp_gt_i32_e32 vcc, s16, v4
	v_mov_b32_e32 v8, 0
	v_mov_b32_e32 v11, 0
	s_and_saveexec_b64 s[2:3], vcc
	s_cbranch_execz .LBB58_9
; %bb.8:
	v_add_u32_e32 v2, s12, v4
	v_mov_b32_e32 v3, 0
	v_lshlrev_b64 v[2:3], 1, v[2:3]
	v_mov_b32_e32 v5, s11
	v_add_co_u32_e32 v2, vcc, s10, v2
	v_addc_co_u32_e32 v3, vcc, v5, v3, vcc
	global_load_ushort v2, v[2:3], off
	v_add_u32_e32 v4, 0x100, v4
	s_waitcnt vmcnt(0)
	v_lshlrev_b32_e32 v11, 16, v2
.LBB58_9:
	s_or_b64 exec, exec, s[2:3]
	v_cmp_gt_i32_e32 vcc, s16, v4
	s_and_saveexec_b64 s[2:3], vcc
	s_cbranch_execz .LBB58_11
; %bb.10:
	v_add_u32_e32 v2, s12, v4
	v_mov_b32_e32 v3, 0
	v_lshlrev_b64 v[2:3], 1, v[2:3]
	v_mov_b32_e32 v5, s11
	v_add_co_u32_e32 v2, vcc, s10, v2
	v_addc_co_u32_e32 v3, vcc, v5, v3, vcc
	global_load_ushort v2, v[2:3], off
	v_add_u32_e32 v4, 0x100, v4
	s_waitcnt vmcnt(0)
	v_lshlrev_b32_e32 v8, 16, v2
.LBB58_11:
	s_or_b64 exec, exec, s[2:3]
	v_cmp_gt_i32_e32 vcc, s16, v4
	v_mov_b32_e32 v3, 0
	v_mov_b32_e32 v9, 0
	s_and_saveexec_b64 s[2:3], vcc
	s_cbranch_execz .LBB58_13
; %bb.12:
	v_add_u32_e32 v12, s12, v4
	v_mov_b32_e32 v13, 0
	v_lshlrev_b64 v[12:13], 1, v[12:13]
	v_mov_b32_e32 v2, s11
	v_add_co_u32_e32 v12, vcc, s10, v12
	v_addc_co_u32_e32 v13, vcc, v2, v13, vcc
	global_load_ushort v2, v[12:13], off
	v_add_u32_e32 v4, 0x100, v4
	s_waitcnt vmcnt(0)
	v_lshlrev_b32_e32 v9, 16, v2
.LBB58_13:
	s_or_b64 exec, exec, s[2:3]
	v_cmp_gt_i32_e32 vcc, s16, v4
	s_and_saveexec_b64 s[2:3], vcc
	s_cbranch_execz .LBB58_15
; %bb.14:
	v_add_u32_e32 v2, s12, v4
	v_mov_b32_e32 v3, 0
	v_lshlrev_b64 v[2:3], 1, v[2:3]
	v_mov_b32_e32 v5, s11
	v_add_co_u32_e32 v2, vcc, s10, v2
	v_addc_co_u32_e32 v3, vcc, v5, v3, vcc
	global_load_ushort v2, v[2:3], off
	v_add_u32_e32 v4, 0x100, v4
	s_waitcnt vmcnt(0)
	v_lshlrev_b32_e32 v3, 16, v2
.LBB58_15:
	s_or_b64 exec, exec, s[2:3]
	v_cmp_gt_i32_e32 vcc, s16, v4
	v_mov_b32_e32 v2, 0
	v_mov_b32_e32 v5, 0
	s_and_saveexec_b64 s[2:3], vcc
	s_cbranch_execnz .LBB58_42
; %bb.16:
	s_or_b64 exec, exec, s[2:3]
	v_cmp_gt_i32_e32 vcc, s16, v4
	s_and_saveexec_b64 s[2:3], vcc
	s_cbranch_execnz .LBB58_43
.LBB58_17:
	s_or_b64 exec, exec, s[2:3]
                                        ; implicit-def: $vgpr4
	s_and_saveexec_b64 s[2:3], s[0:1]
	s_cbranch_execz .LBB58_19
.LBB58_18:
	v_fma_f32 v4, |v6|, -0.5, 0.5
	v_mul_f32_e32 v7, v6, v6
	v_cmp_ge_f32_e64 vcc, |v6|, 0.5
	v_cndmask_b32_e32 v4, v7, v4, vcc
	v_mov_b32_e32 v7, 0x3c5fc5da
	v_fmac_f32_e32 v7, 0x3d1c21a7, v4
	v_mov_b32_e32 v12, 0x3d034c3c
	v_fmac_f32_e32 v12, v4, v7
	;; [unrolled: 2-line block ×4, first 2 shown]
	v_sqrt_f32_e32 v7, v4
	v_mov_b32_e32 v13, 0x3e2aaaac
	v_fmac_f32_e32 v13, v4, v12
	v_mul_f32_e32 v4, v4, v13
	v_fmac_f32_e32 v7, v7, v4
	v_add_f32_e32 v7, v7, v7
	v_sub_f32_e32 v7, 0x3fc90fdb, v7
	v_fma_f32 v4, |v6|, v4, |v6|
	v_cmp_lt_f32_e64 vcc, |v6|, 0.5
	v_cndmask_b32_e32 v4, v7, v4, vcc
	s_brev_b32 s4, -2
	v_bfi_b32 v4, s4, v4, v6
	v_bfe_u32 v6, v4, 16, 1
	s_movk_i32 s4, 0x7fff
	v_add3_u32 v6, v4, v6, s4
	v_cmp_o_f32_e32 vcc, v4, v4
	v_mov_b32_e32 v4, 0x7fc0
	v_cndmask_b32_sdwa v4, v4, v6, vcc dst_sel:DWORD dst_unused:UNUSED_PAD src0_sel:DWORD src1_sel:WORD_1
.LBB58_19:
	s_or_b64 exec, exec, s[2:3]
	v_or_b32_e32 v6, 0x100, v0
	v_cmp_gt_i32_e32 vcc, s16, v6
                                        ; implicit-def: $vgpr7
	s_and_saveexec_b64 s[2:3], vcc
	s_cbranch_execz .LBB58_21
; %bb.20:
	v_fma_f32 v7, |v10|, -0.5, 0.5
	v_mul_f32_e32 v12, v10, v10
	v_cmp_ge_f32_e64 vcc, |v10|, 0.5
	v_cndmask_b32_e32 v7, v12, v7, vcc
	v_mov_b32_e32 v12, 0x3c5fc5da
	v_fmac_f32_e32 v12, 0x3d1c21a7, v7
	v_mov_b32_e32 v13, 0x3d034c3c
	v_fmac_f32_e32 v13, v7, v12
	;; [unrolled: 2-line block ×4, first 2 shown]
	v_sqrt_f32_e32 v12, v7
	v_mov_b32_e32 v14, 0x3e2aaaac
	v_fmac_f32_e32 v14, v7, v13
	v_mul_f32_e32 v7, v7, v14
	v_fmac_f32_e32 v12, v12, v7
	v_add_f32_e32 v12, v12, v12
	v_sub_f32_e32 v12, 0x3fc90fdb, v12
	v_fma_f32 v7, |v10|, v7, |v10|
	v_cmp_lt_f32_e64 vcc, |v10|, 0.5
	v_cndmask_b32_e32 v7, v12, v7, vcc
	s_brev_b32 s4, -2
	v_bfi_b32 v7, s4, v7, v10
	v_bfe_u32 v10, v7, 16, 1
	s_movk_i32 s4, 0x7fff
	v_add3_u32 v10, v7, v10, s4
	v_cmp_o_f32_e32 vcc, v7, v7
	v_mov_b32_e32 v7, 0x7fc0
	v_cndmask_b32_sdwa v7, v7, v10, vcc dst_sel:DWORD dst_unused:UNUSED_PAD src0_sel:DWORD src1_sel:WORD_1
.LBB58_21:
	s_or_b64 exec, exec, s[2:3]
	v_or_b32_e32 v10, 0x200, v0
	v_cmp_gt_i32_e32 vcc, s16, v10
                                        ; implicit-def: $vgpr10
	s_and_saveexec_b64 s[2:3], vcc
	s_cbranch_execz .LBB58_23
; %bb.22:
	v_fma_f32 v10, |v11|, -0.5, 0.5
	v_mul_f32_e32 v12, v11, v11
	v_cmp_ge_f32_e64 vcc, |v11|, 0.5
	v_cndmask_b32_e32 v10, v12, v10, vcc
	v_mov_b32_e32 v12, 0x3c5fc5da
	v_fmac_f32_e32 v12, 0x3d1c21a7, v10
	v_mov_b32_e32 v13, 0x3d034c3c
	v_fmac_f32_e32 v13, v10, v12
	;; [unrolled: 2-line block ×4, first 2 shown]
	v_sqrt_f32_e32 v12, v10
	v_mov_b32_e32 v14, 0x3e2aaaac
	v_fmac_f32_e32 v14, v10, v13
	v_mul_f32_e32 v10, v10, v14
	v_fmac_f32_e32 v12, v12, v10
	v_add_f32_e32 v12, v12, v12
	v_sub_f32_e32 v12, 0x3fc90fdb, v12
	v_fma_f32 v10, |v11|, v10, |v11|
	v_cmp_lt_f32_e64 vcc, |v11|, 0.5
	v_cndmask_b32_e32 v10, v12, v10, vcc
	s_brev_b32 s4, -2
	v_bfi_b32 v10, s4, v10, v11
	v_bfe_u32 v11, v10, 16, 1
	s_movk_i32 s4, 0x7fff
	v_add3_u32 v11, v10, v11, s4
	v_cmp_o_f32_e32 vcc, v10, v10
	v_mov_b32_e32 v10, 0x7fc0
	v_cndmask_b32_sdwa v10, v10, v11, vcc dst_sel:DWORD dst_unused:UNUSED_PAD src0_sel:DWORD src1_sel:WORD_1
.LBB58_23:
	s_or_b64 exec, exec, s[2:3]
	v_or_b32_e32 v11, 0x300, v0
	v_cmp_gt_i32_e32 vcc, s16, v11
                                        ; implicit-def: $vgpr11
	s_and_saveexec_b64 s[2:3], vcc
	s_cbranch_execz .LBB58_25
; %bb.24:
	v_fma_f32 v11, |v8|, -0.5, 0.5
	v_mul_f32_e32 v12, v8, v8
	v_cmp_ge_f32_e64 vcc, |v8|, 0.5
	v_cndmask_b32_e32 v11, v12, v11, vcc
	v_mov_b32_e32 v12, 0x3c5fc5da
	v_fmac_f32_e32 v12, 0x3d1c21a7, v11
	v_mov_b32_e32 v13, 0x3d034c3c
	v_fmac_f32_e32 v13, v11, v12
	;; [unrolled: 2-line block ×4, first 2 shown]
	v_sqrt_f32_e32 v12, v11
	v_mov_b32_e32 v14, 0x3e2aaaac
	v_fmac_f32_e32 v14, v11, v13
	v_mul_f32_e32 v11, v11, v14
	v_fmac_f32_e32 v12, v12, v11
	v_add_f32_e32 v12, v12, v12
	v_sub_f32_e32 v12, 0x3fc90fdb, v12
	v_fma_f32 v11, |v8|, v11, |v8|
	v_cmp_lt_f32_e64 vcc, |v8|, 0.5
	v_cndmask_b32_e32 v11, v12, v11, vcc
	s_brev_b32 s4, -2
	v_bfi_b32 v8, s4, v11, v8
	v_bfe_u32 v11, v8, 16, 1
	s_movk_i32 s4, 0x7fff
	v_add3_u32 v11, v8, v11, s4
	v_cmp_o_f32_e32 vcc, v8, v8
	v_mov_b32_e32 v8, 0x7fc0
	v_cndmask_b32_sdwa v11, v8, v11, vcc dst_sel:DWORD dst_unused:UNUSED_PAD src0_sel:DWORD src1_sel:WORD_1
.LBB58_25:
	s_or_b64 exec, exec, s[2:3]
	v_or_b32_e32 v8, 0x400, v0
	v_cmp_gt_i32_e32 vcc, s16, v8
                                        ; implicit-def: $vgpr8
	s_and_saveexec_b64 s[2:3], vcc
	s_cbranch_execz .LBB58_27
; %bb.26:
	v_fma_f32 v8, |v9|, -0.5, 0.5
	v_mul_f32_e32 v12, v9, v9
	v_cmp_ge_f32_e64 vcc, |v9|, 0.5
	v_cndmask_b32_e32 v8, v12, v8, vcc
	v_mov_b32_e32 v12, 0x3c5fc5da
	v_fmac_f32_e32 v12, 0x3d1c21a7, v8
	v_mov_b32_e32 v13, 0x3d034c3c
	v_fmac_f32_e32 v13, v8, v12
	;; [unrolled: 2-line block ×4, first 2 shown]
	v_sqrt_f32_e32 v12, v8
	v_mov_b32_e32 v14, 0x3e2aaaac
	v_fmac_f32_e32 v14, v8, v13
	v_mul_f32_e32 v8, v8, v14
	v_fmac_f32_e32 v12, v12, v8
	v_add_f32_e32 v12, v12, v12
	v_sub_f32_e32 v12, 0x3fc90fdb, v12
	v_fma_f32 v8, |v9|, v8, |v9|
	v_cmp_lt_f32_e64 vcc, |v9|, 0.5
	v_cndmask_b32_e32 v8, v12, v8, vcc
	s_brev_b32 s4, -2
	v_bfi_b32 v8, s4, v8, v9
	v_bfe_u32 v9, v8, 16, 1
	s_movk_i32 s4, 0x7fff
	v_add3_u32 v9, v8, v9, s4
	v_cmp_o_f32_e32 vcc, v8, v8
	v_mov_b32_e32 v8, 0x7fc0
	v_cndmask_b32_sdwa v8, v8, v9, vcc dst_sel:DWORD dst_unused:UNUSED_PAD src0_sel:DWORD src1_sel:WORD_1
.LBB58_27:
	s_or_b64 exec, exec, s[2:3]
	v_or_b32_e32 v9, 0x500, v0
	v_cmp_gt_i32_e32 vcc, s16, v9
                                        ; implicit-def: $vgpr9
	s_and_saveexec_b64 s[2:3], vcc
	s_cbranch_execz .LBB58_29
; %bb.28:
	v_fma_f32 v9, |v3|, -0.5, 0.5
	v_mul_f32_e32 v12, v3, v3
	v_cmp_ge_f32_e64 vcc, |v3|, 0.5
	v_cndmask_b32_e32 v9, v12, v9, vcc
	v_mov_b32_e32 v12, 0x3c5fc5da
	v_fmac_f32_e32 v12, 0x3d1c21a7, v9
	v_mov_b32_e32 v13, 0x3d034c3c
	v_fmac_f32_e32 v13, v9, v12
	;; [unrolled: 2-line block ×4, first 2 shown]
	v_sqrt_f32_e32 v12, v9
	v_mov_b32_e32 v14, 0x3e2aaaac
	v_fmac_f32_e32 v14, v9, v13
	v_mul_f32_e32 v9, v9, v14
	v_fmac_f32_e32 v12, v12, v9
	v_add_f32_e32 v12, v12, v12
	v_sub_f32_e32 v12, 0x3fc90fdb, v12
	v_fma_f32 v9, |v3|, v9, |v3|
	v_cmp_lt_f32_e64 vcc, |v3|, 0.5
	v_cndmask_b32_e32 v9, v12, v9, vcc
	s_brev_b32 s4, -2
	v_bfi_b32 v3, s4, v9, v3
	v_bfe_u32 v9, v3, 16, 1
	s_movk_i32 s4, 0x7fff
	v_add3_u32 v9, v3, v9, s4
	v_cmp_o_f32_e32 vcc, v3, v3
	v_mov_b32_e32 v3, 0x7fc0
	v_cndmask_b32_sdwa v9, v3, v9, vcc dst_sel:DWORD dst_unused:UNUSED_PAD src0_sel:DWORD src1_sel:WORD_1
.LBB58_29:
	s_or_b64 exec, exec, s[2:3]
	v_or_b32_e32 v3, 0x600, v0
	v_cmp_gt_i32_e32 vcc, s16, v3
                                        ; implicit-def: $vgpr3
	s_and_saveexec_b64 s[2:3], vcc
	s_cbranch_execz .LBB58_31
; %bb.30:
	v_fma_f32 v3, |v5|, -0.5, 0.5
	v_mul_f32_e32 v12, v5, v5
	v_cmp_ge_f32_e64 vcc, |v5|, 0.5
	v_cndmask_b32_e32 v3, v12, v3, vcc
	v_mov_b32_e32 v12, 0x3c5fc5da
	v_fmac_f32_e32 v12, 0x3d1c21a7, v3
	v_mov_b32_e32 v13, 0x3d034c3c
	v_fmac_f32_e32 v13, v3, v12
	;; [unrolled: 2-line block ×4, first 2 shown]
	v_sqrt_f32_e32 v12, v3
	v_mov_b32_e32 v14, 0x3e2aaaac
	v_fmac_f32_e32 v14, v3, v13
	v_mul_f32_e32 v3, v3, v14
	v_fmac_f32_e32 v12, v12, v3
	v_add_f32_e32 v12, v12, v12
	v_sub_f32_e32 v12, 0x3fc90fdb, v12
	v_fma_f32 v3, |v5|, v3, |v5|
	v_cmp_lt_f32_e64 vcc, |v5|, 0.5
	v_cndmask_b32_e32 v3, v12, v3, vcc
	s_brev_b32 s4, -2
	v_bfi_b32 v3, s4, v3, v5
	v_bfe_u32 v5, v3, 16, 1
	s_movk_i32 s4, 0x7fff
	v_add3_u32 v5, v3, v5, s4
	v_cmp_o_f32_e32 vcc, v3, v3
	v_mov_b32_e32 v3, 0x7fc0
	v_cndmask_b32_sdwa v3, v3, v5, vcc dst_sel:DWORD dst_unused:UNUSED_PAD src0_sel:DWORD src1_sel:WORD_1
.LBB58_31:
	s_or_b64 exec, exec, s[2:3]
	v_or_b32_e32 v5, 0x700, v0
	v_cmp_gt_i32_e32 vcc, s16, v5
                                        ; implicit-def: $vgpr5
	s_and_saveexec_b64 s[2:3], vcc
	s_cbranch_execnz .LBB58_44
; %bb.32:
	s_or_b64 exec, exec, s[2:3]
	s_and_saveexec_b64 s[2:3], s[0:1]
	s_xor_b64 s[0:1], exec, s[2:3]
	s_cbranch_execnz .LBB58_45
.LBB58_33:
	s_or_b64 exec, exec, s[0:1]
	v_cmp_gt_i32_e32 vcc, s16, v0
	s_and_saveexec_b64 s[0:1], vcc
	s_cbranch_execnz .LBB58_46
.LBB58_34:
	s_or_b64 exec, exec, s[0:1]
	v_cmp_gt_i32_e32 vcc, s16, v0
	s_and_saveexec_b64 s[0:1], vcc
	s_cbranch_execnz .LBB58_47
.LBB58_35:
	s_or_b64 exec, exec, s[0:1]
	v_cmp_gt_i32_e32 vcc, s16, v0
	s_and_saveexec_b64 s[0:1], vcc
	s_cbranch_execnz .LBB58_48
.LBB58_36:
	s_or_b64 exec, exec, s[0:1]
	v_cmp_gt_i32_e32 vcc, s16, v0
	s_and_saveexec_b64 s[0:1], vcc
	s_cbranch_execnz .LBB58_49
.LBB58_37:
	s_or_b64 exec, exec, s[0:1]
	v_cmp_gt_i32_e32 vcc, s16, v0
	s_and_saveexec_b64 s[0:1], vcc
	s_cbranch_execnz .LBB58_50
.LBB58_38:
	s_or_b64 exec, exec, s[0:1]
	v_cmp_gt_i32_e32 vcc, s16, v0
	s_and_saveexec_b64 s[0:1], vcc
	s_cbranch_execnz .LBB58_51
.LBB58_39:
	s_or_b64 exec, exec, s[0:1]
	v_cmp_gt_i32_e32 vcc, s16, v0
	s_and_saveexec_b64 s[0:1], vcc
	s_cbranch_execz .LBB58_41
.LBB58_40:
	v_add_u32_e32 v0, s12, v0
	v_mov_b32_e32 v1, 0
	v_lshlrev_b64 v[0:1], 1, v[0:1]
	v_mov_b32_e32 v2, s9
	v_add_co_u32_e32 v0, vcc, s8, v0
	v_addc_co_u32_e32 v1, vcc, v2, v1, vcc
	global_store_short v[0:1], v5, off
.LBB58_41:
	s_endpgm
.LBB58_42:
	v_add_u32_e32 v12, s12, v4
	v_mov_b32_e32 v13, 0
	v_lshlrev_b64 v[12:13], 1, v[12:13]
	v_mov_b32_e32 v5, s11
	v_add_co_u32_e32 v12, vcc, s10, v12
	v_addc_co_u32_e32 v13, vcc, v5, v13, vcc
	global_load_ushort v5, v[12:13], off
	v_add_u32_e32 v4, 0x100, v4
	s_waitcnt vmcnt(0)
	v_lshlrev_b32_e32 v5, 16, v5
	s_or_b64 exec, exec, s[2:3]
	v_cmp_gt_i32_e32 vcc, s16, v4
	s_and_saveexec_b64 s[2:3], vcc
	s_cbranch_execz .LBB58_17
.LBB58_43:
	v_add_u32_e32 v12, s12, v4
	v_mov_b32_e32 v13, 0
	v_lshlrev_b64 v[12:13], 1, v[12:13]
	v_mov_b32_e32 v2, s11
	v_add_co_u32_e32 v12, vcc, s10, v12
	v_addc_co_u32_e32 v13, vcc, v2, v13, vcc
	global_load_ushort v2, v[12:13], off
	s_waitcnt vmcnt(0)
	v_lshlrev_b32_e32 v2, 16, v2
	s_or_b64 exec, exec, s[2:3]
                                        ; implicit-def: $vgpr4
	s_and_saveexec_b64 s[2:3], s[0:1]
	s_cbranch_execnz .LBB58_18
	s_branch .LBB58_19
.LBB58_44:
	v_fma_f32 v5, |v2|, -0.5, 0.5
	v_mul_f32_e32 v12, v2, v2
	v_cmp_ge_f32_e64 vcc, |v2|, 0.5
	v_cndmask_b32_e32 v5, v12, v5, vcc
	v_mov_b32_e32 v12, 0x3c5fc5da
	v_fmac_f32_e32 v12, 0x3d1c21a7, v5
	v_mov_b32_e32 v13, 0x3d034c3c
	v_fmac_f32_e32 v13, v5, v12
	;; [unrolled: 2-line block ×4, first 2 shown]
	v_sqrt_f32_e32 v12, v5
	v_mov_b32_e32 v14, 0x3e2aaaac
	v_fmac_f32_e32 v14, v5, v13
	v_mul_f32_e32 v5, v5, v14
	v_fmac_f32_e32 v12, v12, v5
	v_add_f32_e32 v12, v12, v12
	v_sub_f32_e32 v12, 0x3fc90fdb, v12
	v_fma_f32 v5, |v2|, v5, |v2|
	v_cmp_lt_f32_e64 vcc, |v2|, 0.5
	v_cndmask_b32_e32 v5, v12, v5, vcc
	s_brev_b32 s4, -2
	v_bfi_b32 v2, s4, v5, v2
	v_bfe_u32 v5, v2, 16, 1
	s_movk_i32 s4, 0x7fff
	v_add3_u32 v5, v2, v5, s4
	v_cmp_o_f32_e32 vcc, v2, v2
	v_mov_b32_e32 v2, 0x7fc0
	v_cndmask_b32_sdwa v5, v2, v5, vcc dst_sel:DWORD dst_unused:UNUSED_PAD src0_sel:DWORD src1_sel:WORD_1
	s_or_b64 exec, exec, s[2:3]
	s_and_saveexec_b64 s[2:3], s[0:1]
	s_xor_b64 s[0:1], exec, s[2:3]
	s_cbranch_execz .LBB58_33
.LBB58_45:
	v_mov_b32_e32 v2, 0
	v_lshlrev_b64 v[0:1], 1, v[1:2]
	v_mov_b32_e32 v2, s9
	v_add_co_u32_e32 v0, vcc, s8, v0
	v_addc_co_u32_e32 v1, vcc, v2, v1, vcc
	global_store_short v[0:1], v4, off
	v_mov_b32_e32 v0, v6
	s_or_b64 exec, exec, s[0:1]
	v_cmp_gt_i32_e32 vcc, s16, v0
	s_and_saveexec_b64 s[0:1], vcc
	s_cbranch_execz .LBB58_34
.LBB58_46:
	v_add_u32_e32 v1, s12, v0
	v_mov_b32_e32 v2, 0
	v_lshlrev_b64 v[1:2], 1, v[1:2]
	v_mov_b32_e32 v4, s9
	v_add_co_u32_e32 v1, vcc, s8, v1
	v_addc_co_u32_e32 v2, vcc, v4, v2, vcc
	v_add_u32_e32 v0, 0x100, v0
	global_store_short v[1:2], v7, off
	s_or_b64 exec, exec, s[0:1]
	v_cmp_gt_i32_e32 vcc, s16, v0
	s_and_saveexec_b64 s[0:1], vcc
	s_cbranch_execz .LBB58_35
.LBB58_47:
	v_add_u32_e32 v1, s12, v0
	v_mov_b32_e32 v2, 0
	v_lshlrev_b64 v[1:2], 1, v[1:2]
	v_mov_b32_e32 v4, s9
	v_add_co_u32_e32 v1, vcc, s8, v1
	v_addc_co_u32_e32 v2, vcc, v4, v2, vcc
	v_add_u32_e32 v0, 0x100, v0
	global_store_short v[1:2], v10, off
	s_or_b64 exec, exec, s[0:1]
	v_cmp_gt_i32_e32 vcc, s16, v0
	s_and_saveexec_b64 s[0:1], vcc
	s_cbranch_execz .LBB58_36
.LBB58_48:
	v_add_u32_e32 v1, s12, v0
	v_mov_b32_e32 v2, 0
	v_lshlrev_b64 v[1:2], 1, v[1:2]
	v_mov_b32_e32 v4, s9
	v_add_co_u32_e32 v1, vcc, s8, v1
	v_addc_co_u32_e32 v2, vcc, v4, v2, vcc
	v_add_u32_e32 v0, 0x100, v0
	global_store_short v[1:2], v11, off
	s_or_b64 exec, exec, s[0:1]
	v_cmp_gt_i32_e32 vcc, s16, v0
	s_and_saveexec_b64 s[0:1], vcc
	s_cbranch_execz .LBB58_37
.LBB58_49:
	v_add_u32_e32 v1, s12, v0
	v_mov_b32_e32 v2, 0
	v_lshlrev_b64 v[1:2], 1, v[1:2]
	v_mov_b32_e32 v4, s9
	v_add_co_u32_e32 v1, vcc, s8, v1
	v_addc_co_u32_e32 v2, vcc, v4, v2, vcc
	v_add_u32_e32 v0, 0x100, v0
	global_store_short v[1:2], v8, off
	s_or_b64 exec, exec, s[0:1]
	v_cmp_gt_i32_e32 vcc, s16, v0
	s_and_saveexec_b64 s[0:1], vcc
	s_cbranch_execz .LBB58_38
.LBB58_50:
	v_add_u32_e32 v1, s12, v0
	v_mov_b32_e32 v2, 0
	v_lshlrev_b64 v[1:2], 1, v[1:2]
	v_mov_b32_e32 v4, s9
	v_add_co_u32_e32 v1, vcc, s8, v1
	v_addc_co_u32_e32 v2, vcc, v4, v2, vcc
	v_add_u32_e32 v0, 0x100, v0
	global_store_short v[1:2], v9, off
	s_or_b64 exec, exec, s[0:1]
	v_cmp_gt_i32_e32 vcc, s16, v0
	s_and_saveexec_b64 s[0:1], vcc
	s_cbranch_execz .LBB58_39
.LBB58_51:
	v_add_u32_e32 v1, s12, v0
	v_mov_b32_e32 v2, 0
	v_lshlrev_b64 v[1:2], 1, v[1:2]
	v_mov_b32_e32 v4, s9
	v_add_co_u32_e32 v1, vcc, s8, v1
	v_addc_co_u32_e32 v2, vcc, v4, v2, vcc
	v_add_u32_e32 v0, 0x100, v0
	global_store_short v[1:2], v3, off
	s_or_b64 exec, exec, s[0:1]
	v_cmp_gt_i32_e32 vcc, s16, v0
	s_and_saveexec_b64 s[0:1], vcc
	s_cbranch_execnz .LBB58_40
	s_branch .LBB58_41
	.section	.rodata,"a",@progbits
	.p2align	6, 0x0
	.amdhsa_kernel _ZN2at6native29vectorized_elementwise_kernelILi8EZZZNS0_16asin_kernel_cudaERNS_18TensorIteratorBaseEENKUlvE0_clEvENKUlvE2_clEvEUlN3c108BFloat16EE_St5arrayIPcLm2EEEEviT0_T1_
		.amdhsa_group_segment_fixed_size 0
		.amdhsa_private_segment_fixed_size 0
		.amdhsa_kernarg_size 24
		.amdhsa_user_sgpr_count 6
		.amdhsa_user_sgpr_private_segment_buffer 1
		.amdhsa_user_sgpr_dispatch_ptr 0
		.amdhsa_user_sgpr_queue_ptr 0
		.amdhsa_user_sgpr_kernarg_segment_ptr 1
		.amdhsa_user_sgpr_dispatch_id 0
		.amdhsa_user_sgpr_flat_scratch_init 0
		.amdhsa_user_sgpr_private_segment_size 0
		.amdhsa_uses_dynamic_stack 0
		.amdhsa_system_sgpr_private_segment_wavefront_offset 0
		.amdhsa_system_sgpr_workgroup_id_x 1
		.amdhsa_system_sgpr_workgroup_id_y 0
		.amdhsa_system_sgpr_workgroup_id_z 0
		.amdhsa_system_sgpr_workgroup_info 0
		.amdhsa_system_vgpr_workitem_id 0
		.amdhsa_next_free_vgpr 20
		.amdhsa_next_free_sgpr 18
		.amdhsa_reserve_vcc 1
		.amdhsa_reserve_flat_scratch 0
		.amdhsa_float_round_mode_32 0
		.amdhsa_float_round_mode_16_64 0
		.amdhsa_float_denorm_mode_32 3
		.amdhsa_float_denorm_mode_16_64 3
		.amdhsa_dx10_clamp 1
		.amdhsa_ieee_mode 1
		.amdhsa_fp16_overflow 0
		.amdhsa_exception_fp_ieee_invalid_op 0
		.amdhsa_exception_fp_denorm_src 0
		.amdhsa_exception_fp_ieee_div_zero 0
		.amdhsa_exception_fp_ieee_overflow 0
		.amdhsa_exception_fp_ieee_underflow 0
		.amdhsa_exception_fp_ieee_inexact 0
		.amdhsa_exception_int_div_zero 0
	.end_amdhsa_kernel
	.section	.text._ZN2at6native29vectorized_elementwise_kernelILi8EZZZNS0_16asin_kernel_cudaERNS_18TensorIteratorBaseEENKUlvE0_clEvENKUlvE2_clEvEUlN3c108BFloat16EE_St5arrayIPcLm2EEEEviT0_T1_,"axG",@progbits,_ZN2at6native29vectorized_elementwise_kernelILi8EZZZNS0_16asin_kernel_cudaERNS_18TensorIteratorBaseEENKUlvE0_clEvENKUlvE2_clEvEUlN3c108BFloat16EE_St5arrayIPcLm2EEEEviT0_T1_,comdat
.Lfunc_end58:
	.size	_ZN2at6native29vectorized_elementwise_kernelILi8EZZZNS0_16asin_kernel_cudaERNS_18TensorIteratorBaseEENKUlvE0_clEvENKUlvE2_clEvEUlN3c108BFloat16EE_St5arrayIPcLm2EEEEviT0_T1_, .Lfunc_end58-_ZN2at6native29vectorized_elementwise_kernelILi8EZZZNS0_16asin_kernel_cudaERNS_18TensorIteratorBaseEENKUlvE0_clEvENKUlvE2_clEvEUlN3c108BFloat16EE_St5arrayIPcLm2EEEEviT0_T1_
                                        ; -- End function
	.set _ZN2at6native29vectorized_elementwise_kernelILi8EZZZNS0_16asin_kernel_cudaERNS_18TensorIteratorBaseEENKUlvE0_clEvENKUlvE2_clEvEUlN3c108BFloat16EE_St5arrayIPcLm2EEEEviT0_T1_.num_vgpr, 20
	.set _ZN2at6native29vectorized_elementwise_kernelILi8EZZZNS0_16asin_kernel_cudaERNS_18TensorIteratorBaseEENKUlvE0_clEvENKUlvE2_clEvEUlN3c108BFloat16EE_St5arrayIPcLm2EEEEviT0_T1_.num_agpr, 0
	.set _ZN2at6native29vectorized_elementwise_kernelILi8EZZZNS0_16asin_kernel_cudaERNS_18TensorIteratorBaseEENKUlvE0_clEvENKUlvE2_clEvEUlN3c108BFloat16EE_St5arrayIPcLm2EEEEviT0_T1_.numbered_sgpr, 18
	.set _ZN2at6native29vectorized_elementwise_kernelILi8EZZZNS0_16asin_kernel_cudaERNS_18TensorIteratorBaseEENKUlvE0_clEvENKUlvE2_clEvEUlN3c108BFloat16EE_St5arrayIPcLm2EEEEviT0_T1_.num_named_barrier, 0
	.set _ZN2at6native29vectorized_elementwise_kernelILi8EZZZNS0_16asin_kernel_cudaERNS_18TensorIteratorBaseEENKUlvE0_clEvENKUlvE2_clEvEUlN3c108BFloat16EE_St5arrayIPcLm2EEEEviT0_T1_.private_seg_size, 0
	.set _ZN2at6native29vectorized_elementwise_kernelILi8EZZZNS0_16asin_kernel_cudaERNS_18TensorIteratorBaseEENKUlvE0_clEvENKUlvE2_clEvEUlN3c108BFloat16EE_St5arrayIPcLm2EEEEviT0_T1_.uses_vcc, 1
	.set _ZN2at6native29vectorized_elementwise_kernelILi8EZZZNS0_16asin_kernel_cudaERNS_18TensorIteratorBaseEENKUlvE0_clEvENKUlvE2_clEvEUlN3c108BFloat16EE_St5arrayIPcLm2EEEEviT0_T1_.uses_flat_scratch, 0
	.set _ZN2at6native29vectorized_elementwise_kernelILi8EZZZNS0_16asin_kernel_cudaERNS_18TensorIteratorBaseEENKUlvE0_clEvENKUlvE2_clEvEUlN3c108BFloat16EE_St5arrayIPcLm2EEEEviT0_T1_.has_dyn_sized_stack, 0
	.set _ZN2at6native29vectorized_elementwise_kernelILi8EZZZNS0_16asin_kernel_cudaERNS_18TensorIteratorBaseEENKUlvE0_clEvENKUlvE2_clEvEUlN3c108BFloat16EE_St5arrayIPcLm2EEEEviT0_T1_.has_recursion, 0
	.set _ZN2at6native29vectorized_elementwise_kernelILi8EZZZNS0_16asin_kernel_cudaERNS_18TensorIteratorBaseEENKUlvE0_clEvENKUlvE2_clEvEUlN3c108BFloat16EE_St5arrayIPcLm2EEEEviT0_T1_.has_indirect_call, 0
	.section	.AMDGPU.csdata,"",@progbits
; Kernel info:
; codeLenInByte = 4336
; TotalNumSgprs: 22
; NumVgprs: 20
; ScratchSize: 0
; MemoryBound: 0
; FloatMode: 240
; IeeeMode: 1
; LDSByteSize: 0 bytes/workgroup (compile time only)
; SGPRBlocks: 2
; VGPRBlocks: 4
; NumSGPRsForWavesPerEU: 22
; NumVGPRsForWavesPerEU: 20
; Occupancy: 10
; WaveLimiterHint : 0
; COMPUTE_PGM_RSRC2:SCRATCH_EN: 0
; COMPUTE_PGM_RSRC2:USER_SGPR: 6
; COMPUTE_PGM_RSRC2:TRAP_HANDLER: 0
; COMPUTE_PGM_RSRC2:TGID_X_EN: 1
; COMPUTE_PGM_RSRC2:TGID_Y_EN: 0
; COMPUTE_PGM_RSRC2:TGID_Z_EN: 0
; COMPUTE_PGM_RSRC2:TIDIG_COMP_CNT: 0
	.section	.text._ZN2at6native29vectorized_elementwise_kernelILi4EZZZNS0_16asin_kernel_cudaERNS_18TensorIteratorBaseEENKUlvE0_clEvENKUlvE2_clEvEUlN3c108BFloat16EE_St5arrayIPcLm2EEEEviT0_T1_,"axG",@progbits,_ZN2at6native29vectorized_elementwise_kernelILi4EZZZNS0_16asin_kernel_cudaERNS_18TensorIteratorBaseEENKUlvE0_clEvENKUlvE2_clEvEUlN3c108BFloat16EE_St5arrayIPcLm2EEEEviT0_T1_,comdat
	.globl	_ZN2at6native29vectorized_elementwise_kernelILi4EZZZNS0_16asin_kernel_cudaERNS_18TensorIteratorBaseEENKUlvE0_clEvENKUlvE2_clEvEUlN3c108BFloat16EE_St5arrayIPcLm2EEEEviT0_T1_ ; -- Begin function _ZN2at6native29vectorized_elementwise_kernelILi4EZZZNS0_16asin_kernel_cudaERNS_18TensorIteratorBaseEENKUlvE0_clEvENKUlvE2_clEvEUlN3c108BFloat16EE_St5arrayIPcLm2EEEEviT0_T1_
	.p2align	8
	.type	_ZN2at6native29vectorized_elementwise_kernelILi4EZZZNS0_16asin_kernel_cudaERNS_18TensorIteratorBaseEENKUlvE0_clEvENKUlvE2_clEvEUlN3c108BFloat16EE_St5arrayIPcLm2EEEEviT0_T1_,@function
_ZN2at6native29vectorized_elementwise_kernelILi4EZZZNS0_16asin_kernel_cudaERNS_18TensorIteratorBaseEENKUlvE0_clEvENKUlvE2_clEvEUlN3c108BFloat16EE_St5arrayIPcLm2EEEEviT0_T1_: ; @_ZN2at6native29vectorized_elementwise_kernelILi4EZZZNS0_16asin_kernel_cudaERNS_18TensorIteratorBaseEENKUlvE0_clEvENKUlvE2_clEvEUlN3c108BFloat16EE_St5arrayIPcLm2EEEEviT0_T1_
; %bb.0:
	s_load_dword s0, s[4:5], 0x0
	s_load_dwordx4 s[8:11], s[4:5], 0x8
	s_lshl_b32 s2, s6, 11
	s_waitcnt lgkmcnt(0)
	s_sub_i32 s6, s0, s2
	s_cmpk_gt_i32 s6, 0x7ff
	s_mov_b64 s[0:1], -1
	s_cbranch_scc0 .LBB59_2
; %bb.1:
	s_ashr_i32 s3, s2, 31
	s_lshl_b64 s[0:1], s[2:3], 1
	s_add_u32 s12, s10, s0
	s_addc_u32 s13, s11, s1
	v_lshlrev_b32_e32 v5, 3, v0
	global_load_dwordx2 v[1:2], v5, s[12:13]
	global_load_dwordx2 v[3:4], v5, s[12:13] offset:2048
	v_mov_b32_e32 v7, 0x3c5fc5da
	v_mov_b32_e32 v8, 0x3d034c3c
	;; [unrolled: 1-line block ×5, first 2 shown]
	s_brev_b32 s3, -2
	s_movk_i32 s4, 0x7fff
	v_mov_b32_e32 v12, 0x7fc0
	v_mov_b32_e32 v6, 0x3c5fc5da
	s_add_u32 s0, s8, s0
	s_addc_u32 s1, s9, s1
	s_waitcnt vmcnt(1)
	v_lshlrev_b32_e32 v13, 16, v1
	v_and_b32_e32 v1, 0xffff0000, v1
	v_fma_f32 v15, |v13|, -0.5, 0.5
	v_mul_f32_e32 v16, v13, v13
	v_cmp_ge_f32_e64 vcc, |v13|, 0.5
	v_lshlrev_b32_e32 v14, 16, v2
	v_fma_f32 v17, |v1|, -0.5, 0.5
	v_mul_f32_e32 v18, v1, v1
	v_cndmask_b32_e32 v15, v16, v15, vcc
	v_cmp_ge_f32_e64 vcc, |v1|, 0.5
	v_and_b32_e32 v2, 0xffff0000, v2
	v_fma_f32 v19, |v14|, -0.5, 0.5
	v_mul_f32_e32 v16, v14, v14
	v_cndmask_b32_e32 v17, v18, v17, vcc
	v_cmp_ge_f32_e64 vcc, |v14|, 0.5
	v_fmac_f32_e32 v7, 0x3d1c21a7, v15
	v_fma_f32 v18, |v2|, -0.5, 0.5
	v_cndmask_b32_e32 v16, v16, v19, vcc
	v_mul_f32_e32 v19, v2, v2
	v_cmp_ge_f32_e64 vcc, |v2|, 0.5
	v_fma_f32 v7, v15, v7, v8
	v_cndmask_b32_e32 v18, v19, v18, vcc
	v_sqrt_f32_e32 v19, v15
	v_fma_f32 v7, v15, v7, v9
	v_fma_f32 v7, v15, v7, v10
	;; [unrolled: 1-line block ×3, first 2 shown]
	v_mul_f32_e32 v7, v15, v7
	v_fmac_f32_e32 v19, v19, v7
	v_add_f32_e32 v19, v19, v19
	v_mov_b32_e32 v15, 0x3c5fc5da
	v_fma_f32 v7, |v13|, v7, |v13|
	v_sub_f32_e32 v19, 0x3fc90fdb, v19
	v_cmp_lt_f32_e64 vcc, |v13|, 0.5
	v_cndmask_b32_e32 v7, v19, v7, vcc
	v_mov_b32_e32 v19, 0x3c5fc5da
	v_fmac_f32_e32 v15, 0x3d1c21a7, v17
	v_fma_f32 v15, v17, v15, v8
	v_fmac_f32_e32 v19, 0x3d1c21a7, v16
	v_fma_f32 v15, v17, v15, v9
	v_fma_f32 v19, v16, v19, v8
	v_fma_f32 v15, v17, v15, v10
	v_fma_f32 v19, v16, v19, v9
	v_fma_f32 v15, v17, v15, v11
	v_fma_f32 v19, v16, v19, v10
	v_mul_f32_e32 v15, v17, v15
	v_sqrt_f32_e32 v17, v17
	v_fma_f32 v19, v16, v19, v11
	v_mul_f32_e32 v19, v16, v19
	v_sqrt_f32_e32 v16, v16
	v_fmac_f32_e32 v17, v17, v15
	v_add_f32_e32 v17, v17, v17
	v_fma_f32 v15, |v1|, v15, |v1|
	v_fmac_f32_e32 v16, v16, v19
	v_sub_f32_e32 v17, 0x3fc90fdb, v17
	v_cmp_lt_f32_e64 vcc, |v1|, 0.5
	v_add_f32_e32 v16, v16, v16
	v_cndmask_b32_e32 v15, v17, v15, vcc
	v_fma_f32 v19, |v14|, v19, |v14|
	v_sub_f32_e32 v16, 0x3fc90fdb, v16
	v_cmp_lt_f32_e64 vcc, |v14|, 0.5
	v_cndmask_b32_e32 v16, v16, v19, vcc
	v_mov_b32_e32 v19, 0x3c5fc5da
	v_bfi_b32 v7, s3, v7, v13
	v_fmac_f32_e32 v19, 0x3d1c21a7, v18
	v_bfi_b32 v1, s3, v15, v1
	v_bfe_u32 v15, v7, 16, 1
	v_fma_f32 v19, v18, v19, v8
	v_bfi_b32 v14, s3, v16, v14
	v_bfe_u32 v16, v1, 16, 1
	v_add3_u32 v15, v7, v15, s4
	v_sqrt_f32_e32 v13, v18
	v_fma_f32 v19, v18, v19, v9
	v_lshrrev_b32_e32 v15, 16, v15
	v_cmp_o_f32_e32 vcc, v7, v7
	v_add3_u32 v16, v1, v16, s4
	v_mov_b32_e32 v17, 0x7fc00000
	v_fma_f32 v19, v18, v19, v10
	v_bfe_u32 v7, v14, 16, 1
	v_and_b32_e32 v16, 0xffff0000, v16
	v_cndmask_b32_e32 v15, v12, v15, vcc
	v_cmp_o_f32_e32 vcc, v1, v1
	v_add3_u32 v7, v14, v7, s4
	v_cndmask_b32_e32 v1, v17, v16, vcc
	v_cmp_o_f32_e32 vcc, v14, v14
	v_fma_f32 v14, v18, v19, v11
	v_mul_f32_e32 v14, v18, v14
	v_fmac_f32_e32 v13, v13, v14
	v_lshrrev_b32_e32 v7, 16, v7
	v_add_f32_e32 v13, v13, v13
	v_cndmask_b32_e32 v7, v12, v7, vcc
	v_sub_f32_e32 v13, 0x3fc90fdb, v13
	v_fma_f32 v14, |v2|, v14, |v2|
	v_cmp_lt_f32_e64 vcc, |v2|, 0.5
	v_cndmask_b32_e32 v13, v13, v14, vcc
	v_bfi_b32 v2, s3, v13, v2
	v_bfe_u32 v13, v2, 16, 1
	v_add3_u32 v13, v2, v13, s4
	v_and_b32_e32 v13, 0xffff0000, v13
	v_cmp_o_f32_e32 vcc, v2, v2
	v_cndmask_b32_e32 v2, v17, v13, vcc
	v_or3_b32 v2, 0, v7, v2
	s_waitcnt vmcnt(0)
	v_lshlrev_b32_e32 v7, 16, v3
	v_fma_f32 v13, |v7|, -0.5, 0.5
	v_mul_f32_e32 v14, v7, v7
	v_cmp_ge_f32_e64 vcc, |v7|, 0.5
	v_cndmask_b32_e32 v13, v14, v13, vcc
	v_mov_b32_e32 v14, 0x3c5fc5da
	v_fmac_f32_e32 v14, 0x3d1c21a7, v13
	v_fma_f32 v14, v13, v14, v8
	v_or_b32_e32 v1, v15, v1
	v_fma_f32 v14, v13, v14, v9
	v_sqrt_f32_e32 v15, v13
	v_fma_f32 v14, v13, v14, v10
	v_fma_f32 v14, v13, v14, v11
	v_mul_f32_e32 v13, v13, v14
	v_fmac_f32_e32 v15, v15, v13
	v_add_f32_e32 v14, v15, v15
	v_sub_f32_e32 v14, 0x3fc90fdb, v14
	v_fma_f32 v13, |v7|, v13, |v7|
	v_cmp_lt_f32_e64 vcc, |v7|, 0.5
	v_cndmask_b32_e32 v13, v14, v13, vcc
	v_bfi_b32 v7, s3, v13, v7
	v_bfe_u32 v13, v7, 16, 1
	v_add3_u32 v13, v7, v13, s4
	v_lshrrev_b32_e32 v13, 16, v13
	v_cmp_o_f32_e32 vcc, v7, v7
	v_and_b32_e32 v3, 0xffff0000, v3
	v_cndmask_b32_e32 v7, v12, v13, vcc
	v_fma_f32 v13, |v3|, -0.5, 0.5
	v_mul_f32_e32 v14, v3, v3
	v_cmp_ge_f32_e64 vcc, |v3|, 0.5
	v_cndmask_b32_e32 v13, v14, v13, vcc
	v_mov_b32_e32 v14, 0x3c5fc5da
	v_fmac_f32_e32 v14, 0x3d1c21a7, v13
	v_fma_f32 v14, v13, v14, v8
	v_fma_f32 v14, v13, v14, v9
	v_sqrt_f32_e32 v15, v13
	v_fma_f32 v14, v13, v14, v10
	v_fma_f32 v14, v13, v14, v11
	v_mul_f32_e32 v13, v13, v14
	v_fmac_f32_e32 v15, v15, v13
	v_add_f32_e32 v14, v15, v15
	v_sub_f32_e32 v14, 0x3fc90fdb, v14
	v_fma_f32 v13, |v3|, v13, |v3|
	v_cmp_lt_f32_e64 vcc, |v3|, 0.5
	v_cndmask_b32_e32 v13, v14, v13, vcc
	v_bfi_b32 v3, s3, v13, v3
	v_bfe_u32 v13, v3, 16, 1
	v_add3_u32 v13, v3, v13, s4
	v_and_b32_e32 v13, 0xffff0000, v13
	v_cmp_o_f32_e32 vcc, v3, v3
	v_cndmask_b32_e32 v3, v17, v13, vcc
	v_or_b32_e32 v3, v7, v3
	v_lshlrev_b32_e32 v7, 16, v4
	v_fma_f32 v13, |v7|, -0.5, 0.5
	v_mul_f32_e32 v14, v7, v7
	v_cmp_ge_f32_e64 vcc, |v7|, 0.5
	v_cndmask_b32_e32 v13, v14, v13, vcc
	v_mov_b32_e32 v14, 0x3c5fc5da
	v_fmac_f32_e32 v14, 0x3d1c21a7, v13
	v_fma_f32 v14, v13, v14, v8
	v_fma_f32 v14, v13, v14, v9
	v_sqrt_f32_e32 v15, v13
	v_fma_f32 v14, v13, v14, v10
	v_fma_f32 v14, v13, v14, v11
	v_mul_f32_e32 v13, v13, v14
	v_fmac_f32_e32 v15, v15, v13
	v_add_f32_e32 v14, v15, v15
	v_sub_f32_e32 v14, 0x3fc90fdb, v14
	v_fma_f32 v13, |v7|, v13, |v7|
	v_cmp_lt_f32_e64 vcc, |v7|, 0.5
	v_cndmask_b32_e32 v13, v14, v13, vcc
	v_bfi_b32 v7, s3, v13, v7
	v_bfe_u32 v13, v7, 16, 1
	v_add3_u32 v13, v7, v13, s4
	v_lshrrev_b32_e32 v13, 16, v13
	v_cmp_o_f32_e32 vcc, v7, v7
	v_and_b32_e32 v4, 0xffff0000, v4
	v_cndmask_b32_e32 v7, v12, v13, vcc
	v_fma_f32 v12, |v4|, -0.5, 0.5
	v_mul_f32_e32 v13, v4, v4
	v_cmp_ge_f32_e64 vcc, |v4|, 0.5
	v_cndmask_b32_e32 v12, v13, v12, vcc
	v_fmac_f32_e32 v6, 0x3d1c21a7, v12
	v_fmac_f32_e32 v8, v12, v6
	;; [unrolled: 1-line block ×3, first 2 shown]
	v_sqrt_f32_e32 v6, v12
	v_fmac_f32_e32 v10, v12, v9
	v_fmac_f32_e32 v11, v12, v10
	v_mul_f32_e32 v8, v12, v11
	v_fmac_f32_e32 v6, v6, v8
	v_add_f32_e32 v6, v6, v6
	v_sub_f32_e32 v6, 0x3fc90fdb, v6
	v_fma_f32 v8, |v4|, v8, |v4|
	v_cmp_lt_f32_e64 vcc, |v4|, 0.5
	v_cndmask_b32_e32 v6, v6, v8, vcc
	v_bfi_b32 v4, s3, v6, v4
	v_bfe_u32 v6, v4, 16, 1
	v_add3_u32 v6, v4, v6, s4
	v_and_b32_e32 v6, 0xffff0000, v6
	v_cmp_o_f32_e32 vcc, v4, v4
	v_or3_b32 v1, v1, 0, 0
	v_cndmask_b32_e32 v4, v17, v6, vcc
	v_or3_b32 v4, 0, v7, v4
	v_or3_b32 v3, v3, 0, 0
	global_store_dwordx2 v5, v[1:2], s[0:1]
	global_store_dwordx2 v5, v[3:4], s[0:1] offset:2048
	s_mov_b64 s[0:1], 0
.LBB59_2:
	s_andn2_b64 vcc, exec, s[0:1]
	s_cbranch_vccnz .LBB59_41
; %bb.3:
	v_cmp_gt_i32_e64 s[0:1], s6, v0
	v_mov_b32_e32 v10, 0
	v_or_b32_e32 v1, s2, v0
	v_mov_b32_e32 v6, 0
	v_mov_b32_e32 v4, v0
	s_and_saveexec_b64 s[4:5], s[0:1]
	s_cbranch_execz .LBB59_5
; %bb.4:
	v_mov_b32_e32 v2, 0
	v_lshlrev_b64 v[2:3], 1, v[1:2]
	v_mov_b32_e32 v4, s11
	v_add_co_u32_e32 v2, vcc, s10, v2
	v_addc_co_u32_e32 v3, vcc, v4, v3, vcc
	global_load_ushort v2, v[2:3], off
	v_or_b32_e32 v4, 0x100, v0
	s_waitcnt vmcnt(0)
	v_lshlrev_b32_e32 v6, 16, v2
.LBB59_5:
	s_or_b64 exec, exec, s[4:5]
	v_cmp_gt_i32_e32 vcc, s6, v4
	s_and_saveexec_b64 s[4:5], vcc
	s_cbranch_execz .LBB59_7
; %bb.6:
	v_add_u32_e32 v2, s2, v4
	v_mov_b32_e32 v3, 0
	v_lshlrev_b64 v[2:3], 1, v[2:3]
	v_mov_b32_e32 v5, s11
	v_add_co_u32_e32 v2, vcc, s10, v2
	v_addc_co_u32_e32 v3, vcc, v5, v3, vcc
	global_load_ushort v2, v[2:3], off
	v_add_u32_e32 v4, 0x100, v4
	s_waitcnt vmcnt(0)
	v_lshlrev_b32_e32 v10, 16, v2
.LBB59_7:
	s_or_b64 exec, exec, s[4:5]
	v_cmp_gt_i32_e32 vcc, s6, v4
	v_mov_b32_e32 v8, 0
	v_mov_b32_e32 v11, 0
	s_and_saveexec_b64 s[4:5], vcc
	s_cbranch_execz .LBB59_9
; %bb.8:
	v_add_u32_e32 v2, s2, v4
	v_mov_b32_e32 v3, 0
	v_lshlrev_b64 v[2:3], 1, v[2:3]
	v_mov_b32_e32 v5, s11
	v_add_co_u32_e32 v2, vcc, s10, v2
	v_addc_co_u32_e32 v3, vcc, v5, v3, vcc
	global_load_ushort v2, v[2:3], off
	v_add_u32_e32 v4, 0x100, v4
	s_waitcnt vmcnt(0)
	v_lshlrev_b32_e32 v11, 16, v2
.LBB59_9:
	s_or_b64 exec, exec, s[4:5]
	v_cmp_gt_i32_e32 vcc, s6, v4
	s_and_saveexec_b64 s[4:5], vcc
	s_cbranch_execz .LBB59_11
; %bb.10:
	v_add_u32_e32 v2, s2, v4
	v_mov_b32_e32 v3, 0
	v_lshlrev_b64 v[2:3], 1, v[2:3]
	v_mov_b32_e32 v5, s11
	v_add_co_u32_e32 v2, vcc, s10, v2
	v_addc_co_u32_e32 v3, vcc, v5, v3, vcc
	global_load_ushort v2, v[2:3], off
	v_add_u32_e32 v4, 0x100, v4
	s_waitcnt vmcnt(0)
	v_lshlrev_b32_e32 v8, 16, v2
.LBB59_11:
	s_or_b64 exec, exec, s[4:5]
	v_cmp_gt_i32_e32 vcc, s6, v4
	v_mov_b32_e32 v3, 0
	v_mov_b32_e32 v9, 0
	s_and_saveexec_b64 s[4:5], vcc
	s_cbranch_execz .LBB59_13
; %bb.12:
	v_add_u32_e32 v12, s2, v4
	v_mov_b32_e32 v13, 0
	v_lshlrev_b64 v[12:13], 1, v[12:13]
	v_mov_b32_e32 v2, s11
	v_add_co_u32_e32 v12, vcc, s10, v12
	v_addc_co_u32_e32 v13, vcc, v2, v13, vcc
	global_load_ushort v2, v[12:13], off
	v_add_u32_e32 v4, 0x100, v4
	s_waitcnt vmcnt(0)
	v_lshlrev_b32_e32 v9, 16, v2
.LBB59_13:
	s_or_b64 exec, exec, s[4:5]
	v_cmp_gt_i32_e32 vcc, s6, v4
	s_and_saveexec_b64 s[4:5], vcc
	s_cbranch_execz .LBB59_15
; %bb.14:
	v_add_u32_e32 v2, s2, v4
	v_mov_b32_e32 v3, 0
	v_lshlrev_b64 v[2:3], 1, v[2:3]
	v_mov_b32_e32 v5, s11
	v_add_co_u32_e32 v2, vcc, s10, v2
	v_addc_co_u32_e32 v3, vcc, v5, v3, vcc
	global_load_ushort v2, v[2:3], off
	v_add_u32_e32 v4, 0x100, v4
	s_waitcnt vmcnt(0)
	v_lshlrev_b32_e32 v3, 16, v2
.LBB59_15:
	s_or_b64 exec, exec, s[4:5]
	v_cmp_gt_i32_e32 vcc, s6, v4
	v_mov_b32_e32 v2, 0
	v_mov_b32_e32 v5, 0
	s_and_saveexec_b64 s[4:5], vcc
	s_cbranch_execnz .LBB59_42
; %bb.16:
	s_or_b64 exec, exec, s[4:5]
	v_cmp_gt_i32_e32 vcc, s6, v4
	s_and_saveexec_b64 s[4:5], vcc
	s_cbranch_execnz .LBB59_43
.LBB59_17:
	s_or_b64 exec, exec, s[4:5]
                                        ; implicit-def: $vgpr4
	s_and_saveexec_b64 s[4:5], s[0:1]
	s_cbranch_execz .LBB59_19
.LBB59_18:
	v_fma_f32 v4, |v6|, -0.5, 0.5
	v_mul_f32_e32 v7, v6, v6
	v_cmp_ge_f32_e64 vcc, |v6|, 0.5
	v_cndmask_b32_e32 v4, v7, v4, vcc
	v_mov_b32_e32 v7, 0x3c5fc5da
	v_fmac_f32_e32 v7, 0x3d1c21a7, v4
	v_mov_b32_e32 v12, 0x3d034c3c
	v_fmac_f32_e32 v12, v4, v7
	;; [unrolled: 2-line block ×4, first 2 shown]
	v_sqrt_f32_e32 v7, v4
	v_mov_b32_e32 v13, 0x3e2aaaac
	v_fmac_f32_e32 v13, v4, v12
	v_mul_f32_e32 v4, v4, v13
	v_fmac_f32_e32 v7, v7, v4
	v_add_f32_e32 v7, v7, v7
	v_sub_f32_e32 v7, 0x3fc90fdb, v7
	v_fma_f32 v4, |v6|, v4, |v6|
	v_cmp_lt_f32_e64 vcc, |v6|, 0.5
	v_cndmask_b32_e32 v4, v7, v4, vcc
	s_brev_b32 s3, -2
	v_bfi_b32 v4, s3, v4, v6
	v_bfe_u32 v6, v4, 16, 1
	s_movk_i32 s3, 0x7fff
	v_add3_u32 v6, v4, v6, s3
	v_cmp_o_f32_e32 vcc, v4, v4
	v_mov_b32_e32 v4, 0x7fc0
	v_cndmask_b32_sdwa v4, v4, v6, vcc dst_sel:DWORD dst_unused:UNUSED_PAD src0_sel:DWORD src1_sel:WORD_1
.LBB59_19:
	s_or_b64 exec, exec, s[4:5]
	v_or_b32_e32 v6, 0x100, v0
	v_cmp_gt_i32_e32 vcc, s6, v6
                                        ; implicit-def: $vgpr7
	s_and_saveexec_b64 s[4:5], vcc
	s_cbranch_execz .LBB59_21
; %bb.20:
	v_fma_f32 v7, |v10|, -0.5, 0.5
	v_mul_f32_e32 v12, v10, v10
	v_cmp_ge_f32_e64 vcc, |v10|, 0.5
	v_cndmask_b32_e32 v7, v12, v7, vcc
	v_mov_b32_e32 v12, 0x3c5fc5da
	v_fmac_f32_e32 v12, 0x3d1c21a7, v7
	v_mov_b32_e32 v13, 0x3d034c3c
	v_fmac_f32_e32 v13, v7, v12
	;; [unrolled: 2-line block ×4, first 2 shown]
	v_sqrt_f32_e32 v12, v7
	v_mov_b32_e32 v14, 0x3e2aaaac
	v_fmac_f32_e32 v14, v7, v13
	v_mul_f32_e32 v7, v7, v14
	v_fmac_f32_e32 v12, v12, v7
	v_add_f32_e32 v12, v12, v12
	v_sub_f32_e32 v12, 0x3fc90fdb, v12
	v_fma_f32 v7, |v10|, v7, |v10|
	v_cmp_lt_f32_e64 vcc, |v10|, 0.5
	v_cndmask_b32_e32 v7, v12, v7, vcc
	s_brev_b32 s3, -2
	v_bfi_b32 v7, s3, v7, v10
	v_bfe_u32 v10, v7, 16, 1
	s_movk_i32 s3, 0x7fff
	v_add3_u32 v10, v7, v10, s3
	v_cmp_o_f32_e32 vcc, v7, v7
	v_mov_b32_e32 v7, 0x7fc0
	v_cndmask_b32_sdwa v7, v7, v10, vcc dst_sel:DWORD dst_unused:UNUSED_PAD src0_sel:DWORD src1_sel:WORD_1
.LBB59_21:
	s_or_b64 exec, exec, s[4:5]
	v_or_b32_e32 v10, 0x200, v0
	v_cmp_gt_i32_e32 vcc, s6, v10
                                        ; implicit-def: $vgpr10
	s_and_saveexec_b64 s[4:5], vcc
	s_cbranch_execz .LBB59_23
; %bb.22:
	v_fma_f32 v10, |v11|, -0.5, 0.5
	v_mul_f32_e32 v12, v11, v11
	v_cmp_ge_f32_e64 vcc, |v11|, 0.5
	v_cndmask_b32_e32 v10, v12, v10, vcc
	v_mov_b32_e32 v12, 0x3c5fc5da
	v_fmac_f32_e32 v12, 0x3d1c21a7, v10
	v_mov_b32_e32 v13, 0x3d034c3c
	v_fmac_f32_e32 v13, v10, v12
	;; [unrolled: 2-line block ×4, first 2 shown]
	v_sqrt_f32_e32 v12, v10
	v_mov_b32_e32 v14, 0x3e2aaaac
	v_fmac_f32_e32 v14, v10, v13
	v_mul_f32_e32 v10, v10, v14
	v_fmac_f32_e32 v12, v12, v10
	v_add_f32_e32 v12, v12, v12
	v_sub_f32_e32 v12, 0x3fc90fdb, v12
	v_fma_f32 v10, |v11|, v10, |v11|
	v_cmp_lt_f32_e64 vcc, |v11|, 0.5
	v_cndmask_b32_e32 v10, v12, v10, vcc
	s_brev_b32 s3, -2
	v_bfi_b32 v10, s3, v10, v11
	v_bfe_u32 v11, v10, 16, 1
	s_movk_i32 s3, 0x7fff
	v_add3_u32 v11, v10, v11, s3
	v_cmp_o_f32_e32 vcc, v10, v10
	v_mov_b32_e32 v10, 0x7fc0
	v_cndmask_b32_sdwa v10, v10, v11, vcc dst_sel:DWORD dst_unused:UNUSED_PAD src0_sel:DWORD src1_sel:WORD_1
.LBB59_23:
	s_or_b64 exec, exec, s[4:5]
	v_or_b32_e32 v11, 0x300, v0
	v_cmp_gt_i32_e32 vcc, s6, v11
                                        ; implicit-def: $vgpr11
	s_and_saveexec_b64 s[4:5], vcc
	s_cbranch_execz .LBB59_25
; %bb.24:
	v_fma_f32 v11, |v8|, -0.5, 0.5
	v_mul_f32_e32 v12, v8, v8
	v_cmp_ge_f32_e64 vcc, |v8|, 0.5
	v_cndmask_b32_e32 v11, v12, v11, vcc
	v_mov_b32_e32 v12, 0x3c5fc5da
	v_fmac_f32_e32 v12, 0x3d1c21a7, v11
	v_mov_b32_e32 v13, 0x3d034c3c
	v_fmac_f32_e32 v13, v11, v12
	;; [unrolled: 2-line block ×4, first 2 shown]
	v_sqrt_f32_e32 v12, v11
	v_mov_b32_e32 v14, 0x3e2aaaac
	v_fmac_f32_e32 v14, v11, v13
	v_mul_f32_e32 v11, v11, v14
	v_fmac_f32_e32 v12, v12, v11
	v_add_f32_e32 v12, v12, v12
	v_sub_f32_e32 v12, 0x3fc90fdb, v12
	v_fma_f32 v11, |v8|, v11, |v8|
	v_cmp_lt_f32_e64 vcc, |v8|, 0.5
	v_cndmask_b32_e32 v11, v12, v11, vcc
	s_brev_b32 s3, -2
	v_bfi_b32 v8, s3, v11, v8
	v_bfe_u32 v11, v8, 16, 1
	s_movk_i32 s3, 0x7fff
	v_add3_u32 v11, v8, v11, s3
	v_cmp_o_f32_e32 vcc, v8, v8
	v_mov_b32_e32 v8, 0x7fc0
	v_cndmask_b32_sdwa v11, v8, v11, vcc dst_sel:DWORD dst_unused:UNUSED_PAD src0_sel:DWORD src1_sel:WORD_1
.LBB59_25:
	s_or_b64 exec, exec, s[4:5]
	v_or_b32_e32 v8, 0x400, v0
	v_cmp_gt_i32_e32 vcc, s6, v8
                                        ; implicit-def: $vgpr8
	s_and_saveexec_b64 s[4:5], vcc
	s_cbranch_execz .LBB59_27
; %bb.26:
	v_fma_f32 v8, |v9|, -0.5, 0.5
	v_mul_f32_e32 v12, v9, v9
	v_cmp_ge_f32_e64 vcc, |v9|, 0.5
	v_cndmask_b32_e32 v8, v12, v8, vcc
	v_mov_b32_e32 v12, 0x3c5fc5da
	v_fmac_f32_e32 v12, 0x3d1c21a7, v8
	v_mov_b32_e32 v13, 0x3d034c3c
	v_fmac_f32_e32 v13, v8, v12
	;; [unrolled: 2-line block ×4, first 2 shown]
	v_sqrt_f32_e32 v12, v8
	v_mov_b32_e32 v14, 0x3e2aaaac
	v_fmac_f32_e32 v14, v8, v13
	v_mul_f32_e32 v8, v8, v14
	v_fmac_f32_e32 v12, v12, v8
	v_add_f32_e32 v12, v12, v12
	v_sub_f32_e32 v12, 0x3fc90fdb, v12
	v_fma_f32 v8, |v9|, v8, |v9|
	v_cmp_lt_f32_e64 vcc, |v9|, 0.5
	v_cndmask_b32_e32 v8, v12, v8, vcc
	s_brev_b32 s3, -2
	v_bfi_b32 v8, s3, v8, v9
	v_bfe_u32 v9, v8, 16, 1
	s_movk_i32 s3, 0x7fff
	v_add3_u32 v9, v8, v9, s3
	v_cmp_o_f32_e32 vcc, v8, v8
	v_mov_b32_e32 v8, 0x7fc0
	v_cndmask_b32_sdwa v8, v8, v9, vcc dst_sel:DWORD dst_unused:UNUSED_PAD src0_sel:DWORD src1_sel:WORD_1
.LBB59_27:
	s_or_b64 exec, exec, s[4:5]
	v_or_b32_e32 v9, 0x500, v0
	v_cmp_gt_i32_e32 vcc, s6, v9
                                        ; implicit-def: $vgpr9
	s_and_saveexec_b64 s[4:5], vcc
	s_cbranch_execz .LBB59_29
; %bb.28:
	v_fma_f32 v9, |v3|, -0.5, 0.5
	v_mul_f32_e32 v12, v3, v3
	v_cmp_ge_f32_e64 vcc, |v3|, 0.5
	v_cndmask_b32_e32 v9, v12, v9, vcc
	v_mov_b32_e32 v12, 0x3c5fc5da
	v_fmac_f32_e32 v12, 0x3d1c21a7, v9
	v_mov_b32_e32 v13, 0x3d034c3c
	v_fmac_f32_e32 v13, v9, v12
	;; [unrolled: 2-line block ×4, first 2 shown]
	v_sqrt_f32_e32 v12, v9
	v_mov_b32_e32 v14, 0x3e2aaaac
	v_fmac_f32_e32 v14, v9, v13
	v_mul_f32_e32 v9, v9, v14
	v_fmac_f32_e32 v12, v12, v9
	v_add_f32_e32 v12, v12, v12
	v_sub_f32_e32 v12, 0x3fc90fdb, v12
	v_fma_f32 v9, |v3|, v9, |v3|
	v_cmp_lt_f32_e64 vcc, |v3|, 0.5
	v_cndmask_b32_e32 v9, v12, v9, vcc
	s_brev_b32 s3, -2
	v_bfi_b32 v3, s3, v9, v3
	v_bfe_u32 v9, v3, 16, 1
	s_movk_i32 s3, 0x7fff
	v_add3_u32 v9, v3, v9, s3
	v_cmp_o_f32_e32 vcc, v3, v3
	v_mov_b32_e32 v3, 0x7fc0
	v_cndmask_b32_sdwa v9, v3, v9, vcc dst_sel:DWORD dst_unused:UNUSED_PAD src0_sel:DWORD src1_sel:WORD_1
.LBB59_29:
	s_or_b64 exec, exec, s[4:5]
	v_or_b32_e32 v3, 0x600, v0
	v_cmp_gt_i32_e32 vcc, s6, v3
                                        ; implicit-def: $vgpr3
	s_and_saveexec_b64 s[4:5], vcc
	s_cbranch_execz .LBB59_31
; %bb.30:
	v_fma_f32 v3, |v5|, -0.5, 0.5
	v_mul_f32_e32 v12, v5, v5
	v_cmp_ge_f32_e64 vcc, |v5|, 0.5
	v_cndmask_b32_e32 v3, v12, v3, vcc
	v_mov_b32_e32 v12, 0x3c5fc5da
	v_fmac_f32_e32 v12, 0x3d1c21a7, v3
	v_mov_b32_e32 v13, 0x3d034c3c
	v_fmac_f32_e32 v13, v3, v12
	;; [unrolled: 2-line block ×4, first 2 shown]
	v_sqrt_f32_e32 v12, v3
	v_mov_b32_e32 v14, 0x3e2aaaac
	v_fmac_f32_e32 v14, v3, v13
	v_mul_f32_e32 v3, v3, v14
	v_fmac_f32_e32 v12, v12, v3
	v_add_f32_e32 v12, v12, v12
	v_sub_f32_e32 v12, 0x3fc90fdb, v12
	v_fma_f32 v3, |v5|, v3, |v5|
	v_cmp_lt_f32_e64 vcc, |v5|, 0.5
	v_cndmask_b32_e32 v3, v12, v3, vcc
	s_brev_b32 s3, -2
	v_bfi_b32 v3, s3, v3, v5
	v_bfe_u32 v5, v3, 16, 1
	s_movk_i32 s3, 0x7fff
	v_add3_u32 v5, v3, v5, s3
	v_cmp_o_f32_e32 vcc, v3, v3
	v_mov_b32_e32 v3, 0x7fc0
	v_cndmask_b32_sdwa v3, v3, v5, vcc dst_sel:DWORD dst_unused:UNUSED_PAD src0_sel:DWORD src1_sel:WORD_1
.LBB59_31:
	s_or_b64 exec, exec, s[4:5]
	v_or_b32_e32 v5, 0x700, v0
	v_cmp_gt_i32_e32 vcc, s6, v5
                                        ; implicit-def: $vgpr5
	s_and_saveexec_b64 s[4:5], vcc
	s_cbranch_execnz .LBB59_44
; %bb.32:
	s_or_b64 exec, exec, s[4:5]
	s_and_saveexec_b64 s[4:5], s[0:1]
	s_xor_b64 s[0:1], exec, s[4:5]
	s_cbranch_execnz .LBB59_45
.LBB59_33:
	s_or_b64 exec, exec, s[0:1]
	v_cmp_gt_i32_e32 vcc, s6, v0
	s_and_saveexec_b64 s[0:1], vcc
	s_cbranch_execnz .LBB59_46
.LBB59_34:
	s_or_b64 exec, exec, s[0:1]
	v_cmp_gt_i32_e32 vcc, s6, v0
	s_and_saveexec_b64 s[0:1], vcc
	s_cbranch_execnz .LBB59_47
.LBB59_35:
	s_or_b64 exec, exec, s[0:1]
	v_cmp_gt_i32_e32 vcc, s6, v0
	s_and_saveexec_b64 s[0:1], vcc
	s_cbranch_execnz .LBB59_48
.LBB59_36:
	s_or_b64 exec, exec, s[0:1]
	v_cmp_gt_i32_e32 vcc, s6, v0
	s_and_saveexec_b64 s[0:1], vcc
	s_cbranch_execnz .LBB59_49
.LBB59_37:
	s_or_b64 exec, exec, s[0:1]
	v_cmp_gt_i32_e32 vcc, s6, v0
	s_and_saveexec_b64 s[0:1], vcc
	s_cbranch_execnz .LBB59_50
.LBB59_38:
	s_or_b64 exec, exec, s[0:1]
	v_cmp_gt_i32_e32 vcc, s6, v0
	s_and_saveexec_b64 s[0:1], vcc
	s_cbranch_execnz .LBB59_51
.LBB59_39:
	s_or_b64 exec, exec, s[0:1]
	v_cmp_gt_i32_e32 vcc, s6, v0
	s_and_saveexec_b64 s[0:1], vcc
	s_cbranch_execz .LBB59_41
.LBB59_40:
	v_add_u32_e32 v0, s2, v0
	v_mov_b32_e32 v1, 0
	v_lshlrev_b64 v[0:1], 1, v[0:1]
	v_mov_b32_e32 v2, s9
	v_add_co_u32_e32 v0, vcc, s8, v0
	v_addc_co_u32_e32 v1, vcc, v2, v1, vcc
	global_store_short v[0:1], v5, off
.LBB59_41:
	s_endpgm
.LBB59_42:
	v_add_u32_e32 v12, s2, v4
	v_mov_b32_e32 v13, 0
	v_lshlrev_b64 v[12:13], 1, v[12:13]
	v_mov_b32_e32 v5, s11
	v_add_co_u32_e32 v12, vcc, s10, v12
	v_addc_co_u32_e32 v13, vcc, v5, v13, vcc
	global_load_ushort v5, v[12:13], off
	v_add_u32_e32 v4, 0x100, v4
	s_waitcnt vmcnt(0)
	v_lshlrev_b32_e32 v5, 16, v5
	s_or_b64 exec, exec, s[4:5]
	v_cmp_gt_i32_e32 vcc, s6, v4
	s_and_saveexec_b64 s[4:5], vcc
	s_cbranch_execz .LBB59_17
.LBB59_43:
	v_add_u32_e32 v12, s2, v4
	v_mov_b32_e32 v13, 0
	v_lshlrev_b64 v[12:13], 1, v[12:13]
	v_mov_b32_e32 v2, s11
	v_add_co_u32_e32 v12, vcc, s10, v12
	v_addc_co_u32_e32 v13, vcc, v2, v13, vcc
	global_load_ushort v2, v[12:13], off
	s_waitcnt vmcnt(0)
	v_lshlrev_b32_e32 v2, 16, v2
	s_or_b64 exec, exec, s[4:5]
                                        ; implicit-def: $vgpr4
	s_and_saveexec_b64 s[4:5], s[0:1]
	s_cbranch_execnz .LBB59_18
	s_branch .LBB59_19
.LBB59_44:
	v_fma_f32 v5, |v2|, -0.5, 0.5
	v_mul_f32_e32 v12, v2, v2
	v_cmp_ge_f32_e64 vcc, |v2|, 0.5
	v_cndmask_b32_e32 v5, v12, v5, vcc
	v_mov_b32_e32 v12, 0x3c5fc5da
	v_fmac_f32_e32 v12, 0x3d1c21a7, v5
	v_mov_b32_e32 v13, 0x3d034c3c
	v_fmac_f32_e32 v13, v5, v12
	;; [unrolled: 2-line block ×4, first 2 shown]
	v_sqrt_f32_e32 v12, v5
	v_mov_b32_e32 v14, 0x3e2aaaac
	v_fmac_f32_e32 v14, v5, v13
	v_mul_f32_e32 v5, v5, v14
	v_fmac_f32_e32 v12, v12, v5
	v_add_f32_e32 v12, v12, v12
	v_sub_f32_e32 v12, 0x3fc90fdb, v12
	v_fma_f32 v5, |v2|, v5, |v2|
	v_cmp_lt_f32_e64 vcc, |v2|, 0.5
	v_cndmask_b32_e32 v5, v12, v5, vcc
	s_brev_b32 s3, -2
	v_bfi_b32 v2, s3, v5, v2
	v_bfe_u32 v5, v2, 16, 1
	s_movk_i32 s3, 0x7fff
	v_add3_u32 v5, v2, v5, s3
	v_cmp_o_f32_e32 vcc, v2, v2
	v_mov_b32_e32 v2, 0x7fc0
	v_cndmask_b32_sdwa v5, v2, v5, vcc dst_sel:DWORD dst_unused:UNUSED_PAD src0_sel:DWORD src1_sel:WORD_1
	s_or_b64 exec, exec, s[4:5]
	s_and_saveexec_b64 s[4:5], s[0:1]
	s_xor_b64 s[0:1], exec, s[4:5]
	s_cbranch_execz .LBB59_33
.LBB59_45:
	v_mov_b32_e32 v2, 0
	v_lshlrev_b64 v[0:1], 1, v[1:2]
	v_mov_b32_e32 v2, s9
	v_add_co_u32_e32 v0, vcc, s8, v0
	v_addc_co_u32_e32 v1, vcc, v2, v1, vcc
	global_store_short v[0:1], v4, off
	v_mov_b32_e32 v0, v6
	s_or_b64 exec, exec, s[0:1]
	v_cmp_gt_i32_e32 vcc, s6, v0
	s_and_saveexec_b64 s[0:1], vcc
	s_cbranch_execz .LBB59_34
.LBB59_46:
	v_add_u32_e32 v1, s2, v0
	v_mov_b32_e32 v2, 0
	v_lshlrev_b64 v[1:2], 1, v[1:2]
	v_mov_b32_e32 v4, s9
	v_add_co_u32_e32 v1, vcc, s8, v1
	v_addc_co_u32_e32 v2, vcc, v4, v2, vcc
	v_add_u32_e32 v0, 0x100, v0
	global_store_short v[1:2], v7, off
	s_or_b64 exec, exec, s[0:1]
	v_cmp_gt_i32_e32 vcc, s6, v0
	s_and_saveexec_b64 s[0:1], vcc
	s_cbranch_execz .LBB59_35
.LBB59_47:
	v_add_u32_e32 v1, s2, v0
	v_mov_b32_e32 v2, 0
	v_lshlrev_b64 v[1:2], 1, v[1:2]
	v_mov_b32_e32 v4, s9
	v_add_co_u32_e32 v1, vcc, s8, v1
	v_addc_co_u32_e32 v2, vcc, v4, v2, vcc
	v_add_u32_e32 v0, 0x100, v0
	global_store_short v[1:2], v10, off
	s_or_b64 exec, exec, s[0:1]
	v_cmp_gt_i32_e32 vcc, s6, v0
	s_and_saveexec_b64 s[0:1], vcc
	s_cbranch_execz .LBB59_36
.LBB59_48:
	v_add_u32_e32 v1, s2, v0
	v_mov_b32_e32 v2, 0
	v_lshlrev_b64 v[1:2], 1, v[1:2]
	v_mov_b32_e32 v4, s9
	v_add_co_u32_e32 v1, vcc, s8, v1
	v_addc_co_u32_e32 v2, vcc, v4, v2, vcc
	v_add_u32_e32 v0, 0x100, v0
	global_store_short v[1:2], v11, off
	s_or_b64 exec, exec, s[0:1]
	v_cmp_gt_i32_e32 vcc, s6, v0
	s_and_saveexec_b64 s[0:1], vcc
	s_cbranch_execz .LBB59_37
.LBB59_49:
	v_add_u32_e32 v1, s2, v0
	v_mov_b32_e32 v2, 0
	v_lshlrev_b64 v[1:2], 1, v[1:2]
	v_mov_b32_e32 v4, s9
	v_add_co_u32_e32 v1, vcc, s8, v1
	v_addc_co_u32_e32 v2, vcc, v4, v2, vcc
	v_add_u32_e32 v0, 0x100, v0
	global_store_short v[1:2], v8, off
	s_or_b64 exec, exec, s[0:1]
	v_cmp_gt_i32_e32 vcc, s6, v0
	s_and_saveexec_b64 s[0:1], vcc
	s_cbranch_execz .LBB59_38
.LBB59_50:
	v_add_u32_e32 v1, s2, v0
	v_mov_b32_e32 v2, 0
	v_lshlrev_b64 v[1:2], 1, v[1:2]
	v_mov_b32_e32 v4, s9
	v_add_co_u32_e32 v1, vcc, s8, v1
	v_addc_co_u32_e32 v2, vcc, v4, v2, vcc
	v_add_u32_e32 v0, 0x100, v0
	global_store_short v[1:2], v9, off
	s_or_b64 exec, exec, s[0:1]
	v_cmp_gt_i32_e32 vcc, s6, v0
	s_and_saveexec_b64 s[0:1], vcc
	s_cbranch_execz .LBB59_39
.LBB59_51:
	v_add_u32_e32 v1, s2, v0
	v_mov_b32_e32 v2, 0
	v_lshlrev_b64 v[1:2], 1, v[1:2]
	v_mov_b32_e32 v4, s9
	v_add_co_u32_e32 v1, vcc, s8, v1
	v_addc_co_u32_e32 v2, vcc, v4, v2, vcc
	v_add_u32_e32 v0, 0x100, v0
	global_store_short v[1:2], v3, off
	s_or_b64 exec, exec, s[0:1]
	v_cmp_gt_i32_e32 vcc, s6, v0
	s_and_saveexec_b64 s[0:1], vcc
	s_cbranch_execnz .LBB59_40
	s_branch .LBB59_41
	.section	.rodata,"a",@progbits
	.p2align	6, 0x0
	.amdhsa_kernel _ZN2at6native29vectorized_elementwise_kernelILi4EZZZNS0_16asin_kernel_cudaERNS_18TensorIteratorBaseEENKUlvE0_clEvENKUlvE2_clEvEUlN3c108BFloat16EE_St5arrayIPcLm2EEEEviT0_T1_
		.amdhsa_group_segment_fixed_size 0
		.amdhsa_private_segment_fixed_size 0
		.amdhsa_kernarg_size 24
		.amdhsa_user_sgpr_count 6
		.amdhsa_user_sgpr_private_segment_buffer 1
		.amdhsa_user_sgpr_dispatch_ptr 0
		.amdhsa_user_sgpr_queue_ptr 0
		.amdhsa_user_sgpr_kernarg_segment_ptr 1
		.amdhsa_user_sgpr_dispatch_id 0
		.amdhsa_user_sgpr_flat_scratch_init 0
		.amdhsa_user_sgpr_private_segment_size 0
		.amdhsa_uses_dynamic_stack 0
		.amdhsa_system_sgpr_private_segment_wavefront_offset 0
		.amdhsa_system_sgpr_workgroup_id_x 1
		.amdhsa_system_sgpr_workgroup_id_y 0
		.amdhsa_system_sgpr_workgroup_id_z 0
		.amdhsa_system_sgpr_workgroup_info 0
		.amdhsa_system_vgpr_workitem_id 0
		.amdhsa_next_free_vgpr 20
		.amdhsa_next_free_sgpr 14
		.amdhsa_reserve_vcc 1
		.amdhsa_reserve_flat_scratch 0
		.amdhsa_float_round_mode_32 0
		.amdhsa_float_round_mode_16_64 0
		.amdhsa_float_denorm_mode_32 3
		.amdhsa_float_denorm_mode_16_64 3
		.amdhsa_dx10_clamp 1
		.amdhsa_ieee_mode 1
		.amdhsa_fp16_overflow 0
		.amdhsa_exception_fp_ieee_invalid_op 0
		.amdhsa_exception_fp_denorm_src 0
		.amdhsa_exception_fp_ieee_div_zero 0
		.amdhsa_exception_fp_ieee_overflow 0
		.amdhsa_exception_fp_ieee_underflow 0
		.amdhsa_exception_fp_ieee_inexact 0
		.amdhsa_exception_int_div_zero 0
	.end_amdhsa_kernel
	.section	.text._ZN2at6native29vectorized_elementwise_kernelILi4EZZZNS0_16asin_kernel_cudaERNS_18TensorIteratorBaseEENKUlvE0_clEvENKUlvE2_clEvEUlN3c108BFloat16EE_St5arrayIPcLm2EEEEviT0_T1_,"axG",@progbits,_ZN2at6native29vectorized_elementwise_kernelILi4EZZZNS0_16asin_kernel_cudaERNS_18TensorIteratorBaseEENKUlvE0_clEvENKUlvE2_clEvEUlN3c108BFloat16EE_St5arrayIPcLm2EEEEviT0_T1_,comdat
.Lfunc_end59:
	.size	_ZN2at6native29vectorized_elementwise_kernelILi4EZZZNS0_16asin_kernel_cudaERNS_18TensorIteratorBaseEENKUlvE0_clEvENKUlvE2_clEvEUlN3c108BFloat16EE_St5arrayIPcLm2EEEEviT0_T1_, .Lfunc_end59-_ZN2at6native29vectorized_elementwise_kernelILi4EZZZNS0_16asin_kernel_cudaERNS_18TensorIteratorBaseEENKUlvE0_clEvENKUlvE2_clEvEUlN3c108BFloat16EE_St5arrayIPcLm2EEEEviT0_T1_
                                        ; -- End function
	.set _ZN2at6native29vectorized_elementwise_kernelILi4EZZZNS0_16asin_kernel_cudaERNS_18TensorIteratorBaseEENKUlvE0_clEvENKUlvE2_clEvEUlN3c108BFloat16EE_St5arrayIPcLm2EEEEviT0_T1_.num_vgpr, 20
	.set _ZN2at6native29vectorized_elementwise_kernelILi4EZZZNS0_16asin_kernel_cudaERNS_18TensorIteratorBaseEENKUlvE0_clEvENKUlvE2_clEvEUlN3c108BFloat16EE_St5arrayIPcLm2EEEEviT0_T1_.num_agpr, 0
	.set _ZN2at6native29vectorized_elementwise_kernelILi4EZZZNS0_16asin_kernel_cudaERNS_18TensorIteratorBaseEENKUlvE0_clEvENKUlvE2_clEvEUlN3c108BFloat16EE_St5arrayIPcLm2EEEEviT0_T1_.numbered_sgpr, 14
	.set _ZN2at6native29vectorized_elementwise_kernelILi4EZZZNS0_16asin_kernel_cudaERNS_18TensorIteratorBaseEENKUlvE0_clEvENKUlvE2_clEvEUlN3c108BFloat16EE_St5arrayIPcLm2EEEEviT0_T1_.num_named_barrier, 0
	.set _ZN2at6native29vectorized_elementwise_kernelILi4EZZZNS0_16asin_kernel_cudaERNS_18TensorIteratorBaseEENKUlvE0_clEvENKUlvE2_clEvEUlN3c108BFloat16EE_St5arrayIPcLm2EEEEviT0_T1_.private_seg_size, 0
	.set _ZN2at6native29vectorized_elementwise_kernelILi4EZZZNS0_16asin_kernel_cudaERNS_18TensorIteratorBaseEENKUlvE0_clEvENKUlvE2_clEvEUlN3c108BFloat16EE_St5arrayIPcLm2EEEEviT0_T1_.uses_vcc, 1
	.set _ZN2at6native29vectorized_elementwise_kernelILi4EZZZNS0_16asin_kernel_cudaERNS_18TensorIteratorBaseEENKUlvE0_clEvENKUlvE2_clEvEUlN3c108BFloat16EE_St5arrayIPcLm2EEEEviT0_T1_.uses_flat_scratch, 0
	.set _ZN2at6native29vectorized_elementwise_kernelILi4EZZZNS0_16asin_kernel_cudaERNS_18TensorIteratorBaseEENKUlvE0_clEvENKUlvE2_clEvEUlN3c108BFloat16EE_St5arrayIPcLm2EEEEviT0_T1_.has_dyn_sized_stack, 0
	.set _ZN2at6native29vectorized_elementwise_kernelILi4EZZZNS0_16asin_kernel_cudaERNS_18TensorIteratorBaseEENKUlvE0_clEvENKUlvE2_clEvEUlN3c108BFloat16EE_St5arrayIPcLm2EEEEviT0_T1_.has_recursion, 0
	.set _ZN2at6native29vectorized_elementwise_kernelILi4EZZZNS0_16asin_kernel_cudaERNS_18TensorIteratorBaseEENKUlvE0_clEvENKUlvE2_clEvEUlN3c108BFloat16EE_St5arrayIPcLm2EEEEviT0_T1_.has_indirect_call, 0
	.section	.AMDGPU.csdata,"",@progbits
; Kernel info:
; codeLenInByte = 4336
; TotalNumSgprs: 18
; NumVgprs: 20
; ScratchSize: 0
; MemoryBound: 0
; FloatMode: 240
; IeeeMode: 1
; LDSByteSize: 0 bytes/workgroup (compile time only)
; SGPRBlocks: 2
; VGPRBlocks: 4
; NumSGPRsForWavesPerEU: 18
; NumVGPRsForWavesPerEU: 20
; Occupancy: 10
; WaveLimiterHint : 1
; COMPUTE_PGM_RSRC2:SCRATCH_EN: 0
; COMPUTE_PGM_RSRC2:USER_SGPR: 6
; COMPUTE_PGM_RSRC2:TRAP_HANDLER: 0
; COMPUTE_PGM_RSRC2:TGID_X_EN: 1
; COMPUTE_PGM_RSRC2:TGID_Y_EN: 0
; COMPUTE_PGM_RSRC2:TGID_Z_EN: 0
; COMPUTE_PGM_RSRC2:TIDIG_COMP_CNT: 0
	.section	.text._ZN2at6native29vectorized_elementwise_kernelILi2EZZZNS0_16asin_kernel_cudaERNS_18TensorIteratorBaseEENKUlvE0_clEvENKUlvE2_clEvEUlN3c108BFloat16EE_St5arrayIPcLm2EEEEviT0_T1_,"axG",@progbits,_ZN2at6native29vectorized_elementwise_kernelILi2EZZZNS0_16asin_kernel_cudaERNS_18TensorIteratorBaseEENKUlvE0_clEvENKUlvE2_clEvEUlN3c108BFloat16EE_St5arrayIPcLm2EEEEviT0_T1_,comdat
	.globl	_ZN2at6native29vectorized_elementwise_kernelILi2EZZZNS0_16asin_kernel_cudaERNS_18TensorIteratorBaseEENKUlvE0_clEvENKUlvE2_clEvEUlN3c108BFloat16EE_St5arrayIPcLm2EEEEviT0_T1_ ; -- Begin function _ZN2at6native29vectorized_elementwise_kernelILi2EZZZNS0_16asin_kernel_cudaERNS_18TensorIteratorBaseEENKUlvE0_clEvENKUlvE2_clEvEUlN3c108BFloat16EE_St5arrayIPcLm2EEEEviT0_T1_
	.p2align	8
	.type	_ZN2at6native29vectorized_elementwise_kernelILi2EZZZNS0_16asin_kernel_cudaERNS_18TensorIteratorBaseEENKUlvE0_clEvENKUlvE2_clEvEUlN3c108BFloat16EE_St5arrayIPcLm2EEEEviT0_T1_,@function
_ZN2at6native29vectorized_elementwise_kernelILi2EZZZNS0_16asin_kernel_cudaERNS_18TensorIteratorBaseEENKUlvE0_clEvENKUlvE2_clEvEUlN3c108BFloat16EE_St5arrayIPcLm2EEEEviT0_T1_: ; @_ZN2at6native29vectorized_elementwise_kernelILi2EZZZNS0_16asin_kernel_cudaERNS_18TensorIteratorBaseEENKUlvE0_clEvENKUlvE2_clEvEUlN3c108BFloat16EE_St5arrayIPcLm2EEEEviT0_T1_
; %bb.0:
	s_load_dword s0, s[4:5], 0x0
	s_load_dwordx4 s[8:11], s[4:5], 0x8
	s_lshl_b32 s2, s6, 11
	s_waitcnt lgkmcnt(0)
	s_sub_i32 s6, s0, s2
	s_cmpk_gt_i32 s6, 0x7ff
	s_mov_b64 s[0:1], -1
	s_cbranch_scc0 .LBB60_2
; %bb.1:
	s_ashr_i32 s3, s2, 31
	s_lshl_b64 s[0:1], s[2:3], 1
	s_add_u32 s12, s10, s0
	s_addc_u32 s13, s11, s1
	v_lshlrev_b32_e32 v1, 2, v0
	global_load_dword v2, v1, s[12:13]
	global_load_dword v3, v1, s[12:13] offset:1024
	global_load_dword v11, v1, s[12:13] offset:2048
	;; [unrolled: 1-line block ×3, first 2 shown]
	v_mov_b32_e32 v5, 0x3c5fc5da
	v_mov_b32_e32 v6, 0x3d034c3c
	;; [unrolled: 1-line block ×5, first 2 shown]
	s_brev_b32 s3, -2
	s_movk_i32 s4, 0x7fff
	v_mov_b32_e32 v10, 0x7fc0
	v_mov_b32_e32 v4, 0x3c5fc5da
	s_add_u32 s0, s8, s0
	s_addc_u32 s1, s9, s1
	s_waitcnt vmcnt(3)
	v_lshlrev_b32_e32 v13, 16, v2
	v_and_b32_e32 v2, 0xffff0000, v2
	v_fma_f32 v15, |v13|, -0.5, 0.5
	v_mul_f32_e32 v16, v13, v13
	v_cmp_ge_f32_e64 vcc, |v13|, 0.5
	s_waitcnt vmcnt(2)
	v_lshlrev_b32_e32 v14, 16, v3
	v_fma_f32 v17, |v2|, -0.5, 0.5
	v_mul_f32_e32 v18, v2, v2
	v_cndmask_b32_e32 v15, v16, v15, vcc
	v_cmp_ge_f32_e64 vcc, |v2|, 0.5
	v_and_b32_e32 v3, 0xffff0000, v3
	v_fma_f32 v19, |v14|, -0.5, 0.5
	v_mul_f32_e32 v16, v14, v14
	v_cndmask_b32_e32 v17, v18, v17, vcc
	v_cmp_ge_f32_e64 vcc, |v14|, 0.5
	v_fmac_f32_e32 v5, 0x3d1c21a7, v15
	v_fma_f32 v18, |v3|, -0.5, 0.5
	v_cndmask_b32_e32 v16, v16, v19, vcc
	v_mul_f32_e32 v19, v3, v3
	v_cmp_ge_f32_e64 vcc, |v3|, 0.5
	v_fma_f32 v5, v15, v5, v6
	v_cndmask_b32_e32 v18, v19, v18, vcc
	v_sqrt_f32_e32 v19, v15
	v_fma_f32 v5, v15, v5, v7
	v_fma_f32 v5, v15, v5, v8
	;; [unrolled: 1-line block ×3, first 2 shown]
	v_mul_f32_e32 v5, v15, v5
	v_fmac_f32_e32 v19, v19, v5
	v_add_f32_e32 v19, v19, v19
	v_mov_b32_e32 v15, 0x3c5fc5da
	v_fma_f32 v5, |v13|, v5, |v13|
	v_sub_f32_e32 v19, 0x3fc90fdb, v19
	v_cmp_lt_f32_e64 vcc, |v13|, 0.5
	v_cndmask_b32_e32 v5, v19, v5, vcc
	v_mov_b32_e32 v19, 0x3c5fc5da
	v_fmac_f32_e32 v15, 0x3d1c21a7, v17
	v_fma_f32 v15, v17, v15, v6
	v_fmac_f32_e32 v19, 0x3d1c21a7, v16
	v_fma_f32 v15, v17, v15, v7
	v_fma_f32 v19, v16, v19, v6
	;; [unrolled: 1-line block ×6, first 2 shown]
	v_mul_f32_e32 v15, v17, v15
	v_sqrt_f32_e32 v17, v17
	v_fma_f32 v19, v16, v19, v9
	v_mul_f32_e32 v19, v16, v19
	v_sqrt_f32_e32 v16, v16
	v_fmac_f32_e32 v17, v17, v15
	v_add_f32_e32 v17, v17, v17
	v_fma_f32 v15, |v2|, v15, |v2|
	v_fmac_f32_e32 v16, v16, v19
	v_sub_f32_e32 v17, 0x3fc90fdb, v17
	v_cmp_lt_f32_e64 vcc, |v2|, 0.5
	v_add_f32_e32 v16, v16, v16
	v_cndmask_b32_e32 v15, v17, v15, vcc
	v_fma_f32 v19, |v14|, v19, |v14|
	v_sub_f32_e32 v16, 0x3fc90fdb, v16
	v_cmp_lt_f32_e64 vcc, |v14|, 0.5
	v_cndmask_b32_e32 v16, v16, v19, vcc
	v_bfi_b32 v5, s3, v5, v13
	v_bfi_b32 v2, s3, v15, v2
	;; [unrolled: 1-line block ×3, first 2 shown]
	v_bfe_u32 v14, v5, 16, 1
	v_bfe_u32 v15, v2, 16, 1
	v_add3_u32 v14, v5, v14, s4
	v_mov_b32_e32 v19, 0x3c5fc5da
	v_add3_u32 v15, v2, v15, s4
	v_lshrrev_b32_e32 v14, 16, v14
	v_cmp_o_f32_e32 vcc, v5, v5
	v_mov_b32_e32 v17, 0x7fc00000
	v_fmac_f32_e32 v19, 0x3d1c21a7, v18
	v_and_b32_e32 v15, 0xffff0000, v15
	v_cndmask_b32_e32 v5, v10, v14, vcc
	v_cmp_o_f32_e32 vcc, v2, v2
	v_fma_f32 v19, v18, v19, v6
	v_cndmask_b32_e32 v2, v17, v15, vcc
	v_fma_f32 v19, v18, v19, v7
	v_or_b32_e32 v2, v5, v2
	v_sqrt_f32_e32 v5, v18
	v_fma_f32 v14, v18, v19, v8
	v_fma_f32 v14, v18, v14, v9
	v_bfe_u32 v16, v13, 16, 1
	v_mul_f32_e32 v14, v18, v14
	v_add3_u32 v16, v13, v16, s4
	v_fmac_f32_e32 v5, v5, v14
	v_lshrrev_b32_e32 v16, 16, v16
	v_cmp_o_f32_e32 vcc, v13, v13
	v_add_f32_e32 v5, v5, v5
	v_cndmask_b32_e32 v13, v10, v16, vcc
	v_sub_f32_e32 v5, 0x3fc90fdb, v5
	v_fma_f32 v14, |v3|, v14, |v3|
	v_cmp_lt_f32_e64 vcc, |v3|, 0.5
	v_cndmask_b32_e32 v5, v5, v14, vcc
	v_bfi_b32 v3, s3, v5, v3
	v_bfe_u32 v5, v3, 16, 1
	v_add3_u32 v5, v3, v5, s4
	v_and_b32_e32 v5, 0xffff0000, v5
	v_cmp_o_f32_e32 vcc, v3, v3
	v_cndmask_b32_e32 v3, v17, v5, vcc
	s_waitcnt vmcnt(1)
	v_lshlrev_b32_e32 v5, 16, v11
	v_or_b32_e32 v3, v13, v3
	v_fma_f32 v13, |v5|, -0.5, 0.5
	v_mul_f32_e32 v14, v5, v5
	v_cmp_ge_f32_e64 vcc, |v5|, 0.5
	v_cndmask_b32_e32 v13, v14, v13, vcc
	v_mov_b32_e32 v14, 0x3c5fc5da
	v_fmac_f32_e32 v14, 0x3d1c21a7, v13
	v_fma_f32 v14, v13, v14, v6
	v_fma_f32 v14, v13, v14, v7
	v_sqrt_f32_e32 v15, v13
	v_fma_f32 v14, v13, v14, v8
	v_fma_f32 v14, v13, v14, v9
	v_mul_f32_e32 v13, v13, v14
	v_fmac_f32_e32 v15, v15, v13
	v_add_f32_e32 v14, v15, v15
	v_sub_f32_e32 v14, 0x3fc90fdb, v14
	v_fma_f32 v13, |v5|, v13, |v5|
	v_cmp_lt_f32_e64 vcc, |v5|, 0.5
	v_cndmask_b32_e32 v13, v14, v13, vcc
	v_bfi_b32 v5, s3, v13, v5
	v_bfe_u32 v13, v5, 16, 1
	v_add3_u32 v13, v5, v13, s4
	v_lshrrev_b32_e32 v13, 16, v13
	v_cmp_o_f32_e32 vcc, v5, v5
	v_and_b32_e32 v11, 0xffff0000, v11
	v_cndmask_b32_e32 v5, v10, v13, vcc
	v_fma_f32 v13, |v11|, -0.5, 0.5
	v_mul_f32_e32 v14, v11, v11
	v_cmp_ge_f32_e64 vcc, |v11|, 0.5
	v_cndmask_b32_e32 v13, v14, v13, vcc
	v_mov_b32_e32 v14, 0x3c5fc5da
	v_fmac_f32_e32 v14, 0x3d1c21a7, v13
	v_fma_f32 v14, v13, v14, v6
	v_fma_f32 v14, v13, v14, v7
	v_sqrt_f32_e32 v15, v13
	v_fma_f32 v14, v13, v14, v8
	v_fma_f32 v14, v13, v14, v9
	v_mul_f32_e32 v13, v13, v14
	v_fmac_f32_e32 v15, v15, v13
	v_add_f32_e32 v14, v15, v15
	v_sub_f32_e32 v14, 0x3fc90fdb, v14
	v_fma_f32 v13, |v11|, v13, |v11|
	v_cmp_lt_f32_e64 vcc, |v11|, 0.5
	v_cndmask_b32_e32 v13, v14, v13, vcc
	v_bfi_b32 v11, s3, v13, v11
	v_bfe_u32 v13, v11, 16, 1
	v_add3_u32 v13, v11, v13, s4
	v_and_b32_e32 v13, 0xffff0000, v13
	v_cmp_o_f32_e32 vcc, v11, v11
	v_cndmask_b32_e32 v11, v17, v13, vcc
	v_or_b32_e32 v5, v5, v11
	s_waitcnt vmcnt(0)
	v_lshlrev_b32_e32 v11, 16, v12
	v_fma_f32 v13, |v11|, -0.5, 0.5
	v_mul_f32_e32 v14, v11, v11
	v_cmp_ge_f32_e64 vcc, |v11|, 0.5
	v_cndmask_b32_e32 v13, v14, v13, vcc
	v_mov_b32_e32 v14, 0x3c5fc5da
	v_fmac_f32_e32 v14, 0x3d1c21a7, v13
	v_fma_f32 v14, v13, v14, v6
	v_fma_f32 v14, v13, v14, v7
	v_sqrt_f32_e32 v15, v13
	v_fma_f32 v14, v13, v14, v8
	v_fma_f32 v14, v13, v14, v9
	v_mul_f32_e32 v13, v13, v14
	v_fmac_f32_e32 v15, v15, v13
	v_add_f32_e32 v14, v15, v15
	v_sub_f32_e32 v14, 0x3fc90fdb, v14
	v_fma_f32 v13, |v11|, v13, |v11|
	v_cmp_lt_f32_e64 vcc, |v11|, 0.5
	v_cndmask_b32_e32 v13, v14, v13, vcc
	v_bfi_b32 v11, s3, v13, v11
	v_bfe_u32 v13, v11, 16, 1
	v_add3_u32 v13, v11, v13, s4
	v_lshrrev_b32_e32 v13, 16, v13
	v_cmp_o_f32_e32 vcc, v11, v11
	v_and_b32_e32 v11, 0xffff0000, v12
	v_cndmask_b32_e32 v10, v10, v13, vcc
	v_fma_f32 v12, |v11|, -0.5, 0.5
	v_mul_f32_e32 v13, v11, v11
	v_cmp_ge_f32_e64 vcc, |v11|, 0.5
	v_cndmask_b32_e32 v12, v13, v12, vcc
	v_fmac_f32_e32 v4, 0x3d1c21a7, v12
	v_fmac_f32_e32 v6, v12, v4
	;; [unrolled: 1-line block ×3, first 2 shown]
	v_sqrt_f32_e32 v4, v12
	v_fmac_f32_e32 v8, v12, v7
	v_fmac_f32_e32 v9, v12, v8
	v_mul_f32_e32 v6, v12, v9
	v_fmac_f32_e32 v4, v4, v6
	v_add_f32_e32 v4, v4, v4
	v_sub_f32_e32 v4, 0x3fc90fdb, v4
	v_fma_f32 v6, |v11|, v6, |v11|
	v_cmp_lt_f32_e64 vcc, |v11|, 0.5
	v_cndmask_b32_e32 v4, v4, v6, vcc
	v_bfi_b32 v4, s3, v4, v11
	v_bfe_u32 v6, v4, 16, 1
	v_add3_u32 v6, v4, v6, s4
	v_and_b32_e32 v6, 0xffff0000, v6
	v_cmp_o_f32_e32 vcc, v4, v4
	v_cndmask_b32_e32 v4, v17, v6, vcc
	v_or_b32_e32 v4, v10, v4
	global_store_dword v1, v2, s[0:1]
	global_store_dword v1, v3, s[0:1] offset:1024
	global_store_dword v1, v5, s[0:1] offset:2048
	;; [unrolled: 1-line block ×3, first 2 shown]
	s_mov_b64 s[0:1], 0
.LBB60_2:
	s_andn2_b64 vcc, exec, s[0:1]
	s_cbranch_vccnz .LBB60_41
; %bb.3:
	v_cmp_gt_i32_e64 s[0:1], s6, v0
	v_mov_b32_e32 v10, 0
	v_or_b32_e32 v1, s2, v0
	v_mov_b32_e32 v6, 0
	v_mov_b32_e32 v4, v0
	s_and_saveexec_b64 s[4:5], s[0:1]
	s_cbranch_execz .LBB60_5
; %bb.4:
	v_mov_b32_e32 v2, 0
	v_lshlrev_b64 v[2:3], 1, v[1:2]
	v_mov_b32_e32 v4, s11
	v_add_co_u32_e32 v2, vcc, s10, v2
	v_addc_co_u32_e32 v3, vcc, v4, v3, vcc
	global_load_ushort v2, v[2:3], off
	v_or_b32_e32 v4, 0x100, v0
	s_waitcnt vmcnt(0)
	v_lshlrev_b32_e32 v6, 16, v2
.LBB60_5:
	s_or_b64 exec, exec, s[4:5]
	v_cmp_gt_i32_e32 vcc, s6, v4
	s_and_saveexec_b64 s[4:5], vcc
	s_cbranch_execz .LBB60_7
; %bb.6:
	v_add_u32_e32 v2, s2, v4
	v_mov_b32_e32 v3, 0
	v_lshlrev_b64 v[2:3], 1, v[2:3]
	v_mov_b32_e32 v5, s11
	v_add_co_u32_e32 v2, vcc, s10, v2
	v_addc_co_u32_e32 v3, vcc, v5, v3, vcc
	global_load_ushort v2, v[2:3], off
	v_add_u32_e32 v4, 0x100, v4
	s_waitcnt vmcnt(0)
	v_lshlrev_b32_e32 v10, 16, v2
.LBB60_7:
	s_or_b64 exec, exec, s[4:5]
	v_cmp_gt_i32_e32 vcc, s6, v4
	v_mov_b32_e32 v8, 0
	v_mov_b32_e32 v11, 0
	s_and_saveexec_b64 s[4:5], vcc
	s_cbranch_execz .LBB60_9
; %bb.8:
	v_add_u32_e32 v2, s2, v4
	v_mov_b32_e32 v3, 0
	v_lshlrev_b64 v[2:3], 1, v[2:3]
	v_mov_b32_e32 v5, s11
	v_add_co_u32_e32 v2, vcc, s10, v2
	v_addc_co_u32_e32 v3, vcc, v5, v3, vcc
	global_load_ushort v2, v[2:3], off
	v_add_u32_e32 v4, 0x100, v4
	s_waitcnt vmcnt(0)
	v_lshlrev_b32_e32 v11, 16, v2
.LBB60_9:
	s_or_b64 exec, exec, s[4:5]
	v_cmp_gt_i32_e32 vcc, s6, v4
	s_and_saveexec_b64 s[4:5], vcc
	s_cbranch_execz .LBB60_11
; %bb.10:
	v_add_u32_e32 v2, s2, v4
	v_mov_b32_e32 v3, 0
	v_lshlrev_b64 v[2:3], 1, v[2:3]
	v_mov_b32_e32 v5, s11
	v_add_co_u32_e32 v2, vcc, s10, v2
	v_addc_co_u32_e32 v3, vcc, v5, v3, vcc
	global_load_ushort v2, v[2:3], off
	v_add_u32_e32 v4, 0x100, v4
	s_waitcnt vmcnt(0)
	v_lshlrev_b32_e32 v8, 16, v2
.LBB60_11:
	s_or_b64 exec, exec, s[4:5]
	v_cmp_gt_i32_e32 vcc, s6, v4
	v_mov_b32_e32 v3, 0
	v_mov_b32_e32 v9, 0
	s_and_saveexec_b64 s[4:5], vcc
	s_cbranch_execz .LBB60_13
; %bb.12:
	v_add_u32_e32 v12, s2, v4
	v_mov_b32_e32 v13, 0
	v_lshlrev_b64 v[12:13], 1, v[12:13]
	v_mov_b32_e32 v2, s11
	v_add_co_u32_e32 v12, vcc, s10, v12
	v_addc_co_u32_e32 v13, vcc, v2, v13, vcc
	global_load_ushort v2, v[12:13], off
	v_add_u32_e32 v4, 0x100, v4
	s_waitcnt vmcnt(0)
	v_lshlrev_b32_e32 v9, 16, v2
.LBB60_13:
	s_or_b64 exec, exec, s[4:5]
	v_cmp_gt_i32_e32 vcc, s6, v4
	s_and_saveexec_b64 s[4:5], vcc
	s_cbranch_execz .LBB60_15
; %bb.14:
	v_add_u32_e32 v2, s2, v4
	v_mov_b32_e32 v3, 0
	v_lshlrev_b64 v[2:3], 1, v[2:3]
	v_mov_b32_e32 v5, s11
	v_add_co_u32_e32 v2, vcc, s10, v2
	v_addc_co_u32_e32 v3, vcc, v5, v3, vcc
	global_load_ushort v2, v[2:3], off
	v_add_u32_e32 v4, 0x100, v4
	s_waitcnt vmcnt(0)
	v_lshlrev_b32_e32 v3, 16, v2
.LBB60_15:
	s_or_b64 exec, exec, s[4:5]
	v_cmp_gt_i32_e32 vcc, s6, v4
	v_mov_b32_e32 v2, 0
	v_mov_b32_e32 v5, 0
	s_and_saveexec_b64 s[4:5], vcc
	s_cbranch_execnz .LBB60_42
; %bb.16:
	s_or_b64 exec, exec, s[4:5]
	v_cmp_gt_i32_e32 vcc, s6, v4
	s_and_saveexec_b64 s[4:5], vcc
	s_cbranch_execnz .LBB60_43
.LBB60_17:
	s_or_b64 exec, exec, s[4:5]
                                        ; implicit-def: $vgpr4
	s_and_saveexec_b64 s[4:5], s[0:1]
	s_cbranch_execz .LBB60_19
.LBB60_18:
	v_fma_f32 v4, |v6|, -0.5, 0.5
	v_mul_f32_e32 v7, v6, v6
	v_cmp_ge_f32_e64 vcc, |v6|, 0.5
	v_cndmask_b32_e32 v4, v7, v4, vcc
	v_mov_b32_e32 v7, 0x3c5fc5da
	v_fmac_f32_e32 v7, 0x3d1c21a7, v4
	v_mov_b32_e32 v12, 0x3d034c3c
	v_fmac_f32_e32 v12, v4, v7
	;; [unrolled: 2-line block ×4, first 2 shown]
	v_sqrt_f32_e32 v7, v4
	v_mov_b32_e32 v13, 0x3e2aaaac
	v_fmac_f32_e32 v13, v4, v12
	v_mul_f32_e32 v4, v4, v13
	v_fmac_f32_e32 v7, v7, v4
	v_add_f32_e32 v7, v7, v7
	v_sub_f32_e32 v7, 0x3fc90fdb, v7
	v_fma_f32 v4, |v6|, v4, |v6|
	v_cmp_lt_f32_e64 vcc, |v6|, 0.5
	v_cndmask_b32_e32 v4, v7, v4, vcc
	s_brev_b32 s3, -2
	v_bfi_b32 v4, s3, v4, v6
	v_bfe_u32 v6, v4, 16, 1
	s_movk_i32 s3, 0x7fff
	v_add3_u32 v6, v4, v6, s3
	v_cmp_o_f32_e32 vcc, v4, v4
	v_mov_b32_e32 v4, 0x7fc0
	v_cndmask_b32_sdwa v4, v4, v6, vcc dst_sel:DWORD dst_unused:UNUSED_PAD src0_sel:DWORD src1_sel:WORD_1
.LBB60_19:
	s_or_b64 exec, exec, s[4:5]
	v_or_b32_e32 v6, 0x100, v0
	v_cmp_gt_i32_e32 vcc, s6, v6
                                        ; implicit-def: $vgpr7
	s_and_saveexec_b64 s[4:5], vcc
	s_cbranch_execz .LBB60_21
; %bb.20:
	v_fma_f32 v7, |v10|, -0.5, 0.5
	v_mul_f32_e32 v12, v10, v10
	v_cmp_ge_f32_e64 vcc, |v10|, 0.5
	v_cndmask_b32_e32 v7, v12, v7, vcc
	v_mov_b32_e32 v12, 0x3c5fc5da
	v_fmac_f32_e32 v12, 0x3d1c21a7, v7
	v_mov_b32_e32 v13, 0x3d034c3c
	v_fmac_f32_e32 v13, v7, v12
	;; [unrolled: 2-line block ×4, first 2 shown]
	v_sqrt_f32_e32 v12, v7
	v_mov_b32_e32 v14, 0x3e2aaaac
	v_fmac_f32_e32 v14, v7, v13
	v_mul_f32_e32 v7, v7, v14
	v_fmac_f32_e32 v12, v12, v7
	v_add_f32_e32 v12, v12, v12
	v_sub_f32_e32 v12, 0x3fc90fdb, v12
	v_fma_f32 v7, |v10|, v7, |v10|
	v_cmp_lt_f32_e64 vcc, |v10|, 0.5
	v_cndmask_b32_e32 v7, v12, v7, vcc
	s_brev_b32 s3, -2
	v_bfi_b32 v7, s3, v7, v10
	v_bfe_u32 v10, v7, 16, 1
	s_movk_i32 s3, 0x7fff
	v_add3_u32 v10, v7, v10, s3
	v_cmp_o_f32_e32 vcc, v7, v7
	v_mov_b32_e32 v7, 0x7fc0
	v_cndmask_b32_sdwa v7, v7, v10, vcc dst_sel:DWORD dst_unused:UNUSED_PAD src0_sel:DWORD src1_sel:WORD_1
.LBB60_21:
	s_or_b64 exec, exec, s[4:5]
	v_or_b32_e32 v10, 0x200, v0
	v_cmp_gt_i32_e32 vcc, s6, v10
                                        ; implicit-def: $vgpr10
	s_and_saveexec_b64 s[4:5], vcc
	s_cbranch_execz .LBB60_23
; %bb.22:
	v_fma_f32 v10, |v11|, -0.5, 0.5
	v_mul_f32_e32 v12, v11, v11
	v_cmp_ge_f32_e64 vcc, |v11|, 0.5
	v_cndmask_b32_e32 v10, v12, v10, vcc
	v_mov_b32_e32 v12, 0x3c5fc5da
	v_fmac_f32_e32 v12, 0x3d1c21a7, v10
	v_mov_b32_e32 v13, 0x3d034c3c
	v_fmac_f32_e32 v13, v10, v12
	;; [unrolled: 2-line block ×4, first 2 shown]
	v_sqrt_f32_e32 v12, v10
	v_mov_b32_e32 v14, 0x3e2aaaac
	v_fmac_f32_e32 v14, v10, v13
	v_mul_f32_e32 v10, v10, v14
	v_fmac_f32_e32 v12, v12, v10
	v_add_f32_e32 v12, v12, v12
	v_sub_f32_e32 v12, 0x3fc90fdb, v12
	v_fma_f32 v10, |v11|, v10, |v11|
	v_cmp_lt_f32_e64 vcc, |v11|, 0.5
	v_cndmask_b32_e32 v10, v12, v10, vcc
	s_brev_b32 s3, -2
	v_bfi_b32 v10, s3, v10, v11
	v_bfe_u32 v11, v10, 16, 1
	s_movk_i32 s3, 0x7fff
	v_add3_u32 v11, v10, v11, s3
	v_cmp_o_f32_e32 vcc, v10, v10
	v_mov_b32_e32 v10, 0x7fc0
	v_cndmask_b32_sdwa v10, v10, v11, vcc dst_sel:DWORD dst_unused:UNUSED_PAD src0_sel:DWORD src1_sel:WORD_1
.LBB60_23:
	s_or_b64 exec, exec, s[4:5]
	v_or_b32_e32 v11, 0x300, v0
	v_cmp_gt_i32_e32 vcc, s6, v11
                                        ; implicit-def: $vgpr11
	s_and_saveexec_b64 s[4:5], vcc
	s_cbranch_execz .LBB60_25
; %bb.24:
	v_fma_f32 v11, |v8|, -0.5, 0.5
	v_mul_f32_e32 v12, v8, v8
	v_cmp_ge_f32_e64 vcc, |v8|, 0.5
	v_cndmask_b32_e32 v11, v12, v11, vcc
	v_mov_b32_e32 v12, 0x3c5fc5da
	v_fmac_f32_e32 v12, 0x3d1c21a7, v11
	v_mov_b32_e32 v13, 0x3d034c3c
	v_fmac_f32_e32 v13, v11, v12
	;; [unrolled: 2-line block ×4, first 2 shown]
	v_sqrt_f32_e32 v12, v11
	v_mov_b32_e32 v14, 0x3e2aaaac
	v_fmac_f32_e32 v14, v11, v13
	v_mul_f32_e32 v11, v11, v14
	v_fmac_f32_e32 v12, v12, v11
	v_add_f32_e32 v12, v12, v12
	v_sub_f32_e32 v12, 0x3fc90fdb, v12
	v_fma_f32 v11, |v8|, v11, |v8|
	v_cmp_lt_f32_e64 vcc, |v8|, 0.5
	v_cndmask_b32_e32 v11, v12, v11, vcc
	s_brev_b32 s3, -2
	v_bfi_b32 v8, s3, v11, v8
	v_bfe_u32 v11, v8, 16, 1
	s_movk_i32 s3, 0x7fff
	v_add3_u32 v11, v8, v11, s3
	v_cmp_o_f32_e32 vcc, v8, v8
	v_mov_b32_e32 v8, 0x7fc0
	v_cndmask_b32_sdwa v11, v8, v11, vcc dst_sel:DWORD dst_unused:UNUSED_PAD src0_sel:DWORD src1_sel:WORD_1
.LBB60_25:
	s_or_b64 exec, exec, s[4:5]
	v_or_b32_e32 v8, 0x400, v0
	v_cmp_gt_i32_e32 vcc, s6, v8
                                        ; implicit-def: $vgpr8
	s_and_saveexec_b64 s[4:5], vcc
	s_cbranch_execz .LBB60_27
; %bb.26:
	v_fma_f32 v8, |v9|, -0.5, 0.5
	v_mul_f32_e32 v12, v9, v9
	v_cmp_ge_f32_e64 vcc, |v9|, 0.5
	v_cndmask_b32_e32 v8, v12, v8, vcc
	v_mov_b32_e32 v12, 0x3c5fc5da
	v_fmac_f32_e32 v12, 0x3d1c21a7, v8
	v_mov_b32_e32 v13, 0x3d034c3c
	v_fmac_f32_e32 v13, v8, v12
	v_mov_b32_e32 v12, 0x3d3641b1
	v_fmac_f32_e32 v12, v8, v13
	v_mov_b32_e32 v13, 0x3d999bc8
	v_fmac_f32_e32 v13, v8, v12
	v_sqrt_f32_e32 v12, v8
	v_mov_b32_e32 v14, 0x3e2aaaac
	v_fmac_f32_e32 v14, v8, v13
	v_mul_f32_e32 v8, v8, v14
	v_fmac_f32_e32 v12, v12, v8
	v_add_f32_e32 v12, v12, v12
	v_sub_f32_e32 v12, 0x3fc90fdb, v12
	v_fma_f32 v8, |v9|, v8, |v9|
	v_cmp_lt_f32_e64 vcc, |v9|, 0.5
	v_cndmask_b32_e32 v8, v12, v8, vcc
	s_brev_b32 s3, -2
	v_bfi_b32 v8, s3, v8, v9
	v_bfe_u32 v9, v8, 16, 1
	s_movk_i32 s3, 0x7fff
	v_add3_u32 v9, v8, v9, s3
	v_cmp_o_f32_e32 vcc, v8, v8
	v_mov_b32_e32 v8, 0x7fc0
	v_cndmask_b32_sdwa v8, v8, v9, vcc dst_sel:DWORD dst_unused:UNUSED_PAD src0_sel:DWORD src1_sel:WORD_1
.LBB60_27:
	s_or_b64 exec, exec, s[4:5]
	v_or_b32_e32 v9, 0x500, v0
	v_cmp_gt_i32_e32 vcc, s6, v9
                                        ; implicit-def: $vgpr9
	s_and_saveexec_b64 s[4:5], vcc
	s_cbranch_execz .LBB60_29
; %bb.28:
	v_fma_f32 v9, |v3|, -0.5, 0.5
	v_mul_f32_e32 v12, v3, v3
	v_cmp_ge_f32_e64 vcc, |v3|, 0.5
	v_cndmask_b32_e32 v9, v12, v9, vcc
	v_mov_b32_e32 v12, 0x3c5fc5da
	v_fmac_f32_e32 v12, 0x3d1c21a7, v9
	v_mov_b32_e32 v13, 0x3d034c3c
	v_fmac_f32_e32 v13, v9, v12
	;; [unrolled: 2-line block ×4, first 2 shown]
	v_sqrt_f32_e32 v12, v9
	v_mov_b32_e32 v14, 0x3e2aaaac
	v_fmac_f32_e32 v14, v9, v13
	v_mul_f32_e32 v9, v9, v14
	v_fmac_f32_e32 v12, v12, v9
	v_add_f32_e32 v12, v12, v12
	v_sub_f32_e32 v12, 0x3fc90fdb, v12
	v_fma_f32 v9, |v3|, v9, |v3|
	v_cmp_lt_f32_e64 vcc, |v3|, 0.5
	v_cndmask_b32_e32 v9, v12, v9, vcc
	s_brev_b32 s3, -2
	v_bfi_b32 v3, s3, v9, v3
	v_bfe_u32 v9, v3, 16, 1
	s_movk_i32 s3, 0x7fff
	v_add3_u32 v9, v3, v9, s3
	v_cmp_o_f32_e32 vcc, v3, v3
	v_mov_b32_e32 v3, 0x7fc0
	v_cndmask_b32_sdwa v9, v3, v9, vcc dst_sel:DWORD dst_unused:UNUSED_PAD src0_sel:DWORD src1_sel:WORD_1
.LBB60_29:
	s_or_b64 exec, exec, s[4:5]
	v_or_b32_e32 v3, 0x600, v0
	v_cmp_gt_i32_e32 vcc, s6, v3
                                        ; implicit-def: $vgpr3
	s_and_saveexec_b64 s[4:5], vcc
	s_cbranch_execz .LBB60_31
; %bb.30:
	v_fma_f32 v3, |v5|, -0.5, 0.5
	v_mul_f32_e32 v12, v5, v5
	v_cmp_ge_f32_e64 vcc, |v5|, 0.5
	v_cndmask_b32_e32 v3, v12, v3, vcc
	v_mov_b32_e32 v12, 0x3c5fc5da
	v_fmac_f32_e32 v12, 0x3d1c21a7, v3
	v_mov_b32_e32 v13, 0x3d034c3c
	v_fmac_f32_e32 v13, v3, v12
	;; [unrolled: 2-line block ×4, first 2 shown]
	v_sqrt_f32_e32 v12, v3
	v_mov_b32_e32 v14, 0x3e2aaaac
	v_fmac_f32_e32 v14, v3, v13
	v_mul_f32_e32 v3, v3, v14
	v_fmac_f32_e32 v12, v12, v3
	v_add_f32_e32 v12, v12, v12
	v_sub_f32_e32 v12, 0x3fc90fdb, v12
	v_fma_f32 v3, |v5|, v3, |v5|
	v_cmp_lt_f32_e64 vcc, |v5|, 0.5
	v_cndmask_b32_e32 v3, v12, v3, vcc
	s_brev_b32 s3, -2
	v_bfi_b32 v3, s3, v3, v5
	v_bfe_u32 v5, v3, 16, 1
	s_movk_i32 s3, 0x7fff
	v_add3_u32 v5, v3, v5, s3
	v_cmp_o_f32_e32 vcc, v3, v3
	v_mov_b32_e32 v3, 0x7fc0
	v_cndmask_b32_sdwa v3, v3, v5, vcc dst_sel:DWORD dst_unused:UNUSED_PAD src0_sel:DWORD src1_sel:WORD_1
.LBB60_31:
	s_or_b64 exec, exec, s[4:5]
	v_or_b32_e32 v5, 0x700, v0
	v_cmp_gt_i32_e32 vcc, s6, v5
                                        ; implicit-def: $vgpr5
	s_and_saveexec_b64 s[4:5], vcc
	s_cbranch_execnz .LBB60_44
; %bb.32:
	s_or_b64 exec, exec, s[4:5]
	s_and_saveexec_b64 s[4:5], s[0:1]
	s_xor_b64 s[0:1], exec, s[4:5]
	s_cbranch_execnz .LBB60_45
.LBB60_33:
	s_or_b64 exec, exec, s[0:1]
	v_cmp_gt_i32_e32 vcc, s6, v0
	s_and_saveexec_b64 s[0:1], vcc
	s_cbranch_execnz .LBB60_46
.LBB60_34:
	s_or_b64 exec, exec, s[0:1]
	v_cmp_gt_i32_e32 vcc, s6, v0
	s_and_saveexec_b64 s[0:1], vcc
	s_cbranch_execnz .LBB60_47
.LBB60_35:
	s_or_b64 exec, exec, s[0:1]
	v_cmp_gt_i32_e32 vcc, s6, v0
	s_and_saveexec_b64 s[0:1], vcc
	s_cbranch_execnz .LBB60_48
.LBB60_36:
	s_or_b64 exec, exec, s[0:1]
	v_cmp_gt_i32_e32 vcc, s6, v0
	s_and_saveexec_b64 s[0:1], vcc
	s_cbranch_execnz .LBB60_49
.LBB60_37:
	s_or_b64 exec, exec, s[0:1]
	v_cmp_gt_i32_e32 vcc, s6, v0
	s_and_saveexec_b64 s[0:1], vcc
	s_cbranch_execnz .LBB60_50
.LBB60_38:
	s_or_b64 exec, exec, s[0:1]
	v_cmp_gt_i32_e32 vcc, s6, v0
	s_and_saveexec_b64 s[0:1], vcc
	s_cbranch_execnz .LBB60_51
.LBB60_39:
	s_or_b64 exec, exec, s[0:1]
	v_cmp_gt_i32_e32 vcc, s6, v0
	s_and_saveexec_b64 s[0:1], vcc
	s_cbranch_execz .LBB60_41
.LBB60_40:
	v_add_u32_e32 v0, s2, v0
	v_mov_b32_e32 v1, 0
	v_lshlrev_b64 v[0:1], 1, v[0:1]
	v_mov_b32_e32 v2, s9
	v_add_co_u32_e32 v0, vcc, s8, v0
	v_addc_co_u32_e32 v1, vcc, v2, v1, vcc
	global_store_short v[0:1], v5, off
.LBB60_41:
	s_endpgm
.LBB60_42:
	v_add_u32_e32 v12, s2, v4
	v_mov_b32_e32 v13, 0
	v_lshlrev_b64 v[12:13], 1, v[12:13]
	v_mov_b32_e32 v5, s11
	v_add_co_u32_e32 v12, vcc, s10, v12
	v_addc_co_u32_e32 v13, vcc, v5, v13, vcc
	global_load_ushort v5, v[12:13], off
	v_add_u32_e32 v4, 0x100, v4
	s_waitcnt vmcnt(0)
	v_lshlrev_b32_e32 v5, 16, v5
	s_or_b64 exec, exec, s[4:5]
	v_cmp_gt_i32_e32 vcc, s6, v4
	s_and_saveexec_b64 s[4:5], vcc
	s_cbranch_execz .LBB60_17
.LBB60_43:
	v_add_u32_e32 v12, s2, v4
	v_mov_b32_e32 v13, 0
	v_lshlrev_b64 v[12:13], 1, v[12:13]
	v_mov_b32_e32 v2, s11
	v_add_co_u32_e32 v12, vcc, s10, v12
	v_addc_co_u32_e32 v13, vcc, v2, v13, vcc
	global_load_ushort v2, v[12:13], off
	s_waitcnt vmcnt(0)
	v_lshlrev_b32_e32 v2, 16, v2
	s_or_b64 exec, exec, s[4:5]
                                        ; implicit-def: $vgpr4
	s_and_saveexec_b64 s[4:5], s[0:1]
	s_cbranch_execnz .LBB60_18
	s_branch .LBB60_19
.LBB60_44:
	v_fma_f32 v5, |v2|, -0.5, 0.5
	v_mul_f32_e32 v12, v2, v2
	v_cmp_ge_f32_e64 vcc, |v2|, 0.5
	v_cndmask_b32_e32 v5, v12, v5, vcc
	v_mov_b32_e32 v12, 0x3c5fc5da
	v_fmac_f32_e32 v12, 0x3d1c21a7, v5
	v_mov_b32_e32 v13, 0x3d034c3c
	v_fmac_f32_e32 v13, v5, v12
	;; [unrolled: 2-line block ×4, first 2 shown]
	v_sqrt_f32_e32 v12, v5
	v_mov_b32_e32 v14, 0x3e2aaaac
	v_fmac_f32_e32 v14, v5, v13
	v_mul_f32_e32 v5, v5, v14
	v_fmac_f32_e32 v12, v12, v5
	v_add_f32_e32 v12, v12, v12
	v_sub_f32_e32 v12, 0x3fc90fdb, v12
	v_fma_f32 v5, |v2|, v5, |v2|
	v_cmp_lt_f32_e64 vcc, |v2|, 0.5
	v_cndmask_b32_e32 v5, v12, v5, vcc
	s_brev_b32 s3, -2
	v_bfi_b32 v2, s3, v5, v2
	v_bfe_u32 v5, v2, 16, 1
	s_movk_i32 s3, 0x7fff
	v_add3_u32 v5, v2, v5, s3
	v_cmp_o_f32_e32 vcc, v2, v2
	v_mov_b32_e32 v2, 0x7fc0
	v_cndmask_b32_sdwa v5, v2, v5, vcc dst_sel:DWORD dst_unused:UNUSED_PAD src0_sel:DWORD src1_sel:WORD_1
	s_or_b64 exec, exec, s[4:5]
	s_and_saveexec_b64 s[4:5], s[0:1]
	s_xor_b64 s[0:1], exec, s[4:5]
	s_cbranch_execz .LBB60_33
.LBB60_45:
	v_mov_b32_e32 v2, 0
	v_lshlrev_b64 v[0:1], 1, v[1:2]
	v_mov_b32_e32 v2, s9
	v_add_co_u32_e32 v0, vcc, s8, v0
	v_addc_co_u32_e32 v1, vcc, v2, v1, vcc
	global_store_short v[0:1], v4, off
	v_mov_b32_e32 v0, v6
	s_or_b64 exec, exec, s[0:1]
	v_cmp_gt_i32_e32 vcc, s6, v0
	s_and_saveexec_b64 s[0:1], vcc
	s_cbranch_execz .LBB60_34
.LBB60_46:
	v_add_u32_e32 v1, s2, v0
	v_mov_b32_e32 v2, 0
	v_lshlrev_b64 v[1:2], 1, v[1:2]
	v_mov_b32_e32 v4, s9
	v_add_co_u32_e32 v1, vcc, s8, v1
	v_addc_co_u32_e32 v2, vcc, v4, v2, vcc
	v_add_u32_e32 v0, 0x100, v0
	global_store_short v[1:2], v7, off
	s_or_b64 exec, exec, s[0:1]
	v_cmp_gt_i32_e32 vcc, s6, v0
	s_and_saveexec_b64 s[0:1], vcc
	s_cbranch_execz .LBB60_35
.LBB60_47:
	v_add_u32_e32 v1, s2, v0
	v_mov_b32_e32 v2, 0
	v_lshlrev_b64 v[1:2], 1, v[1:2]
	v_mov_b32_e32 v4, s9
	v_add_co_u32_e32 v1, vcc, s8, v1
	v_addc_co_u32_e32 v2, vcc, v4, v2, vcc
	v_add_u32_e32 v0, 0x100, v0
	global_store_short v[1:2], v10, off
	s_or_b64 exec, exec, s[0:1]
	v_cmp_gt_i32_e32 vcc, s6, v0
	s_and_saveexec_b64 s[0:1], vcc
	s_cbranch_execz .LBB60_36
.LBB60_48:
	v_add_u32_e32 v1, s2, v0
	v_mov_b32_e32 v2, 0
	v_lshlrev_b64 v[1:2], 1, v[1:2]
	v_mov_b32_e32 v4, s9
	v_add_co_u32_e32 v1, vcc, s8, v1
	v_addc_co_u32_e32 v2, vcc, v4, v2, vcc
	v_add_u32_e32 v0, 0x100, v0
	global_store_short v[1:2], v11, off
	s_or_b64 exec, exec, s[0:1]
	v_cmp_gt_i32_e32 vcc, s6, v0
	s_and_saveexec_b64 s[0:1], vcc
	s_cbranch_execz .LBB60_37
.LBB60_49:
	v_add_u32_e32 v1, s2, v0
	v_mov_b32_e32 v2, 0
	v_lshlrev_b64 v[1:2], 1, v[1:2]
	v_mov_b32_e32 v4, s9
	v_add_co_u32_e32 v1, vcc, s8, v1
	v_addc_co_u32_e32 v2, vcc, v4, v2, vcc
	v_add_u32_e32 v0, 0x100, v0
	global_store_short v[1:2], v8, off
	s_or_b64 exec, exec, s[0:1]
	v_cmp_gt_i32_e32 vcc, s6, v0
	s_and_saveexec_b64 s[0:1], vcc
	s_cbranch_execz .LBB60_38
.LBB60_50:
	v_add_u32_e32 v1, s2, v0
	v_mov_b32_e32 v2, 0
	v_lshlrev_b64 v[1:2], 1, v[1:2]
	v_mov_b32_e32 v4, s9
	v_add_co_u32_e32 v1, vcc, s8, v1
	v_addc_co_u32_e32 v2, vcc, v4, v2, vcc
	v_add_u32_e32 v0, 0x100, v0
	global_store_short v[1:2], v9, off
	s_or_b64 exec, exec, s[0:1]
	v_cmp_gt_i32_e32 vcc, s6, v0
	s_and_saveexec_b64 s[0:1], vcc
	s_cbranch_execz .LBB60_39
.LBB60_51:
	v_add_u32_e32 v1, s2, v0
	v_mov_b32_e32 v2, 0
	v_lshlrev_b64 v[1:2], 1, v[1:2]
	v_mov_b32_e32 v4, s9
	v_add_co_u32_e32 v1, vcc, s8, v1
	v_addc_co_u32_e32 v2, vcc, v4, v2, vcc
	v_add_u32_e32 v0, 0x100, v0
	global_store_short v[1:2], v3, off
	s_or_b64 exec, exec, s[0:1]
	v_cmp_gt_i32_e32 vcc, s6, v0
	s_and_saveexec_b64 s[0:1], vcc
	s_cbranch_execnz .LBB60_40
	s_branch .LBB60_41
	.section	.rodata,"a",@progbits
	.p2align	6, 0x0
	.amdhsa_kernel _ZN2at6native29vectorized_elementwise_kernelILi2EZZZNS0_16asin_kernel_cudaERNS_18TensorIteratorBaseEENKUlvE0_clEvENKUlvE2_clEvEUlN3c108BFloat16EE_St5arrayIPcLm2EEEEviT0_T1_
		.amdhsa_group_segment_fixed_size 0
		.amdhsa_private_segment_fixed_size 0
		.amdhsa_kernarg_size 24
		.amdhsa_user_sgpr_count 6
		.amdhsa_user_sgpr_private_segment_buffer 1
		.amdhsa_user_sgpr_dispatch_ptr 0
		.amdhsa_user_sgpr_queue_ptr 0
		.amdhsa_user_sgpr_kernarg_segment_ptr 1
		.amdhsa_user_sgpr_dispatch_id 0
		.amdhsa_user_sgpr_flat_scratch_init 0
		.amdhsa_user_sgpr_private_segment_size 0
		.amdhsa_uses_dynamic_stack 0
		.amdhsa_system_sgpr_private_segment_wavefront_offset 0
		.amdhsa_system_sgpr_workgroup_id_x 1
		.amdhsa_system_sgpr_workgroup_id_y 0
		.amdhsa_system_sgpr_workgroup_id_z 0
		.amdhsa_system_sgpr_workgroup_info 0
		.amdhsa_system_vgpr_workitem_id 0
		.amdhsa_next_free_vgpr 20
		.amdhsa_next_free_sgpr 14
		.amdhsa_reserve_vcc 1
		.amdhsa_reserve_flat_scratch 0
		.amdhsa_float_round_mode_32 0
		.amdhsa_float_round_mode_16_64 0
		.amdhsa_float_denorm_mode_32 3
		.amdhsa_float_denorm_mode_16_64 3
		.amdhsa_dx10_clamp 1
		.amdhsa_ieee_mode 1
		.amdhsa_fp16_overflow 0
		.amdhsa_exception_fp_ieee_invalid_op 0
		.amdhsa_exception_fp_denorm_src 0
		.amdhsa_exception_fp_ieee_div_zero 0
		.amdhsa_exception_fp_ieee_overflow 0
		.amdhsa_exception_fp_ieee_underflow 0
		.amdhsa_exception_fp_ieee_inexact 0
		.amdhsa_exception_int_div_zero 0
	.end_amdhsa_kernel
	.section	.text._ZN2at6native29vectorized_elementwise_kernelILi2EZZZNS0_16asin_kernel_cudaERNS_18TensorIteratorBaseEENKUlvE0_clEvENKUlvE2_clEvEUlN3c108BFloat16EE_St5arrayIPcLm2EEEEviT0_T1_,"axG",@progbits,_ZN2at6native29vectorized_elementwise_kernelILi2EZZZNS0_16asin_kernel_cudaERNS_18TensorIteratorBaseEENKUlvE0_clEvENKUlvE2_clEvEUlN3c108BFloat16EE_St5arrayIPcLm2EEEEviT0_T1_,comdat
.Lfunc_end60:
	.size	_ZN2at6native29vectorized_elementwise_kernelILi2EZZZNS0_16asin_kernel_cudaERNS_18TensorIteratorBaseEENKUlvE0_clEvENKUlvE2_clEvEUlN3c108BFloat16EE_St5arrayIPcLm2EEEEviT0_T1_, .Lfunc_end60-_ZN2at6native29vectorized_elementwise_kernelILi2EZZZNS0_16asin_kernel_cudaERNS_18TensorIteratorBaseEENKUlvE0_clEvENKUlvE2_clEvEUlN3c108BFloat16EE_St5arrayIPcLm2EEEEviT0_T1_
                                        ; -- End function
	.set _ZN2at6native29vectorized_elementwise_kernelILi2EZZZNS0_16asin_kernel_cudaERNS_18TensorIteratorBaseEENKUlvE0_clEvENKUlvE2_clEvEUlN3c108BFloat16EE_St5arrayIPcLm2EEEEviT0_T1_.num_vgpr, 20
	.set _ZN2at6native29vectorized_elementwise_kernelILi2EZZZNS0_16asin_kernel_cudaERNS_18TensorIteratorBaseEENKUlvE0_clEvENKUlvE2_clEvEUlN3c108BFloat16EE_St5arrayIPcLm2EEEEviT0_T1_.num_agpr, 0
	.set _ZN2at6native29vectorized_elementwise_kernelILi2EZZZNS0_16asin_kernel_cudaERNS_18TensorIteratorBaseEENKUlvE0_clEvENKUlvE2_clEvEUlN3c108BFloat16EE_St5arrayIPcLm2EEEEviT0_T1_.numbered_sgpr, 14
	.set _ZN2at6native29vectorized_elementwise_kernelILi2EZZZNS0_16asin_kernel_cudaERNS_18TensorIteratorBaseEENKUlvE0_clEvENKUlvE2_clEvEUlN3c108BFloat16EE_St5arrayIPcLm2EEEEviT0_T1_.num_named_barrier, 0
	.set _ZN2at6native29vectorized_elementwise_kernelILi2EZZZNS0_16asin_kernel_cudaERNS_18TensorIteratorBaseEENKUlvE0_clEvENKUlvE2_clEvEUlN3c108BFloat16EE_St5arrayIPcLm2EEEEviT0_T1_.private_seg_size, 0
	.set _ZN2at6native29vectorized_elementwise_kernelILi2EZZZNS0_16asin_kernel_cudaERNS_18TensorIteratorBaseEENKUlvE0_clEvENKUlvE2_clEvEUlN3c108BFloat16EE_St5arrayIPcLm2EEEEviT0_T1_.uses_vcc, 1
	.set _ZN2at6native29vectorized_elementwise_kernelILi2EZZZNS0_16asin_kernel_cudaERNS_18TensorIteratorBaseEENKUlvE0_clEvENKUlvE2_clEvEUlN3c108BFloat16EE_St5arrayIPcLm2EEEEviT0_T1_.uses_flat_scratch, 0
	.set _ZN2at6native29vectorized_elementwise_kernelILi2EZZZNS0_16asin_kernel_cudaERNS_18TensorIteratorBaseEENKUlvE0_clEvENKUlvE2_clEvEUlN3c108BFloat16EE_St5arrayIPcLm2EEEEviT0_T1_.has_dyn_sized_stack, 0
	.set _ZN2at6native29vectorized_elementwise_kernelILi2EZZZNS0_16asin_kernel_cudaERNS_18TensorIteratorBaseEENKUlvE0_clEvENKUlvE2_clEvEUlN3c108BFloat16EE_St5arrayIPcLm2EEEEviT0_T1_.has_recursion, 0
	.set _ZN2at6native29vectorized_elementwise_kernelILi2EZZZNS0_16asin_kernel_cudaERNS_18TensorIteratorBaseEENKUlvE0_clEvENKUlvE2_clEvEUlN3c108BFloat16EE_St5arrayIPcLm2EEEEviT0_T1_.has_indirect_call, 0
	.section	.AMDGPU.csdata,"",@progbits
; Kernel info:
; codeLenInByte = 4352
; TotalNumSgprs: 18
; NumVgprs: 20
; ScratchSize: 0
; MemoryBound: 0
; FloatMode: 240
; IeeeMode: 1
; LDSByteSize: 0 bytes/workgroup (compile time only)
; SGPRBlocks: 2
; VGPRBlocks: 4
; NumSGPRsForWavesPerEU: 18
; NumVGPRsForWavesPerEU: 20
; Occupancy: 10
; WaveLimiterHint : 1
; COMPUTE_PGM_RSRC2:SCRATCH_EN: 0
; COMPUTE_PGM_RSRC2:USER_SGPR: 6
; COMPUTE_PGM_RSRC2:TRAP_HANDLER: 0
; COMPUTE_PGM_RSRC2:TGID_X_EN: 1
; COMPUTE_PGM_RSRC2:TGID_Y_EN: 0
; COMPUTE_PGM_RSRC2:TGID_Z_EN: 0
; COMPUTE_PGM_RSRC2:TIDIG_COMP_CNT: 0
	.section	.text._ZN2at6native27unrolled_elementwise_kernelIZZZNS0_16asin_kernel_cudaERNS_18TensorIteratorBaseEENKUlvE0_clEvENKUlvE2_clEvEUlN3c108BFloat16EE_St5arrayIPcLm2EELi4E23TrivialOffsetCalculatorILi1EjESD_NS0_6memory15LoadWithoutCastENSE_16StoreWithoutCastEEEviT_T0_T2_T3_T4_T5_,"axG",@progbits,_ZN2at6native27unrolled_elementwise_kernelIZZZNS0_16asin_kernel_cudaERNS_18TensorIteratorBaseEENKUlvE0_clEvENKUlvE2_clEvEUlN3c108BFloat16EE_St5arrayIPcLm2EELi4E23TrivialOffsetCalculatorILi1EjESD_NS0_6memory15LoadWithoutCastENSE_16StoreWithoutCastEEEviT_T0_T2_T3_T4_T5_,comdat
	.globl	_ZN2at6native27unrolled_elementwise_kernelIZZZNS0_16asin_kernel_cudaERNS_18TensorIteratorBaseEENKUlvE0_clEvENKUlvE2_clEvEUlN3c108BFloat16EE_St5arrayIPcLm2EELi4E23TrivialOffsetCalculatorILi1EjESD_NS0_6memory15LoadWithoutCastENSE_16StoreWithoutCastEEEviT_T0_T2_T3_T4_T5_ ; -- Begin function _ZN2at6native27unrolled_elementwise_kernelIZZZNS0_16asin_kernel_cudaERNS_18TensorIteratorBaseEENKUlvE0_clEvENKUlvE2_clEvEUlN3c108BFloat16EE_St5arrayIPcLm2EELi4E23TrivialOffsetCalculatorILi1EjESD_NS0_6memory15LoadWithoutCastENSE_16StoreWithoutCastEEEviT_T0_T2_T3_T4_T5_
	.p2align	8
	.type	_ZN2at6native27unrolled_elementwise_kernelIZZZNS0_16asin_kernel_cudaERNS_18TensorIteratorBaseEENKUlvE0_clEvENKUlvE2_clEvEUlN3c108BFloat16EE_St5arrayIPcLm2EELi4E23TrivialOffsetCalculatorILi1EjESD_NS0_6memory15LoadWithoutCastENSE_16StoreWithoutCastEEEviT_T0_T2_T3_T4_T5_,@function
_ZN2at6native27unrolled_elementwise_kernelIZZZNS0_16asin_kernel_cudaERNS_18TensorIteratorBaseEENKUlvE0_clEvENKUlvE2_clEvEUlN3c108BFloat16EE_St5arrayIPcLm2EELi4E23TrivialOffsetCalculatorILi1EjESD_NS0_6memory15LoadWithoutCastENSE_16StoreWithoutCastEEEviT_T0_T2_T3_T4_T5_: ; @_ZN2at6native27unrolled_elementwise_kernelIZZZNS0_16asin_kernel_cudaERNS_18TensorIteratorBaseEENKUlvE0_clEvENKUlvE2_clEvEUlN3c108BFloat16EE_St5arrayIPcLm2EELi4E23TrivialOffsetCalculatorILi1EjESD_NS0_6memory15LoadWithoutCastENSE_16StoreWithoutCastEEEviT_T0_T2_T3_T4_T5_
; %bb.0:
	s_load_dword s0, s[4:5], 0x0
	s_load_dwordx4 s[8:11], s[4:5], 0x8
	s_lshl_b32 s4, s6, 10
	v_mov_b32_e32 v3, 0
	v_or_b32_e32 v1, s4, v0
	s_waitcnt lgkmcnt(0)
	s_sub_i32 s5, s0, s4
	v_cmp_gt_i32_e64 s[0:1], s5, v0
	v_mov_b32_e32 v6, 0
	v_mov_b32_e32 v4, v0
	s_and_saveexec_b64 s[2:3], s[0:1]
	s_cbranch_execz .LBB61_2
; %bb.1:
	v_mov_b32_e32 v2, 0
	v_lshlrev_b64 v[4:5], 1, v[1:2]
	v_mov_b32_e32 v2, s11
	v_add_co_u32_e32 v4, vcc, s10, v4
	v_addc_co_u32_e32 v5, vcc, v2, v5, vcc
	global_load_ushort v2, v[4:5], off
	v_or_b32_e32 v4, 0x100, v0
	s_waitcnt vmcnt(0)
	v_lshlrev_b32_e32 v6, 16, v2
.LBB61_2:
	s_or_b64 exec, exec, s[2:3]
	v_cmp_gt_i32_e32 vcc, s5, v4
	s_and_saveexec_b64 s[2:3], vcc
	s_cbranch_execz .LBB61_4
; %bb.3:
	v_add_u32_e32 v2, s4, v4
	v_mov_b32_e32 v3, 0
	v_lshlrev_b64 v[2:3], 1, v[2:3]
	v_mov_b32_e32 v5, s11
	v_add_co_u32_e32 v2, vcc, s10, v2
	v_addc_co_u32_e32 v3, vcc, v5, v3, vcc
	global_load_ushort v2, v[2:3], off
	v_add_u32_e32 v4, 0x100, v4
	s_waitcnt vmcnt(0)
	v_lshlrev_b32_e32 v3, 16, v2
.LBB61_4:
	s_or_b64 exec, exec, s[2:3]
	v_cmp_gt_i32_e32 vcc, s5, v4
	v_mov_b32_e32 v2, 0
	v_mov_b32_e32 v5, 0
	s_and_saveexec_b64 s[2:3], vcc
	s_cbranch_execnz .LBB61_18
; %bb.5:
	s_or_b64 exec, exec, s[2:3]
	v_cmp_gt_i32_e32 vcc, s5, v4
	s_and_saveexec_b64 s[2:3], vcc
	s_cbranch_execnz .LBB61_19
.LBB61_6:
	s_or_b64 exec, exec, s[2:3]
                                        ; implicit-def: $vgpr4
	s_and_saveexec_b64 s[2:3], s[0:1]
	s_cbranch_execz .LBB61_8
.LBB61_7:
	v_fma_f32 v4, |v6|, -0.5, 0.5
	v_mul_f32_e32 v7, v6, v6
	v_cmp_ge_f32_e64 vcc, |v6|, 0.5
	v_cndmask_b32_e32 v4, v7, v4, vcc
	v_mov_b32_e32 v7, 0x3c5fc5da
	v_fmac_f32_e32 v7, 0x3d1c21a7, v4
	v_mov_b32_e32 v8, 0x3d034c3c
	v_fmac_f32_e32 v8, v4, v7
	;; [unrolled: 2-line block ×4, first 2 shown]
	v_sqrt_f32_e32 v7, v4
	v_mov_b32_e32 v9, 0x3e2aaaac
	v_fmac_f32_e32 v9, v4, v8
	v_mul_f32_e32 v4, v4, v9
	v_fmac_f32_e32 v7, v7, v4
	v_add_f32_e32 v7, v7, v7
	v_sub_f32_e32 v7, 0x3fc90fdb, v7
	v_fma_f32 v4, |v6|, v4, |v6|
	v_cmp_lt_f32_e64 vcc, |v6|, 0.5
	v_cndmask_b32_e32 v4, v7, v4, vcc
	s_brev_b32 s6, -2
	v_bfi_b32 v4, s6, v4, v6
	v_bfe_u32 v6, v4, 16, 1
	s_movk_i32 s6, 0x7fff
	v_add3_u32 v6, v4, v6, s6
	v_cmp_o_f32_e32 vcc, v4, v4
	v_mov_b32_e32 v4, 0x7fc0
	v_cndmask_b32_sdwa v4, v4, v6, vcc dst_sel:DWORD dst_unused:UNUSED_PAD src0_sel:DWORD src1_sel:WORD_1
.LBB61_8:
	s_or_b64 exec, exec, s[2:3]
	v_or_b32_e32 v6, 0x100, v0
	v_cmp_gt_i32_e32 vcc, s5, v6
                                        ; implicit-def: $vgpr7
	s_and_saveexec_b64 s[2:3], vcc
	s_cbranch_execz .LBB61_10
; %bb.9:
	v_fma_f32 v7, |v3|, -0.5, 0.5
	v_mul_f32_e32 v8, v3, v3
	v_cmp_ge_f32_e64 vcc, |v3|, 0.5
	v_cndmask_b32_e32 v7, v8, v7, vcc
	v_mov_b32_e32 v8, 0x3c5fc5da
	v_fmac_f32_e32 v8, 0x3d1c21a7, v7
	v_mov_b32_e32 v9, 0x3d034c3c
	v_fmac_f32_e32 v9, v7, v8
	;; [unrolled: 2-line block ×4, first 2 shown]
	v_sqrt_f32_e32 v8, v7
	v_mov_b32_e32 v10, 0x3e2aaaac
	v_fmac_f32_e32 v10, v7, v9
	v_mul_f32_e32 v7, v7, v10
	v_fmac_f32_e32 v8, v8, v7
	v_add_f32_e32 v8, v8, v8
	v_sub_f32_e32 v8, 0x3fc90fdb, v8
	v_fma_f32 v7, |v3|, v7, |v3|
	v_cmp_lt_f32_e64 vcc, |v3|, 0.5
	v_cndmask_b32_e32 v7, v8, v7, vcc
	s_brev_b32 s6, -2
	v_bfi_b32 v3, s6, v7, v3
	v_bfe_u32 v7, v3, 16, 1
	s_movk_i32 s6, 0x7fff
	v_add3_u32 v7, v3, v7, s6
	v_cmp_o_f32_e32 vcc, v3, v3
	v_mov_b32_e32 v3, 0x7fc0
	v_cndmask_b32_sdwa v7, v3, v7, vcc dst_sel:DWORD dst_unused:UNUSED_PAD src0_sel:DWORD src1_sel:WORD_1
.LBB61_10:
	s_or_b64 exec, exec, s[2:3]
	v_or_b32_e32 v3, 0x200, v0
	v_cmp_gt_i32_e32 vcc, s5, v3
                                        ; implicit-def: $vgpr3
	s_and_saveexec_b64 s[2:3], vcc
	s_cbranch_execz .LBB61_12
; %bb.11:
	v_fma_f32 v3, |v5|, -0.5, 0.5
	v_mul_f32_e32 v8, v5, v5
	v_cmp_ge_f32_e64 vcc, |v5|, 0.5
	v_cndmask_b32_e32 v3, v8, v3, vcc
	v_mov_b32_e32 v8, 0x3c5fc5da
	v_fmac_f32_e32 v8, 0x3d1c21a7, v3
	v_mov_b32_e32 v9, 0x3d034c3c
	v_fmac_f32_e32 v9, v3, v8
	;; [unrolled: 2-line block ×4, first 2 shown]
	v_sqrt_f32_e32 v8, v3
	v_mov_b32_e32 v10, 0x3e2aaaac
	v_fmac_f32_e32 v10, v3, v9
	v_mul_f32_e32 v3, v3, v10
	v_fmac_f32_e32 v8, v8, v3
	v_add_f32_e32 v8, v8, v8
	v_sub_f32_e32 v8, 0x3fc90fdb, v8
	v_fma_f32 v3, |v5|, v3, |v5|
	v_cmp_lt_f32_e64 vcc, |v5|, 0.5
	v_cndmask_b32_e32 v3, v8, v3, vcc
	s_brev_b32 s6, -2
	v_bfi_b32 v3, s6, v3, v5
	v_bfe_u32 v5, v3, 16, 1
	s_movk_i32 s6, 0x7fff
	v_add3_u32 v5, v3, v5, s6
	v_cmp_o_f32_e32 vcc, v3, v3
	v_mov_b32_e32 v3, 0x7fc0
	v_cndmask_b32_sdwa v3, v3, v5, vcc dst_sel:DWORD dst_unused:UNUSED_PAD src0_sel:DWORD src1_sel:WORD_1
.LBB61_12:
	s_or_b64 exec, exec, s[2:3]
	v_or_b32_e32 v5, 0x300, v0
	v_cmp_gt_i32_e32 vcc, s5, v5
                                        ; implicit-def: $vgpr5
	s_and_saveexec_b64 s[2:3], vcc
	s_cbranch_execnz .LBB61_20
; %bb.13:
	s_or_b64 exec, exec, s[2:3]
	s_and_saveexec_b64 s[2:3], s[0:1]
	s_xor_b64 s[0:1], exec, s[2:3]
	s_cbranch_execnz .LBB61_21
.LBB61_14:
	s_or_b64 exec, exec, s[0:1]
	v_cmp_gt_i32_e32 vcc, s5, v0
	s_and_saveexec_b64 s[0:1], vcc
	s_cbranch_execnz .LBB61_22
.LBB61_15:
	s_or_b64 exec, exec, s[0:1]
	v_cmp_gt_i32_e32 vcc, s5, v0
	s_and_saveexec_b64 s[0:1], vcc
	s_cbranch_execnz .LBB61_23
.LBB61_16:
	s_or_b64 exec, exec, s[0:1]
	v_cmp_gt_i32_e32 vcc, s5, v0
	s_and_saveexec_b64 s[0:1], vcc
	s_cbranch_execnz .LBB61_24
.LBB61_17:
	s_endpgm
.LBB61_18:
	v_add_u32_e32 v7, s4, v4
	v_mov_b32_e32 v8, 0
	v_lshlrev_b64 v[7:8], 1, v[7:8]
	v_mov_b32_e32 v5, s11
	v_add_co_u32_e32 v7, vcc, s10, v7
	v_addc_co_u32_e32 v8, vcc, v5, v8, vcc
	global_load_ushort v5, v[7:8], off
	v_add_u32_e32 v4, 0x100, v4
	s_waitcnt vmcnt(0)
	v_lshlrev_b32_e32 v5, 16, v5
	s_or_b64 exec, exec, s[2:3]
	v_cmp_gt_i32_e32 vcc, s5, v4
	s_and_saveexec_b64 s[2:3], vcc
	s_cbranch_execz .LBB61_6
.LBB61_19:
	v_add_u32_e32 v7, s4, v4
	v_mov_b32_e32 v8, 0
	v_lshlrev_b64 v[7:8], 1, v[7:8]
	v_mov_b32_e32 v2, s11
	v_add_co_u32_e32 v7, vcc, s10, v7
	v_addc_co_u32_e32 v8, vcc, v2, v8, vcc
	global_load_ushort v2, v[7:8], off
	s_waitcnt vmcnt(0)
	v_lshlrev_b32_e32 v2, 16, v2
	s_or_b64 exec, exec, s[2:3]
                                        ; implicit-def: $vgpr4
	s_and_saveexec_b64 s[2:3], s[0:1]
	s_cbranch_execnz .LBB61_7
	s_branch .LBB61_8
.LBB61_20:
	v_fma_f32 v5, |v2|, -0.5, 0.5
	v_mul_f32_e32 v8, v2, v2
	v_cmp_ge_f32_e64 vcc, |v2|, 0.5
	v_cndmask_b32_e32 v5, v8, v5, vcc
	v_mov_b32_e32 v8, 0x3c5fc5da
	v_fmac_f32_e32 v8, 0x3d1c21a7, v5
	v_mov_b32_e32 v9, 0x3d034c3c
	v_fmac_f32_e32 v9, v5, v8
	;; [unrolled: 2-line block ×4, first 2 shown]
	v_sqrt_f32_e32 v8, v5
	v_mov_b32_e32 v10, 0x3e2aaaac
	v_fmac_f32_e32 v10, v5, v9
	v_mul_f32_e32 v5, v5, v10
	v_fmac_f32_e32 v8, v8, v5
	v_add_f32_e32 v8, v8, v8
	v_sub_f32_e32 v8, 0x3fc90fdb, v8
	v_fma_f32 v5, |v2|, v5, |v2|
	v_cmp_lt_f32_e64 vcc, |v2|, 0.5
	v_cndmask_b32_e32 v5, v8, v5, vcc
	s_brev_b32 s6, -2
	v_bfi_b32 v2, s6, v5, v2
	v_bfe_u32 v5, v2, 16, 1
	s_movk_i32 s6, 0x7fff
	v_add3_u32 v5, v2, v5, s6
	v_cmp_o_f32_e32 vcc, v2, v2
	v_mov_b32_e32 v2, 0x7fc0
	v_cndmask_b32_sdwa v5, v2, v5, vcc dst_sel:DWORD dst_unused:UNUSED_PAD src0_sel:DWORD src1_sel:WORD_1
	s_or_b64 exec, exec, s[2:3]
	s_and_saveexec_b64 s[2:3], s[0:1]
	s_xor_b64 s[0:1], exec, s[2:3]
	s_cbranch_execz .LBB61_14
.LBB61_21:
	v_mov_b32_e32 v2, 0
	v_lshlrev_b64 v[0:1], 1, v[1:2]
	v_mov_b32_e32 v2, s9
	v_add_co_u32_e32 v0, vcc, s8, v0
	v_addc_co_u32_e32 v1, vcc, v2, v1, vcc
	global_store_short v[0:1], v4, off
	v_mov_b32_e32 v0, v6
	s_or_b64 exec, exec, s[0:1]
	v_cmp_gt_i32_e32 vcc, s5, v0
	s_and_saveexec_b64 s[0:1], vcc
	s_cbranch_execz .LBB61_15
.LBB61_22:
	v_add_u32_e32 v2, 0x100, v0
	v_add_u32_e32 v0, s4, v0
	v_mov_b32_e32 v1, 0
	v_lshlrev_b64 v[0:1], 1, v[0:1]
	v_mov_b32_e32 v4, s9
	v_add_co_u32_e32 v0, vcc, s8, v0
	v_addc_co_u32_e32 v1, vcc, v4, v1, vcc
	global_store_short v[0:1], v7, off
	v_mov_b32_e32 v0, v2
	s_or_b64 exec, exec, s[0:1]
	v_cmp_gt_i32_e32 vcc, s5, v0
	s_and_saveexec_b64 s[0:1], vcc
	s_cbranch_execz .LBB61_16
.LBB61_23:
	v_add_u32_e32 v2, 0x100, v0
	v_add_u32_e32 v0, s4, v0
	v_mov_b32_e32 v1, 0
	v_lshlrev_b64 v[0:1], 1, v[0:1]
	v_mov_b32_e32 v4, s9
	v_add_co_u32_e32 v0, vcc, s8, v0
	v_addc_co_u32_e32 v1, vcc, v4, v1, vcc
	global_store_short v[0:1], v3, off
	v_mov_b32_e32 v0, v2
	s_or_b64 exec, exec, s[0:1]
	v_cmp_gt_i32_e32 vcc, s5, v0
	s_and_saveexec_b64 s[0:1], vcc
	s_cbranch_execz .LBB61_17
.LBB61_24:
	v_add_u32_e32 v0, s4, v0
	v_mov_b32_e32 v1, 0
	v_lshlrev_b64 v[0:1], 1, v[0:1]
	v_mov_b32_e32 v2, s9
	v_add_co_u32_e32 v0, vcc, s8, v0
	v_addc_co_u32_e32 v1, vcc, v2, v1, vcc
	global_store_short v[0:1], v5, off
	s_endpgm
	.section	.rodata,"a",@progbits
	.p2align	6, 0x0
	.amdhsa_kernel _ZN2at6native27unrolled_elementwise_kernelIZZZNS0_16asin_kernel_cudaERNS_18TensorIteratorBaseEENKUlvE0_clEvENKUlvE2_clEvEUlN3c108BFloat16EE_St5arrayIPcLm2EELi4E23TrivialOffsetCalculatorILi1EjESD_NS0_6memory15LoadWithoutCastENSE_16StoreWithoutCastEEEviT_T0_T2_T3_T4_T5_
		.amdhsa_group_segment_fixed_size 0
		.amdhsa_private_segment_fixed_size 0
		.amdhsa_kernarg_size 28
		.amdhsa_user_sgpr_count 6
		.amdhsa_user_sgpr_private_segment_buffer 1
		.amdhsa_user_sgpr_dispatch_ptr 0
		.amdhsa_user_sgpr_queue_ptr 0
		.amdhsa_user_sgpr_kernarg_segment_ptr 1
		.amdhsa_user_sgpr_dispatch_id 0
		.amdhsa_user_sgpr_flat_scratch_init 0
		.amdhsa_user_sgpr_private_segment_size 0
		.amdhsa_uses_dynamic_stack 0
		.amdhsa_system_sgpr_private_segment_wavefront_offset 0
		.amdhsa_system_sgpr_workgroup_id_x 1
		.amdhsa_system_sgpr_workgroup_id_y 0
		.amdhsa_system_sgpr_workgroup_id_z 0
		.amdhsa_system_sgpr_workgroup_info 0
		.amdhsa_system_vgpr_workitem_id 0
		.amdhsa_next_free_vgpr 11
		.amdhsa_next_free_sgpr 12
		.amdhsa_reserve_vcc 1
		.amdhsa_reserve_flat_scratch 0
		.amdhsa_float_round_mode_32 0
		.amdhsa_float_round_mode_16_64 0
		.amdhsa_float_denorm_mode_32 3
		.amdhsa_float_denorm_mode_16_64 3
		.amdhsa_dx10_clamp 1
		.amdhsa_ieee_mode 1
		.amdhsa_fp16_overflow 0
		.amdhsa_exception_fp_ieee_invalid_op 0
		.amdhsa_exception_fp_denorm_src 0
		.amdhsa_exception_fp_ieee_div_zero 0
		.amdhsa_exception_fp_ieee_overflow 0
		.amdhsa_exception_fp_ieee_underflow 0
		.amdhsa_exception_fp_ieee_inexact 0
		.amdhsa_exception_int_div_zero 0
	.end_amdhsa_kernel
	.section	.text._ZN2at6native27unrolled_elementwise_kernelIZZZNS0_16asin_kernel_cudaERNS_18TensorIteratorBaseEENKUlvE0_clEvENKUlvE2_clEvEUlN3c108BFloat16EE_St5arrayIPcLm2EELi4E23TrivialOffsetCalculatorILi1EjESD_NS0_6memory15LoadWithoutCastENSE_16StoreWithoutCastEEEviT_T0_T2_T3_T4_T5_,"axG",@progbits,_ZN2at6native27unrolled_elementwise_kernelIZZZNS0_16asin_kernel_cudaERNS_18TensorIteratorBaseEENKUlvE0_clEvENKUlvE2_clEvEUlN3c108BFloat16EE_St5arrayIPcLm2EELi4E23TrivialOffsetCalculatorILi1EjESD_NS0_6memory15LoadWithoutCastENSE_16StoreWithoutCastEEEviT_T0_T2_T3_T4_T5_,comdat
.Lfunc_end61:
	.size	_ZN2at6native27unrolled_elementwise_kernelIZZZNS0_16asin_kernel_cudaERNS_18TensorIteratorBaseEENKUlvE0_clEvENKUlvE2_clEvEUlN3c108BFloat16EE_St5arrayIPcLm2EELi4E23TrivialOffsetCalculatorILi1EjESD_NS0_6memory15LoadWithoutCastENSE_16StoreWithoutCastEEEviT_T0_T2_T3_T4_T5_, .Lfunc_end61-_ZN2at6native27unrolled_elementwise_kernelIZZZNS0_16asin_kernel_cudaERNS_18TensorIteratorBaseEENKUlvE0_clEvENKUlvE2_clEvEUlN3c108BFloat16EE_St5arrayIPcLm2EELi4E23TrivialOffsetCalculatorILi1EjESD_NS0_6memory15LoadWithoutCastENSE_16StoreWithoutCastEEEviT_T0_T2_T3_T4_T5_
                                        ; -- End function
	.set _ZN2at6native27unrolled_elementwise_kernelIZZZNS0_16asin_kernel_cudaERNS_18TensorIteratorBaseEENKUlvE0_clEvENKUlvE2_clEvEUlN3c108BFloat16EE_St5arrayIPcLm2EELi4E23TrivialOffsetCalculatorILi1EjESD_NS0_6memory15LoadWithoutCastENSE_16StoreWithoutCastEEEviT_T0_T2_T3_T4_T5_.num_vgpr, 11
	.set _ZN2at6native27unrolled_elementwise_kernelIZZZNS0_16asin_kernel_cudaERNS_18TensorIteratorBaseEENKUlvE0_clEvENKUlvE2_clEvEUlN3c108BFloat16EE_St5arrayIPcLm2EELi4E23TrivialOffsetCalculatorILi1EjESD_NS0_6memory15LoadWithoutCastENSE_16StoreWithoutCastEEEviT_T0_T2_T3_T4_T5_.num_agpr, 0
	.set _ZN2at6native27unrolled_elementwise_kernelIZZZNS0_16asin_kernel_cudaERNS_18TensorIteratorBaseEENKUlvE0_clEvENKUlvE2_clEvEUlN3c108BFloat16EE_St5arrayIPcLm2EELi4E23TrivialOffsetCalculatorILi1EjESD_NS0_6memory15LoadWithoutCastENSE_16StoreWithoutCastEEEviT_T0_T2_T3_T4_T5_.numbered_sgpr, 12
	.set _ZN2at6native27unrolled_elementwise_kernelIZZZNS0_16asin_kernel_cudaERNS_18TensorIteratorBaseEENKUlvE0_clEvENKUlvE2_clEvEUlN3c108BFloat16EE_St5arrayIPcLm2EELi4E23TrivialOffsetCalculatorILi1EjESD_NS0_6memory15LoadWithoutCastENSE_16StoreWithoutCastEEEviT_T0_T2_T3_T4_T5_.num_named_barrier, 0
	.set _ZN2at6native27unrolled_elementwise_kernelIZZZNS0_16asin_kernel_cudaERNS_18TensorIteratorBaseEENKUlvE0_clEvENKUlvE2_clEvEUlN3c108BFloat16EE_St5arrayIPcLm2EELi4E23TrivialOffsetCalculatorILi1EjESD_NS0_6memory15LoadWithoutCastENSE_16StoreWithoutCastEEEviT_T0_T2_T3_T4_T5_.private_seg_size, 0
	.set _ZN2at6native27unrolled_elementwise_kernelIZZZNS0_16asin_kernel_cudaERNS_18TensorIteratorBaseEENKUlvE0_clEvENKUlvE2_clEvEUlN3c108BFloat16EE_St5arrayIPcLm2EELi4E23TrivialOffsetCalculatorILi1EjESD_NS0_6memory15LoadWithoutCastENSE_16StoreWithoutCastEEEviT_T0_T2_T3_T4_T5_.uses_vcc, 1
	.set _ZN2at6native27unrolled_elementwise_kernelIZZZNS0_16asin_kernel_cudaERNS_18TensorIteratorBaseEENKUlvE0_clEvENKUlvE2_clEvEUlN3c108BFloat16EE_St5arrayIPcLm2EELi4E23TrivialOffsetCalculatorILi1EjESD_NS0_6memory15LoadWithoutCastENSE_16StoreWithoutCastEEEviT_T0_T2_T3_T4_T5_.uses_flat_scratch, 0
	.set _ZN2at6native27unrolled_elementwise_kernelIZZZNS0_16asin_kernel_cudaERNS_18TensorIteratorBaseEENKUlvE0_clEvENKUlvE2_clEvEUlN3c108BFloat16EE_St5arrayIPcLm2EELi4E23TrivialOffsetCalculatorILi1EjESD_NS0_6memory15LoadWithoutCastENSE_16StoreWithoutCastEEEviT_T0_T2_T3_T4_T5_.has_dyn_sized_stack, 0
	.set _ZN2at6native27unrolled_elementwise_kernelIZZZNS0_16asin_kernel_cudaERNS_18TensorIteratorBaseEENKUlvE0_clEvENKUlvE2_clEvEUlN3c108BFloat16EE_St5arrayIPcLm2EELi4E23TrivialOffsetCalculatorILi1EjESD_NS0_6memory15LoadWithoutCastENSE_16StoreWithoutCastEEEviT_T0_T2_T3_T4_T5_.has_recursion, 0
	.set _ZN2at6native27unrolled_elementwise_kernelIZZZNS0_16asin_kernel_cudaERNS_18TensorIteratorBaseEENKUlvE0_clEvENKUlvE2_clEvEUlN3c108BFloat16EE_St5arrayIPcLm2EELi4E23TrivialOffsetCalculatorILi1EjESD_NS0_6memory15LoadWithoutCastENSE_16StoreWithoutCastEEEviT_T0_T2_T3_T4_T5_.has_indirect_call, 0
	.section	.AMDGPU.csdata,"",@progbits
; Kernel info:
; codeLenInByte = 1468
; TotalNumSgprs: 16
; NumVgprs: 11
; ScratchSize: 0
; MemoryBound: 0
; FloatMode: 240
; IeeeMode: 1
; LDSByteSize: 0 bytes/workgroup (compile time only)
; SGPRBlocks: 1
; VGPRBlocks: 2
; NumSGPRsForWavesPerEU: 16
; NumVGPRsForWavesPerEU: 11
; Occupancy: 10
; WaveLimiterHint : 0
; COMPUTE_PGM_RSRC2:SCRATCH_EN: 0
; COMPUTE_PGM_RSRC2:USER_SGPR: 6
; COMPUTE_PGM_RSRC2:TRAP_HANDLER: 0
; COMPUTE_PGM_RSRC2:TGID_X_EN: 1
; COMPUTE_PGM_RSRC2:TGID_Y_EN: 0
; COMPUTE_PGM_RSRC2:TGID_Z_EN: 0
; COMPUTE_PGM_RSRC2:TIDIG_COMP_CNT: 0
	.section	.text._ZN2at6native32elementwise_kernel_manual_unrollILi128ELi8EZNS0_22gpu_kernel_impl_nocastIZZZNS0_16asin_kernel_cudaERNS_18TensorIteratorBaseEENKUlvE0_clEvENKUlvE2_clEvEUlN3c108BFloat16EE_EEvS4_RKT_EUlibE_EEviT1_,"axG",@progbits,_ZN2at6native32elementwise_kernel_manual_unrollILi128ELi8EZNS0_22gpu_kernel_impl_nocastIZZZNS0_16asin_kernel_cudaERNS_18TensorIteratorBaseEENKUlvE0_clEvENKUlvE2_clEvEUlN3c108BFloat16EE_EEvS4_RKT_EUlibE_EEviT1_,comdat
	.globl	_ZN2at6native32elementwise_kernel_manual_unrollILi128ELi8EZNS0_22gpu_kernel_impl_nocastIZZZNS0_16asin_kernel_cudaERNS_18TensorIteratorBaseEENKUlvE0_clEvENKUlvE2_clEvEUlN3c108BFloat16EE_EEvS4_RKT_EUlibE_EEviT1_ ; -- Begin function _ZN2at6native32elementwise_kernel_manual_unrollILi128ELi8EZNS0_22gpu_kernel_impl_nocastIZZZNS0_16asin_kernel_cudaERNS_18TensorIteratorBaseEENKUlvE0_clEvENKUlvE2_clEvEUlN3c108BFloat16EE_EEvS4_RKT_EUlibE_EEviT1_
	.p2align	8
	.type	_ZN2at6native32elementwise_kernel_manual_unrollILi128ELi8EZNS0_22gpu_kernel_impl_nocastIZZZNS0_16asin_kernel_cudaERNS_18TensorIteratorBaseEENKUlvE0_clEvENKUlvE2_clEvEUlN3c108BFloat16EE_EEvS4_RKT_EUlibE_EEviT1_,@function
_ZN2at6native32elementwise_kernel_manual_unrollILi128ELi8EZNS0_22gpu_kernel_impl_nocastIZZZNS0_16asin_kernel_cudaERNS_18TensorIteratorBaseEENKUlvE0_clEvENKUlvE2_clEvEUlN3c108BFloat16EE_EEvS4_RKT_EUlibE_EEviT1_: ; @_ZN2at6native32elementwise_kernel_manual_unrollILi128ELi8EZNS0_22gpu_kernel_impl_nocastIZZZNS0_16asin_kernel_cudaERNS_18TensorIteratorBaseEENKUlvE0_clEvENKUlvE2_clEvEUlN3c108BFloat16EE_EEvS4_RKT_EUlibE_EEviT1_
; %bb.0:
	s_load_dword s55, s[4:5], 0x0
	s_load_dword s33, s[4:5], 0x8
	s_add_u32 s34, s4, 8
	s_addc_u32 s35, s5, 0
	v_lshl_or_b32 v19, s6, 10, v0
	v_or_b32_e32 v25, 0x380, v19
	s_waitcnt lgkmcnt(0)
	s_add_i32 s54, s33, -1
	s_cmp_gt_u32 s54, 1
	v_cmp_le_i32_e32 vcc, s55, v25
	s_cselect_b64 s[36:37], -1, 0
	s_and_saveexec_b64 s[0:1], vcc
	s_xor_b64 s[38:39], exec, s[0:1]
	s_cbranch_execz .LBB62_7
; %bb.1:
	s_load_dwordx4 s[24:27], s[34:35], 0x4
	s_load_dwordx2 s[40:41], s[34:35], 0x14
	s_load_dwordx4 s[20:23], s[34:35], 0xc4
	s_load_dwordx4 s[16:19], s[34:35], 0x148
	s_cmp_lg_u32 s33, 0
	s_cselect_b64 s[46:47], -1, 0
	s_add_u32 s44, s34, 0xc4
	s_addc_u32 s45, s35, 0
	s_min_u32 s56, s54, 15
	s_cmp_gt_u32 s33, 1
	s_cselect_b64 s[42:43], -1, 0
	v_cmp_gt_i32_e32 vcc, s55, v19
	s_and_saveexec_b64 s[48:49], vcc
	s_cbranch_execz .LBB62_14
; %bb.2:
	s_andn2_b64 vcc, exec, s[36:37]
	s_cbranch_vccnz .LBB62_21
; %bb.3:
	s_andn2_b64 vcc, exec, s[46:47]
	s_cbranch_vccnz .LBB62_129
; %bb.4:
	s_add_i32 s58, s56, 1
	s_cmp_eq_u32 s54, 2
	s_cbranch_scc1 .LBB62_131
; %bb.5:
	s_and_b32 s57, s58, 28
	v_mov_b32_e32 v2, 0
	s_mov_b32 s59, 0
	s_mov_b64 s[50:51], s[34:35]
	s_mov_b64 s[52:53], s[44:45]
	v_mov_b32_e32 v0, 0
	v_mov_b32_e32 v1, v19
.LBB62_6:                               ; =>This Inner Loop Header: Depth=1
	s_load_dwordx8 s[8:15], s[50:51], 0x4
	s_load_dwordx4 s[28:31], s[50:51], 0x24
	s_load_dwordx8 s[0:7], s[52:53], 0x0
	s_add_u32 s50, s50, 48
	s_addc_u32 s51, s51, 0
	s_waitcnt lgkmcnt(0)
	v_mul_hi_u32 v3, s9, v1
	s_add_i32 s59, s59, 4
	s_add_u32 s52, s52, 32
	s_addc_u32 s53, s53, 0
	v_add_u32_e32 v3, v1, v3
	v_lshrrev_b32_e32 v3, s10, v3
	v_mul_lo_u32 v4, v3, s8
	v_mul_hi_u32 v5, s12, v3
	s_cmp_lg_u32 s57, s59
	v_sub_u32_e32 v1, v1, v4
	v_add_u32_e32 v4, v3, v5
	v_mul_lo_u32 v5, v1, s0
	v_mul_lo_u32 v6, v1, s1
	v_lshrrev_b32_e32 v1, s13, v4
	v_mul_lo_u32 v4, v1, s11
	v_mul_hi_u32 v7, s15, v1
	v_sub_u32_e32 v3, v3, v4
	v_add_u32_e32 v4, v1, v7
	v_lshrrev_b32_e32 v4, s28, v4
	v_mul_hi_u32 v8, s30, v4
	v_mul_lo_u32 v9, v4, s14
	v_mul_lo_u32 v7, v3, s2
	;; [unrolled: 1-line block ×3, first 2 shown]
	v_sub_u32_e32 v9, v1, v9
	v_add_u32_e32 v1, v4, v8
	v_lshrrev_b32_e32 v1, s31, v1
	v_mul_lo_u32 v8, v1, s29
	v_mul_lo_u32 v10, v9, s4
	;; [unrolled: 1-line block ×3, first 2 shown]
	v_add3_u32 v0, v5, v0, v7
	v_sub_u32_e32 v4, v4, v8
	v_mul_lo_u32 v8, v4, s6
	v_mul_lo_u32 v4, v4, s7
	v_add3_u32 v2, v6, v2, v3
	v_add3_u32 v0, v10, v0, v8
	;; [unrolled: 1-line block ×3, first 2 shown]
	s_cbranch_scc1 .LBB62_6
	s_branch .LBB62_132
.LBB62_7:
	s_andn2_saveexec_b64 s[0:1], s[38:39]
	s_cbranch_execz .LBB62_221
.LBB62_8:
	v_cndmask_b32_e64 v0, 0, 1, s[36:37]
	v_cmp_ne_u32_e64 s[0:1], 1, v0
	s_andn2_b64 vcc, exec, s[36:37]
	s_cbranch_vccnz .LBB62_20
; %bb.9:
	s_cmp_lg_u32 s33, 0
	s_waitcnt lgkmcnt(0)
	s_mov_b32 s26, 0
	s_cbranch_scc0 .LBB62_23
; %bb.10:
	s_min_u32 s27, s54, 15
	s_add_i32 s27, s27, 1
	s_cmp_eq_u32 s54, 2
	s_cbranch_scc1 .LBB62_24
; %bb.11:
	s_and_b32 s26, s27, 28
	s_add_u32 s2, s34, 0xc4
	s_addc_u32 s3, s35, 0
	v_mov_b32_e32 v2, 0
	s_mov_b32 s28, 0
	s_mov_b64 s[24:25], s[34:35]
	v_mov_b32_e32 v0, 0
	v_mov_b32_e32 v1, v19
.LBB62_12:                              ; =>This Inner Loop Header: Depth=1
	s_load_dwordx8 s[12:19], s[24:25], 0x4
	s_load_dwordx4 s[20:23], s[24:25], 0x24
	s_load_dwordx8 s[4:11], s[2:3], 0x0
	s_add_u32 s24, s24, 48
	s_addc_u32 s25, s25, 0
	s_waitcnt lgkmcnt(0)
	v_mul_hi_u32 v3, s13, v1
	s_add_i32 s28, s28, 4
	s_add_u32 s2, s2, 32
	s_addc_u32 s3, s3, 0
	v_add_u32_e32 v3, v1, v3
	v_lshrrev_b32_e32 v3, s14, v3
	v_mul_lo_u32 v4, v3, s12
	v_mul_hi_u32 v5, s16, v3
	s_cmp_lg_u32 s26, s28
	v_sub_u32_e32 v1, v1, v4
	v_add_u32_e32 v4, v3, v5
	v_mul_lo_u32 v5, v1, s4
	v_mul_lo_u32 v6, v1, s5
	v_lshrrev_b32_e32 v1, s17, v4
	v_mul_lo_u32 v4, v1, s15
	v_mul_hi_u32 v7, s19, v1
	v_sub_u32_e32 v3, v3, v4
	v_add_u32_e32 v4, v1, v7
	v_lshrrev_b32_e32 v4, s20, v4
	v_mul_hi_u32 v8, s22, v4
	v_mul_lo_u32 v9, v4, s18
	v_mul_lo_u32 v7, v3, s6
	v_mul_lo_u32 v3, v3, s7
	v_sub_u32_e32 v9, v1, v9
	v_add_u32_e32 v1, v4, v8
	v_lshrrev_b32_e32 v1, s23, v1
	v_mul_lo_u32 v8, v1, s21
	v_mul_lo_u32 v10, v9, s8
	;; [unrolled: 1-line block ×3, first 2 shown]
	v_add3_u32 v0, v5, v0, v7
	v_sub_u32_e32 v4, v4, v8
	v_mul_lo_u32 v8, v4, s10
	v_mul_lo_u32 v4, v4, s11
	v_add3_u32 v2, v6, v2, v3
	v_add3_u32 v0, v10, v0, v8
	;; [unrolled: 1-line block ×3, first 2 shown]
	s_cbranch_scc1 .LBB62_12
; %bb.13:
	s_and_b32 s6, s27, 3
	s_cmp_eq_u32 s6, 0
	s_cbranch_scc0 .LBB62_25
	s_branch .LBB62_27
.LBB62_14:
	s_or_b64 exec, exec, s[48:49]
	v_cmp_gt_i32_e32 vcc, s55, v19
	s_and_saveexec_b64 s[48:49], vcc
	s_cbranch_execz .LBB62_139
.LBB62_15:
	s_andn2_b64 vcc, exec, s[36:37]
	s_cbranch_vccnz .LBB62_22
; %bb.16:
	s_andn2_b64 vcc, exec, s[46:47]
	s_cbranch_vccnz .LBB62_130
; %bb.17:
	s_add_i32 s58, s56, 1
	s_cmp_eq_u32 s54, 2
	s_cbranch_scc1 .LBB62_147
; %bb.18:
	s_and_b32 s57, s58, 28
	v_mov_b32_e32 v2, 0
	s_mov_b32 s59, 0
	s_mov_b64 s[50:51], s[34:35]
	s_mov_b64 s[52:53], s[44:45]
	v_mov_b32_e32 v0, 0
	v_mov_b32_e32 v1, v19
.LBB62_19:                              ; =>This Inner Loop Header: Depth=1
	s_load_dwordx8 s[8:15], s[50:51], 0x4
	s_load_dwordx4 s[28:31], s[50:51], 0x24
	s_load_dwordx8 s[0:7], s[52:53], 0x0
	s_add_u32 s50, s50, 48
	s_addc_u32 s51, s51, 0
	s_waitcnt lgkmcnt(0)
	v_mul_hi_u32 v3, s9, v1
	s_add_i32 s59, s59, 4
	s_add_u32 s52, s52, 32
	s_addc_u32 s53, s53, 0
	v_add_u32_e32 v3, v1, v3
	v_lshrrev_b32_e32 v3, s10, v3
	v_mul_lo_u32 v4, v3, s8
	v_mul_hi_u32 v5, s12, v3
	s_cmp_eq_u32 s57, s59
	v_sub_u32_e32 v1, v1, v4
	v_add_u32_e32 v4, v3, v5
	v_mul_lo_u32 v5, v1, s0
	v_mul_lo_u32 v6, v1, s1
	v_lshrrev_b32_e32 v1, s13, v4
	v_mul_lo_u32 v4, v1, s11
	v_mul_hi_u32 v7, s15, v1
	v_sub_u32_e32 v3, v3, v4
	v_add_u32_e32 v4, v1, v7
	v_lshrrev_b32_e32 v4, s28, v4
	v_mul_hi_u32 v8, s30, v4
	v_mul_lo_u32 v9, v4, s14
	v_mul_lo_u32 v7, v3, s2
	;; [unrolled: 1-line block ×3, first 2 shown]
	v_sub_u32_e32 v9, v1, v9
	v_add_u32_e32 v1, v4, v8
	v_lshrrev_b32_e32 v1, s31, v1
	v_mul_lo_u32 v8, v1, s29
	v_mul_lo_u32 v10, v9, s4
	;; [unrolled: 1-line block ×3, first 2 shown]
	v_add3_u32 v0, v5, v0, v7
	v_sub_u32_e32 v4, v4, v8
	v_mul_lo_u32 v8, v4, s6
	v_mul_lo_u32 v4, v4, s7
	v_add3_u32 v2, v6, v2, v3
	v_add3_u32 v0, v10, v0, v8
	;; [unrolled: 1-line block ×3, first 2 shown]
	s_cbranch_scc0 .LBB62_19
	s_branch .LBB62_148
.LBB62_20:
                                        ; implicit-def: $vgpr0
                                        ; implicit-def: $vgpr2
	s_branch .LBB62_28
.LBB62_21:
                                        ; implicit-def: $vgpr0
                                        ; implicit-def: $vgpr2
	s_branch .LBB62_136
.LBB62_22:
                                        ; implicit-def: $vgpr0
                                        ; implicit-def: $vgpr2
	s_branch .LBB62_152
.LBB62_23:
	v_mov_b32_e32 v0, 0
	v_mov_b32_e32 v2, 0
	s_branch .LBB62_27
.LBB62_24:
	v_mov_b32_e32 v0, 0
	v_mov_b32_e32 v2, 0
	;; [unrolled: 1-line block ×3, first 2 shown]
	s_and_b32 s6, s27, 3
	s_cmp_eq_u32 s6, 0
	s_cbranch_scc1 .LBB62_27
.LBB62_25:
	s_lshl_b32 s2, s26, 3
	s_add_u32 s2, s34, s2
	s_addc_u32 s3, s35, 0
	s_add_u32 s2, s2, 0xc4
	s_addc_u32 s3, s3, 0
	s_mul_i32 s4, s26, 12
	s_add_u32 s4, s34, s4
	s_addc_u32 s5, s35, 0
.LBB62_26:                              ; =>This Inner Loop Header: Depth=1
	s_load_dwordx2 s[8:9], s[4:5], 0x4
	s_load_dword s7, s[4:5], 0xc
	s_load_dwordx2 s[10:11], s[2:3], 0x0
	s_add_u32 s4, s4, 12
	s_addc_u32 s5, s5, 0
	s_waitcnt lgkmcnt(0)
	v_mul_hi_u32 v4, s9, v1
	s_add_u32 s2, s2, 8
	s_addc_u32 s3, s3, 0
	s_add_i32 s6, s6, -1
	v_add_u32_e32 v4, v1, v4
	v_lshrrev_b32_e32 v4, s7, v4
	v_mul_lo_u32 v5, v4, s8
	s_cmp_lg_u32 s6, 0
	v_sub_u32_e32 v5, v1, v5
	v_mad_u64_u32 v[0:1], s[8:9], v5, s10, v[0:1]
	v_mad_u64_u32 v[2:3], s[8:9], v5, s11, v[2:3]
	v_mov_b32_e32 v1, v4
	s_cbranch_scc1 .LBB62_26
.LBB62_27:
	s_cbranch_execnz .LBB62_30
.LBB62_28:
	s_load_dwordx4 s[4:7], s[34:35], 0x4
	s_load_dwordx2 s[2:3], s[34:35], 0xc4
	s_cmp_lt_u32 s33, 2
	s_waitcnt lgkmcnt(0)
	v_mul_hi_u32 v0, s5, v19
	v_add_u32_e32 v0, v19, v0
	v_lshrrev_b32_e32 v1, s6, v0
	v_mul_lo_u32 v0, v1, s4
	v_sub_u32_e32 v2, v19, v0
	v_mul_lo_u32 v0, v2, s2
	v_mul_lo_u32 v2, v2, s3
	s_cbranch_scc1 .LBB62_30
; %bb.29:
	s_load_dwordx4 s[4:7], s[34:35], 0x10
	s_load_dwordx2 s[2:3], s[34:35], 0xcc
	s_waitcnt lgkmcnt(0)
	v_mul_hi_u32 v3, s5, v1
	v_add_u32_e32 v3, v1, v3
	v_lshrrev_b32_e32 v3, s6, v3
	v_mul_lo_u32 v3, v3, s4
	v_sub_u32_e32 v3, v1, v3
	v_mad_u64_u32 v[0:1], s[4:5], v3, s2, v[0:1]
	v_mad_u64_u32 v[2:3], s[2:3], v3, s3, v[2:3]
.LBB62_30:
	s_and_b64 vcc, exec, s[0:1]
	v_add_u32_e32 v1, 0x80, v19
	s_cbranch_vccnz .LBB62_36
; %bb.31:
	s_cmp_lg_u32 s33, 0
	s_waitcnt lgkmcnt(0)
	s_mov_b32 s26, 0
	s_cbranch_scc0 .LBB62_37
; %bb.32:
	s_min_u32 s27, s54, 15
	s_add_i32 s27, s27, 1
	s_cmp_eq_u32 s54, 2
	s_cbranch_scc1 .LBB62_38
; %bb.33:
	s_and_b32 s26, s27, 28
	s_add_u32 s2, s34, 0xc4
	s_addc_u32 s3, s35, 0
	v_mov_b32_e32 v5, 0
	s_mov_b32 s28, 0
	s_mov_b64 s[24:25], s[34:35]
	v_mov_b32_e32 v3, 0
	v_mov_b32_e32 v4, v1
.LBB62_34:                              ; =>This Inner Loop Header: Depth=1
	s_load_dwordx8 s[12:19], s[24:25], 0x4
	s_load_dwordx4 s[20:23], s[24:25], 0x24
	s_load_dwordx8 s[4:11], s[2:3], 0x0
	s_add_u32 s24, s24, 48
	s_addc_u32 s25, s25, 0
	s_waitcnt lgkmcnt(0)
	v_mul_hi_u32 v6, s13, v4
	s_add_i32 s28, s28, 4
	s_add_u32 s2, s2, 32
	s_addc_u32 s3, s3, 0
	v_add_u32_e32 v6, v4, v6
	v_lshrrev_b32_e32 v6, s14, v6
	v_mul_lo_u32 v7, v6, s12
	v_mul_hi_u32 v8, s16, v6
	s_cmp_lg_u32 s26, s28
	v_sub_u32_e32 v4, v4, v7
	v_add_u32_e32 v7, v6, v8
	v_mul_lo_u32 v8, v4, s4
	v_mul_lo_u32 v9, v4, s5
	v_lshrrev_b32_e32 v4, s17, v7
	v_mul_lo_u32 v7, v4, s15
	v_mul_hi_u32 v10, s19, v4
	v_sub_u32_e32 v6, v6, v7
	v_add_u32_e32 v7, v4, v10
	v_lshrrev_b32_e32 v7, s20, v7
	v_mul_hi_u32 v11, s22, v7
	v_mul_lo_u32 v12, v7, s18
	v_mul_lo_u32 v10, v6, s6
	;; [unrolled: 1-line block ×3, first 2 shown]
	v_sub_u32_e32 v12, v4, v12
	v_add_u32_e32 v4, v7, v11
	v_lshrrev_b32_e32 v4, s23, v4
	v_mul_lo_u32 v11, v4, s21
	v_mul_lo_u32 v13, v12, s8
	;; [unrolled: 1-line block ×3, first 2 shown]
	v_add3_u32 v3, v8, v3, v10
	v_sub_u32_e32 v7, v7, v11
	v_mul_lo_u32 v11, v7, s10
	v_mul_lo_u32 v7, v7, s11
	v_add3_u32 v5, v9, v5, v6
	v_add3_u32 v3, v13, v3, v11
	;; [unrolled: 1-line block ×3, first 2 shown]
	s_cbranch_scc1 .LBB62_34
; %bb.35:
	s_and_b32 s6, s27, 3
	s_cmp_eq_u32 s6, 0
	s_cbranch_scc0 .LBB62_39
	s_branch .LBB62_41
.LBB62_36:
                                        ; implicit-def: $vgpr3
                                        ; implicit-def: $vgpr5
	s_branch .LBB62_42
.LBB62_37:
	v_mov_b32_e32 v3, 0
	v_mov_b32_e32 v5, 0
	s_branch .LBB62_41
.LBB62_38:
	v_mov_b32_e32 v3, 0
	v_mov_b32_e32 v5, 0
	;; [unrolled: 1-line block ×3, first 2 shown]
	s_and_b32 s6, s27, 3
	s_cmp_eq_u32 s6, 0
	s_cbranch_scc1 .LBB62_41
.LBB62_39:
	s_lshl_b32 s2, s26, 3
	s_add_u32 s2, s34, s2
	s_addc_u32 s3, s35, 0
	s_add_u32 s2, s2, 0xc4
	s_addc_u32 s3, s3, 0
	s_mul_i32 s4, s26, 12
	s_add_u32 s4, s34, s4
	s_addc_u32 s5, s35, 0
.LBB62_40:                              ; =>This Inner Loop Header: Depth=1
	s_load_dwordx2 s[8:9], s[4:5], 0x4
	s_load_dword s7, s[4:5], 0xc
	s_load_dwordx2 s[10:11], s[2:3], 0x0
	s_add_u32 s4, s4, 12
	s_addc_u32 s5, s5, 0
	s_waitcnt lgkmcnt(0)
	v_mul_hi_u32 v7, s9, v4
	s_add_u32 s2, s2, 8
	s_addc_u32 s3, s3, 0
	s_add_i32 s6, s6, -1
	v_add_u32_e32 v7, v4, v7
	v_lshrrev_b32_e32 v7, s7, v7
	v_mul_lo_u32 v8, v7, s8
	s_cmp_lg_u32 s6, 0
	v_sub_u32_e32 v8, v4, v8
	v_mad_u64_u32 v[3:4], s[8:9], v8, s10, v[3:4]
	v_mad_u64_u32 v[5:6], s[8:9], v8, s11, v[5:6]
	v_mov_b32_e32 v4, v7
	s_cbranch_scc1 .LBB62_40
.LBB62_41:
	s_cbranch_execnz .LBB62_44
.LBB62_42:
	s_load_dwordx4 s[4:7], s[34:35], 0x4
	s_load_dwordx2 s[2:3], s[34:35], 0xc4
	s_cmp_lt_u32 s33, 2
	s_waitcnt lgkmcnt(0)
	v_mul_hi_u32 v3, s5, v1
	v_add_u32_e32 v3, v1, v3
	v_lshrrev_b32_e32 v4, s6, v3
	v_mul_lo_u32 v3, v4, s4
	v_sub_u32_e32 v1, v1, v3
	v_mul_lo_u32 v3, v1, s2
	v_mul_lo_u32 v5, v1, s3
	s_cbranch_scc1 .LBB62_44
; %bb.43:
	s_load_dwordx4 s[4:7], s[34:35], 0x10
	s_load_dwordx2 s[2:3], s[34:35], 0xcc
	s_waitcnt lgkmcnt(0)
	v_mul_hi_u32 v1, s5, v4
	v_add_u32_e32 v1, v4, v1
	v_lshrrev_b32_e32 v1, s6, v1
	v_mul_lo_u32 v1, v1, s4
	v_sub_u32_e32 v1, v4, v1
	v_mad_u64_u32 v[3:4], s[4:5], v1, s2, v[3:4]
	v_mad_u64_u32 v[5:6], s[2:3], v1, s3, v[5:6]
.LBB62_44:
	s_and_b64 vcc, exec, s[0:1]
	v_add_u32_e32 v1, 0x100, v19
	s_cbranch_vccnz .LBB62_50
; %bb.45:
	s_cmp_lg_u32 s33, 0
	s_waitcnt lgkmcnt(0)
	s_mov_b32 s26, 0
	s_cbranch_scc0 .LBB62_51
; %bb.46:
	s_min_u32 s27, s54, 15
	s_add_i32 s27, s27, 1
	s_cmp_eq_u32 s54, 2
	s_cbranch_scc1 .LBB62_52
; %bb.47:
	s_and_b32 s26, s27, 28
	s_add_u32 s2, s34, 0xc4
	s_addc_u32 s3, s35, 0
	v_mov_b32_e32 v8, 0
	s_mov_b32 s28, 0
	s_mov_b64 s[24:25], s[34:35]
	v_mov_b32_e32 v6, 0
	v_mov_b32_e32 v4, v1
.LBB62_48:                              ; =>This Inner Loop Header: Depth=1
	s_load_dwordx8 s[12:19], s[24:25], 0x4
	s_load_dwordx4 s[20:23], s[24:25], 0x24
	s_load_dwordx8 s[4:11], s[2:3], 0x0
	s_add_u32 s24, s24, 48
	s_addc_u32 s25, s25, 0
	s_waitcnt lgkmcnt(0)
	v_mul_hi_u32 v7, s13, v4
	s_add_i32 s28, s28, 4
	s_add_u32 s2, s2, 32
	s_addc_u32 s3, s3, 0
	v_add_u32_e32 v7, v4, v7
	v_lshrrev_b32_e32 v7, s14, v7
	v_mul_lo_u32 v9, v7, s12
	v_mul_hi_u32 v10, s16, v7
	s_cmp_lg_u32 s26, s28
	v_sub_u32_e32 v4, v4, v9
	v_add_u32_e32 v9, v7, v10
	v_mul_lo_u32 v10, v4, s4
	v_mul_lo_u32 v11, v4, s5
	v_lshrrev_b32_e32 v4, s17, v9
	v_mul_lo_u32 v9, v4, s15
	v_mul_hi_u32 v12, s19, v4
	v_sub_u32_e32 v7, v7, v9
	v_add_u32_e32 v9, v4, v12
	v_lshrrev_b32_e32 v9, s20, v9
	v_mul_hi_u32 v13, s22, v9
	v_mul_lo_u32 v14, v9, s18
	v_mul_lo_u32 v12, v7, s6
	;; [unrolled: 1-line block ×3, first 2 shown]
	v_sub_u32_e32 v14, v4, v14
	v_add_u32_e32 v4, v9, v13
	v_lshrrev_b32_e32 v4, s23, v4
	v_mul_lo_u32 v13, v4, s21
	v_mul_lo_u32 v15, v14, s8
	v_mul_lo_u32 v14, v14, s9
	v_add3_u32 v6, v10, v6, v12
	v_sub_u32_e32 v9, v9, v13
	v_mul_lo_u32 v13, v9, s10
	v_mul_lo_u32 v9, v9, s11
	v_add3_u32 v7, v11, v8, v7
	v_add3_u32 v6, v15, v6, v13
	;; [unrolled: 1-line block ×3, first 2 shown]
	s_cbranch_scc1 .LBB62_48
; %bb.49:
	s_and_b32 s6, s27, 3
	s_cmp_eq_u32 s6, 0
	s_cbranch_scc0 .LBB62_53
	s_branch .LBB62_55
.LBB62_50:
                                        ; implicit-def: $vgpr6
                                        ; implicit-def: $vgpr8
	s_branch .LBB62_56
.LBB62_51:
	v_mov_b32_e32 v6, 0
	v_mov_b32_e32 v8, 0
	s_branch .LBB62_55
.LBB62_52:
	v_mov_b32_e32 v6, 0
	v_mov_b32_e32 v8, 0
	;; [unrolled: 1-line block ×3, first 2 shown]
	s_and_b32 s6, s27, 3
	s_cmp_eq_u32 s6, 0
	s_cbranch_scc1 .LBB62_55
.LBB62_53:
	s_lshl_b32 s2, s26, 3
	s_add_u32 s2, s34, s2
	s_addc_u32 s3, s35, 0
	s_add_u32 s2, s2, 0xc4
	s_addc_u32 s3, s3, 0
	s_mul_i32 s4, s26, 12
	s_add_u32 s4, s34, s4
	s_addc_u32 s5, s35, 0
.LBB62_54:                              ; =>This Inner Loop Header: Depth=1
	s_load_dwordx2 s[8:9], s[4:5], 0x4
	s_load_dword s7, s[4:5], 0xc
	s_load_dwordx2 s[10:11], s[2:3], 0x0
	s_add_u32 s4, s4, 12
	s_addc_u32 s5, s5, 0
	s_waitcnt lgkmcnt(0)
	v_mul_hi_u32 v7, s9, v4
	s_add_u32 s2, s2, 8
	s_addc_u32 s3, s3, 0
	s_add_i32 s6, s6, -1
	v_add_u32_e32 v7, v4, v7
	v_lshrrev_b32_e32 v10, s7, v7
	v_mul_lo_u32 v7, v10, s8
	s_cmp_lg_u32 s6, 0
	v_sub_u32_e32 v4, v4, v7
	v_mad_u64_u32 v[6:7], s[8:9], v4, s10, v[6:7]
	v_mad_u64_u32 v[8:9], s[8:9], v4, s11, v[8:9]
	v_mov_b32_e32 v4, v10
	s_cbranch_scc1 .LBB62_54
.LBB62_55:
	s_cbranch_execnz .LBB62_58
.LBB62_56:
	s_load_dwordx4 s[4:7], s[34:35], 0x4
	s_load_dwordx2 s[2:3], s[34:35], 0xc4
	s_cmp_lt_u32 s33, 2
	s_waitcnt lgkmcnt(0)
	v_mul_hi_u32 v4, s5, v1
	v_add_u32_e32 v4, v1, v4
	v_lshrrev_b32_e32 v4, s6, v4
	v_mul_lo_u32 v6, v4, s4
	v_sub_u32_e32 v1, v1, v6
	v_mul_lo_u32 v6, v1, s2
	v_mul_lo_u32 v8, v1, s3
	s_cbranch_scc1 .LBB62_58
; %bb.57:
	s_load_dwordx4 s[4:7], s[34:35], 0x10
	s_load_dwordx2 s[2:3], s[34:35], 0xcc
	s_waitcnt lgkmcnt(0)
	v_mul_hi_u32 v1, s5, v4
	v_add_u32_e32 v1, v4, v1
	v_lshrrev_b32_e32 v1, s6, v1
	v_mul_lo_u32 v1, v1, s4
	v_sub_u32_e32 v1, v4, v1
	v_mad_u64_u32 v[6:7], s[4:5], v1, s2, v[6:7]
	v_mad_u64_u32 v[8:9], s[2:3], v1, s3, v[8:9]
.LBB62_58:
	s_and_b64 vcc, exec, s[0:1]
	v_add_u32_e32 v1, 0x180, v19
	s_cbranch_vccnz .LBB62_64
; %bb.59:
	s_cmp_lg_u32 s33, 0
	s_waitcnt lgkmcnt(0)
	s_mov_b32 s26, 0
	s_cbranch_scc0 .LBB62_65
; %bb.60:
	s_min_u32 s27, s54, 15
	s_add_i32 s27, s27, 1
	s_cmp_eq_u32 s54, 2
	s_cbranch_scc1 .LBB62_66
; %bb.61:
	s_and_b32 s26, s27, 28
	s_add_u32 s2, s34, 0xc4
	s_addc_u32 s3, s35, 0
	v_mov_b32_e32 v11, 0
	s_mov_b32 s28, 0
	s_mov_b64 s[24:25], s[34:35]
	v_mov_b32_e32 v9, 0
	v_mov_b32_e32 v4, v1
.LBB62_62:                              ; =>This Inner Loop Header: Depth=1
	s_load_dwordx8 s[12:19], s[24:25], 0x4
	s_load_dwordx4 s[20:23], s[24:25], 0x24
	s_load_dwordx8 s[4:11], s[2:3], 0x0
	s_add_u32 s24, s24, 48
	s_addc_u32 s25, s25, 0
	s_waitcnt lgkmcnt(0)
	v_mul_hi_u32 v7, s13, v4
	s_add_i32 s28, s28, 4
	s_add_u32 s2, s2, 32
	s_addc_u32 s3, s3, 0
	v_add_u32_e32 v7, v4, v7
	v_lshrrev_b32_e32 v7, s14, v7
	v_mul_lo_u32 v10, v7, s12
	v_mul_hi_u32 v12, s16, v7
	s_cmp_lg_u32 s26, s28
	v_sub_u32_e32 v4, v4, v10
	v_add_u32_e32 v10, v7, v12
	v_mul_lo_u32 v12, v4, s4
	v_mul_lo_u32 v13, v4, s5
	v_lshrrev_b32_e32 v4, s17, v10
	v_mul_lo_u32 v10, v4, s15
	v_mul_hi_u32 v14, s19, v4
	v_sub_u32_e32 v7, v7, v10
	v_add_u32_e32 v10, v4, v14
	v_lshrrev_b32_e32 v10, s20, v10
	v_mul_hi_u32 v15, s22, v10
	v_mul_lo_u32 v16, v10, s18
	v_mul_lo_u32 v14, v7, s6
	v_mul_lo_u32 v7, v7, s7
	v_sub_u32_e32 v16, v4, v16
	v_add_u32_e32 v4, v10, v15
	v_lshrrev_b32_e32 v4, s23, v4
	v_mul_lo_u32 v15, v4, s21
	v_mul_lo_u32 v17, v16, s8
	;; [unrolled: 1-line block ×3, first 2 shown]
	v_add3_u32 v9, v12, v9, v14
	v_sub_u32_e32 v10, v10, v15
	v_mul_lo_u32 v15, v10, s10
	v_mul_lo_u32 v10, v10, s11
	v_add3_u32 v7, v13, v11, v7
	v_add3_u32 v9, v17, v9, v15
	v_add3_u32 v11, v16, v7, v10
	s_cbranch_scc1 .LBB62_62
; %bb.63:
	s_and_b32 s6, s27, 3
	s_cmp_eq_u32 s6, 0
	s_cbranch_scc0 .LBB62_67
	s_branch .LBB62_69
.LBB62_64:
                                        ; implicit-def: $vgpr9
                                        ; implicit-def: $vgpr11
	s_branch .LBB62_70
.LBB62_65:
	v_mov_b32_e32 v9, 0
	v_mov_b32_e32 v11, 0
	s_branch .LBB62_69
.LBB62_66:
	v_mov_b32_e32 v9, 0
	v_mov_b32_e32 v11, 0
	;; [unrolled: 1-line block ×3, first 2 shown]
	s_and_b32 s6, s27, 3
	s_cmp_eq_u32 s6, 0
	s_cbranch_scc1 .LBB62_69
.LBB62_67:
	s_lshl_b32 s2, s26, 3
	s_add_u32 s2, s34, s2
	s_addc_u32 s3, s35, 0
	s_add_u32 s2, s2, 0xc4
	s_addc_u32 s3, s3, 0
	s_mul_i32 s4, s26, 12
	s_add_u32 s4, s34, s4
	s_addc_u32 s5, s35, 0
.LBB62_68:                              ; =>This Inner Loop Header: Depth=1
	s_load_dwordx2 s[8:9], s[4:5], 0x4
	s_load_dword s7, s[4:5], 0xc
	s_load_dwordx2 s[10:11], s[2:3], 0x0
	s_add_u32 s4, s4, 12
	s_addc_u32 s5, s5, 0
	s_waitcnt lgkmcnt(0)
	v_mul_hi_u32 v7, s9, v4
	s_add_u32 s2, s2, 8
	s_addc_u32 s3, s3, 0
	s_add_i32 s6, s6, -1
	v_add_u32_e32 v7, v4, v7
	v_lshrrev_b32_e32 v7, s7, v7
	v_mul_lo_u32 v10, v7, s8
	s_cmp_lg_u32 s6, 0
	v_sub_u32_e32 v4, v4, v10
	v_mad_u64_u32 v[9:10], s[8:9], v4, s10, v[9:10]
	v_mad_u64_u32 v[11:12], s[8:9], v4, s11, v[11:12]
	v_mov_b32_e32 v4, v7
	s_cbranch_scc1 .LBB62_68
.LBB62_69:
	s_cbranch_execnz .LBB62_72
.LBB62_70:
	s_load_dwordx4 s[4:7], s[34:35], 0x4
	s_load_dwordx2 s[2:3], s[34:35], 0xc4
	s_cmp_lt_u32 s33, 2
	s_waitcnt lgkmcnt(0)
	v_mul_hi_u32 v4, s5, v1
	v_add_u32_e32 v4, v1, v4
	v_lshrrev_b32_e32 v4, s6, v4
	v_mul_lo_u32 v7, v4, s4
	v_sub_u32_e32 v1, v1, v7
	v_mul_lo_u32 v9, v1, s2
	v_mul_lo_u32 v11, v1, s3
	s_cbranch_scc1 .LBB62_72
; %bb.71:
	s_load_dwordx4 s[4:7], s[34:35], 0x10
	s_load_dwordx2 s[2:3], s[34:35], 0xcc
	s_waitcnt lgkmcnt(0)
	v_mul_hi_u32 v1, s5, v4
	v_add_u32_e32 v1, v4, v1
	v_lshrrev_b32_e32 v1, s6, v1
	v_mul_lo_u32 v1, v1, s4
	v_sub_u32_e32 v1, v4, v1
	v_mad_u64_u32 v[9:10], s[4:5], v1, s2, v[9:10]
	v_mad_u64_u32 v[11:12], s[2:3], v1, s3, v[11:12]
.LBB62_72:
	s_and_b64 vcc, exec, s[0:1]
	v_add_u32_e32 v1, 0x200, v19
	s_cbranch_vccnz .LBB62_78
; %bb.73:
	s_cmp_lg_u32 s33, 0
	s_waitcnt lgkmcnt(0)
	s_mov_b32 s26, 0
	s_cbranch_scc0 .LBB62_79
; %bb.74:
	s_min_u32 s27, s54, 15
	s_add_i32 s27, s27, 1
	s_cmp_eq_u32 s54, 2
	s_cbranch_scc1 .LBB62_80
; %bb.75:
	s_and_b32 s26, s27, 28
	s_add_u32 s2, s34, 0xc4
	s_addc_u32 s3, s35, 0
	v_mov_b32_e32 v14, 0
	s_mov_b32 s28, 0
	s_mov_b64 s[24:25], s[34:35]
	v_mov_b32_e32 v12, 0
	v_mov_b32_e32 v4, v1
.LBB62_76:                              ; =>This Inner Loop Header: Depth=1
	s_load_dwordx8 s[12:19], s[24:25], 0x4
	s_load_dwordx4 s[20:23], s[24:25], 0x24
	s_load_dwordx8 s[4:11], s[2:3], 0x0
	s_add_u32 s24, s24, 48
	s_addc_u32 s25, s25, 0
	s_waitcnt lgkmcnt(0)
	v_mul_hi_u32 v7, s13, v4
	s_add_i32 s28, s28, 4
	s_add_u32 s2, s2, 32
	s_addc_u32 s3, s3, 0
	v_add_u32_e32 v7, v4, v7
	v_lshrrev_b32_e32 v7, s14, v7
	v_mul_lo_u32 v10, v7, s12
	v_mul_hi_u32 v13, s16, v7
	s_cmp_lg_u32 s26, s28
	v_sub_u32_e32 v4, v4, v10
	v_add_u32_e32 v10, v7, v13
	v_mul_lo_u32 v13, v4, s4
	v_mul_lo_u32 v15, v4, s5
	v_lshrrev_b32_e32 v4, s17, v10
	v_mul_lo_u32 v10, v4, s15
	v_mul_hi_u32 v16, s19, v4
	v_sub_u32_e32 v7, v7, v10
	v_add_u32_e32 v10, v4, v16
	v_lshrrev_b32_e32 v10, s20, v10
	v_mul_hi_u32 v17, s22, v10
	v_mul_lo_u32 v18, v10, s18
	v_mul_lo_u32 v16, v7, s6
	;; [unrolled: 1-line block ×3, first 2 shown]
	v_sub_u32_e32 v18, v4, v18
	v_add_u32_e32 v4, v10, v17
	v_lshrrev_b32_e32 v4, s23, v4
	v_mul_lo_u32 v17, v4, s21
	v_mul_lo_u32 v20, v18, s8
	;; [unrolled: 1-line block ×3, first 2 shown]
	v_add3_u32 v12, v13, v12, v16
	v_sub_u32_e32 v10, v10, v17
	v_mul_lo_u32 v17, v10, s10
	v_mul_lo_u32 v10, v10, s11
	v_add3_u32 v7, v15, v14, v7
	v_add3_u32 v12, v20, v12, v17
	;; [unrolled: 1-line block ×3, first 2 shown]
	s_cbranch_scc1 .LBB62_76
; %bb.77:
	s_and_b32 s6, s27, 3
	s_cmp_eq_u32 s6, 0
	s_cbranch_scc0 .LBB62_81
	s_branch .LBB62_83
.LBB62_78:
                                        ; implicit-def: $vgpr12
                                        ; implicit-def: $vgpr14
	s_branch .LBB62_84
.LBB62_79:
	v_mov_b32_e32 v12, 0
	v_mov_b32_e32 v14, 0
	s_branch .LBB62_83
.LBB62_80:
	v_mov_b32_e32 v12, 0
	v_mov_b32_e32 v14, 0
	;; [unrolled: 1-line block ×3, first 2 shown]
	s_and_b32 s6, s27, 3
	s_cmp_eq_u32 s6, 0
	s_cbranch_scc1 .LBB62_83
.LBB62_81:
	s_lshl_b32 s2, s26, 3
	s_add_u32 s2, s34, s2
	s_addc_u32 s3, s35, 0
	s_add_u32 s2, s2, 0xc4
	s_addc_u32 s3, s3, 0
	s_mul_i32 s4, s26, 12
	s_add_u32 s4, s34, s4
	s_addc_u32 s5, s35, 0
.LBB62_82:                              ; =>This Inner Loop Header: Depth=1
	s_load_dwordx2 s[8:9], s[4:5], 0x4
	s_load_dword s7, s[4:5], 0xc
	s_load_dwordx2 s[10:11], s[2:3], 0x0
	s_add_u32 s4, s4, 12
	s_addc_u32 s5, s5, 0
	s_waitcnt lgkmcnt(0)
	v_mul_hi_u32 v7, s9, v4
	s_add_u32 s2, s2, 8
	s_addc_u32 s3, s3, 0
	s_add_i32 s6, s6, -1
	v_add_u32_e32 v7, v4, v7
	v_lshrrev_b32_e32 v7, s7, v7
	v_mul_lo_u32 v10, v7, s8
	s_cmp_lg_u32 s6, 0
	v_sub_u32_e32 v4, v4, v10
	v_mad_u64_u32 v[12:13], s[8:9], v4, s10, v[12:13]
	v_mad_u64_u32 v[14:15], s[8:9], v4, s11, v[14:15]
	v_mov_b32_e32 v4, v7
	s_cbranch_scc1 .LBB62_82
.LBB62_83:
	s_cbranch_execnz .LBB62_86
.LBB62_84:
	s_load_dwordx4 s[4:7], s[34:35], 0x4
	s_load_dwordx2 s[2:3], s[34:35], 0xc4
	s_cmp_lt_u32 s33, 2
	s_waitcnt lgkmcnt(0)
	v_mul_hi_u32 v4, s5, v1
	v_add_u32_e32 v4, v1, v4
	v_lshrrev_b32_e32 v4, s6, v4
	v_mul_lo_u32 v7, v4, s4
	v_sub_u32_e32 v1, v1, v7
	v_mul_lo_u32 v12, v1, s2
	v_mul_lo_u32 v14, v1, s3
	s_cbranch_scc1 .LBB62_86
; %bb.85:
	s_load_dwordx4 s[4:7], s[34:35], 0x10
	s_load_dwordx2 s[2:3], s[34:35], 0xcc
	s_waitcnt lgkmcnt(0)
	v_mul_hi_u32 v1, s5, v4
	v_add_u32_e32 v1, v4, v1
	v_lshrrev_b32_e32 v1, s6, v1
	v_mul_lo_u32 v1, v1, s4
	v_sub_u32_e32 v1, v4, v1
	v_mad_u64_u32 v[12:13], s[4:5], v1, s2, v[12:13]
	v_mad_u64_u32 v[14:15], s[2:3], v1, s3, v[14:15]
.LBB62_86:
	s_and_b64 vcc, exec, s[0:1]
	v_add_u32_e32 v1, 0x280, v19
	s_cbranch_vccnz .LBB62_92
; %bb.87:
	s_cmp_lg_u32 s33, 0
	s_waitcnt lgkmcnt(0)
	s_mov_b32 s26, 0
	s_cbranch_scc0 .LBB62_93
; %bb.88:
	s_min_u32 s27, s54, 15
	s_add_i32 s27, s27, 1
	s_cmp_eq_u32 s54, 2
	s_cbranch_scc1 .LBB62_94
; %bb.89:
	s_and_b32 s26, s27, 28
	s_add_u32 s2, s34, 0xc4
	s_addc_u32 s3, s35, 0
	v_mov_b32_e32 v17, 0
	s_mov_b32 s28, 0
	s_mov_b64 s[24:25], s[34:35]
	v_mov_b32_e32 v15, 0
	v_mov_b32_e32 v4, v1
.LBB62_90:                              ; =>This Inner Loop Header: Depth=1
	s_load_dwordx8 s[12:19], s[24:25], 0x4
	s_load_dwordx4 s[20:23], s[24:25], 0x24
	s_load_dwordx8 s[4:11], s[2:3], 0x0
	s_add_u32 s24, s24, 48
	s_addc_u32 s25, s25, 0
	s_waitcnt lgkmcnt(0)
	v_mul_hi_u32 v7, s13, v4
	s_add_i32 s28, s28, 4
	s_add_u32 s2, s2, 32
	s_addc_u32 s3, s3, 0
	v_add_u32_e32 v7, v4, v7
	v_lshrrev_b32_e32 v7, s14, v7
	v_mul_lo_u32 v10, v7, s12
	v_mul_hi_u32 v13, s16, v7
	s_cmp_lg_u32 s26, s28
	v_sub_u32_e32 v4, v4, v10
	v_add_u32_e32 v10, v7, v13
	v_mul_lo_u32 v13, v4, s4
	v_mul_lo_u32 v16, v4, s5
	v_lshrrev_b32_e32 v4, s17, v10
	v_mul_lo_u32 v10, v4, s15
	v_mul_hi_u32 v18, s19, v4
	v_sub_u32_e32 v7, v7, v10
	v_add_u32_e32 v10, v4, v18
	v_lshrrev_b32_e32 v10, s20, v10
	v_mul_hi_u32 v20, s22, v10
	v_mul_lo_u32 v21, v10, s18
	v_mul_lo_u32 v18, v7, s6
	;; [unrolled: 1-line block ×3, first 2 shown]
	v_sub_u32_e32 v21, v4, v21
	v_add_u32_e32 v4, v10, v20
	v_lshrrev_b32_e32 v4, s23, v4
	v_mul_lo_u32 v20, v4, s21
	v_mul_lo_u32 v22, v21, s8
	;; [unrolled: 1-line block ×3, first 2 shown]
	v_add3_u32 v13, v13, v15, v18
	v_sub_u32_e32 v10, v10, v20
	v_mul_lo_u32 v20, v10, s10
	v_mul_lo_u32 v10, v10, s11
	v_add3_u32 v7, v16, v17, v7
	v_add3_u32 v15, v22, v13, v20
	;; [unrolled: 1-line block ×3, first 2 shown]
	s_cbranch_scc1 .LBB62_90
; %bb.91:
	s_and_b32 s6, s27, 3
	s_cmp_eq_u32 s6, 0
	s_cbranch_scc0 .LBB62_95
	s_branch .LBB62_97
.LBB62_92:
                                        ; implicit-def: $vgpr15
                                        ; implicit-def: $vgpr17
	s_branch .LBB62_98
.LBB62_93:
	v_mov_b32_e32 v15, 0
	v_mov_b32_e32 v17, 0
	s_branch .LBB62_97
.LBB62_94:
	v_mov_b32_e32 v15, 0
	v_mov_b32_e32 v17, 0
	;; [unrolled: 1-line block ×3, first 2 shown]
	s_and_b32 s6, s27, 3
	s_cmp_eq_u32 s6, 0
	s_cbranch_scc1 .LBB62_97
.LBB62_95:
	s_lshl_b32 s2, s26, 3
	s_add_u32 s2, s34, s2
	s_addc_u32 s3, s35, 0
	s_add_u32 s2, s2, 0xc4
	s_addc_u32 s3, s3, 0
	s_mul_i32 s4, s26, 12
	s_add_u32 s4, s34, s4
	s_addc_u32 s5, s35, 0
.LBB62_96:                              ; =>This Inner Loop Header: Depth=1
	s_load_dwordx2 s[8:9], s[4:5], 0x4
	s_load_dword s7, s[4:5], 0xc
	s_load_dwordx2 s[10:11], s[2:3], 0x0
	s_add_u32 s4, s4, 12
	s_addc_u32 s5, s5, 0
	s_waitcnt lgkmcnt(0)
	v_mul_hi_u32 v7, s9, v4
	s_add_u32 s2, s2, 8
	s_addc_u32 s3, s3, 0
	s_add_i32 s6, s6, -1
	v_add_u32_e32 v7, v4, v7
	v_lshrrev_b32_e32 v7, s7, v7
	v_mul_lo_u32 v10, v7, s8
	s_cmp_lg_u32 s6, 0
	v_sub_u32_e32 v4, v4, v10
	v_mad_u64_u32 v[15:16], s[8:9], v4, s10, v[15:16]
	v_mad_u64_u32 v[17:18], s[8:9], v4, s11, v[17:18]
	v_mov_b32_e32 v4, v7
	s_cbranch_scc1 .LBB62_96
.LBB62_97:
	s_cbranch_execnz .LBB62_100
.LBB62_98:
	s_load_dwordx4 s[4:7], s[34:35], 0x4
	s_load_dwordx2 s[2:3], s[34:35], 0xc4
	s_cmp_lt_u32 s33, 2
	s_waitcnt lgkmcnt(0)
	v_mul_hi_u32 v4, s5, v1
	v_add_u32_e32 v4, v1, v4
	v_lshrrev_b32_e32 v4, s6, v4
	v_mul_lo_u32 v7, v4, s4
	v_sub_u32_e32 v1, v1, v7
	v_mul_lo_u32 v15, v1, s2
	v_mul_lo_u32 v17, v1, s3
	s_cbranch_scc1 .LBB62_100
; %bb.99:
	s_load_dwordx4 s[4:7], s[34:35], 0x10
	s_load_dwordx2 s[2:3], s[34:35], 0xcc
	s_waitcnt lgkmcnt(0)
	v_mul_hi_u32 v1, s5, v4
	v_add_u32_e32 v1, v4, v1
	v_lshrrev_b32_e32 v1, s6, v1
	v_mul_lo_u32 v1, v1, s4
	v_sub_u32_e32 v1, v4, v1
	v_mad_u64_u32 v[15:16], s[4:5], v1, s2, v[15:16]
	v_mad_u64_u32 v[17:18], s[2:3], v1, s3, v[17:18]
.LBB62_100:
	s_and_b64 vcc, exec, s[0:1]
	v_add_u32_e32 v1, 0x300, v19
	s_cbranch_vccnz .LBB62_106
; %bb.101:
	s_cmp_lg_u32 s33, 0
	s_waitcnt lgkmcnt(0)
	s_mov_b32 s26, 0
	s_cbranch_scc0 .LBB62_107
; %bb.102:
	s_min_u32 s27, s54, 15
	s_add_i32 s27, s27, 1
	s_cmp_eq_u32 s54, 2
	s_cbranch_scc1 .LBB62_108
; %bb.103:
	s_and_b32 s26, s27, 28
	s_add_u32 s2, s34, 0xc4
	s_addc_u32 s3, s35, 0
	v_mov_b32_e32 v20, 0
	s_mov_b32 s28, 0
	s_mov_b64 s[24:25], s[34:35]
	v_mov_b32_e32 v18, 0
	v_mov_b32_e32 v4, v1
.LBB62_104:                             ; =>This Inner Loop Header: Depth=1
	s_load_dwordx8 s[12:19], s[24:25], 0x4
	s_load_dwordx4 s[20:23], s[24:25], 0x24
	s_load_dwordx8 s[4:11], s[2:3], 0x0
	s_add_u32 s24, s24, 48
	s_addc_u32 s25, s25, 0
	s_waitcnt lgkmcnt(0)
	v_mul_hi_u32 v7, s13, v4
	s_add_i32 s28, s28, 4
	s_add_u32 s2, s2, 32
	s_addc_u32 s3, s3, 0
	v_add_u32_e32 v7, v4, v7
	v_lshrrev_b32_e32 v7, s14, v7
	v_mul_lo_u32 v10, v7, s12
	v_mul_hi_u32 v13, s16, v7
	s_cmp_lg_u32 s26, s28
	v_sub_u32_e32 v4, v4, v10
	v_add_u32_e32 v10, v7, v13
	v_mul_lo_u32 v13, v4, s4
	v_mul_lo_u32 v16, v4, s5
	v_lshrrev_b32_e32 v4, s17, v10
	v_mul_lo_u32 v10, v4, s15
	v_mul_hi_u32 v19, s19, v4
	v_sub_u32_e32 v7, v7, v10
	v_add_u32_e32 v10, v4, v19
	v_lshrrev_b32_e32 v10, s20, v10
	v_mul_hi_u32 v21, s22, v10
	v_mul_lo_u32 v22, v10, s18
	v_mul_lo_u32 v19, v7, s6
	;; [unrolled: 1-line block ×3, first 2 shown]
	v_sub_u32_e32 v22, v4, v22
	v_add_u32_e32 v4, v10, v21
	v_lshrrev_b32_e32 v4, s23, v4
	v_mul_lo_u32 v21, v4, s21
	v_mul_lo_u32 v23, v22, s8
	v_mul_lo_u32 v22, v22, s9
	v_add3_u32 v13, v13, v18, v19
	v_sub_u32_e32 v10, v10, v21
	v_mul_lo_u32 v21, v10, s10
	v_mul_lo_u32 v10, v10, s11
	v_add3_u32 v7, v16, v20, v7
	v_add3_u32 v18, v23, v13, v21
	;; [unrolled: 1-line block ×3, first 2 shown]
	s_cbranch_scc1 .LBB62_104
; %bb.105:
	s_and_b32 s6, s27, 3
	s_cmp_eq_u32 s6, 0
	s_cbranch_scc0 .LBB62_109
	s_branch .LBB62_111
.LBB62_106:
                                        ; implicit-def: $vgpr18
                                        ; implicit-def: $vgpr20
	s_branch .LBB62_112
.LBB62_107:
	v_mov_b32_e32 v18, 0
	v_mov_b32_e32 v20, 0
	s_branch .LBB62_111
.LBB62_108:
	v_mov_b32_e32 v18, 0
	v_mov_b32_e32 v20, 0
	;; [unrolled: 1-line block ×3, first 2 shown]
	s_and_b32 s6, s27, 3
	s_cmp_eq_u32 s6, 0
	s_cbranch_scc1 .LBB62_111
.LBB62_109:
	s_lshl_b32 s2, s26, 3
	s_add_u32 s2, s34, s2
	s_addc_u32 s3, s35, 0
	s_add_u32 s2, s2, 0xc4
	s_addc_u32 s3, s3, 0
	s_mul_i32 s4, s26, 12
	s_add_u32 s4, s34, s4
	s_addc_u32 s5, s35, 0
.LBB62_110:                             ; =>This Inner Loop Header: Depth=1
	s_load_dwordx2 s[8:9], s[4:5], 0x4
	s_load_dword s7, s[4:5], 0xc
	s_load_dwordx2 s[10:11], s[2:3], 0x0
	s_add_u32 s4, s4, 12
	s_addc_u32 s5, s5, 0
	s_waitcnt lgkmcnt(0)
	v_mul_hi_u32 v7, s9, v4
	s_add_u32 s2, s2, 8
	s_addc_u32 s3, s3, 0
	s_add_i32 s6, s6, -1
	v_add_u32_e32 v7, v4, v7
	v_lshrrev_b32_e32 v7, s7, v7
	v_mul_lo_u32 v10, v7, s8
	s_cmp_lg_u32 s6, 0
	v_sub_u32_e32 v4, v4, v10
	v_mad_u64_u32 v[18:19], s[8:9], v4, s10, v[18:19]
	v_mad_u64_u32 v[20:21], s[8:9], v4, s11, v[20:21]
	v_mov_b32_e32 v4, v7
	s_cbranch_scc1 .LBB62_110
.LBB62_111:
	s_cbranch_execnz .LBB62_114
.LBB62_112:
	s_load_dwordx4 s[4:7], s[34:35], 0x4
	s_load_dwordx2 s[2:3], s[34:35], 0xc4
	s_cmp_lt_u32 s33, 2
	s_waitcnt lgkmcnt(0)
	v_mul_hi_u32 v4, s5, v1
	v_add_u32_e32 v4, v1, v4
	v_lshrrev_b32_e32 v4, s6, v4
	v_mul_lo_u32 v7, v4, s4
	v_sub_u32_e32 v1, v1, v7
	v_mul_lo_u32 v18, v1, s2
	v_mul_lo_u32 v20, v1, s3
	s_cbranch_scc1 .LBB62_114
; %bb.113:
	s_load_dwordx4 s[4:7], s[34:35], 0x10
	s_load_dwordx2 s[2:3], s[34:35], 0xcc
	s_waitcnt lgkmcnt(0)
	v_mul_hi_u32 v1, s5, v4
	v_add_u32_e32 v1, v4, v1
	v_lshrrev_b32_e32 v1, s6, v1
	v_mul_lo_u32 v1, v1, s4
	v_sub_u32_e32 v1, v4, v1
	v_mad_u64_u32 v[18:19], s[4:5], v1, s2, v[18:19]
	v_mad_u64_u32 v[20:21], s[2:3], v1, s3, v[20:21]
.LBB62_114:
	s_and_b64 vcc, exec, s[0:1]
	s_cbranch_vccnz .LBB62_120
; %bb.115:
	s_cmp_lg_u32 s33, 0
	s_waitcnt lgkmcnt(0)
	s_mov_b32 s24, 0
	s_cbranch_scc0 .LBB62_121
; %bb.116:
	s_min_u32 s25, s54, 15
	s_add_i32 s25, s25, 1
	s_cmp_eq_u32 s54, 2
	s_cbranch_scc1 .LBB62_122
; %bb.117:
	s_and_b32 s24, s25, 28
	s_add_u32 s20, s34, 0xc4
	s_addc_u32 s21, s35, 0
	v_mov_b32_e32 v23, 0
	s_mov_b32 s26, 0
	s_mov_b64 s[22:23], s[34:35]
	v_mov_b32_e32 v21, 0
	v_mov_b32_e32 v1, v25
.LBB62_118:                             ; =>This Inner Loop Header: Depth=1
	s_load_dwordx8 s[8:15], s[22:23], 0x4
	s_load_dwordx4 s[16:19], s[22:23], 0x24
	s_load_dwordx8 s[0:7], s[20:21], 0x0
	s_add_u32 s22, s22, 48
	s_addc_u32 s23, s23, 0
	s_waitcnt lgkmcnt(0)
	v_mul_hi_u32 v4, s9, v1
	s_add_i32 s26, s26, 4
	s_add_u32 s20, s20, 32
	s_addc_u32 s21, s21, 0
	v_add_u32_e32 v4, v1, v4
	v_lshrrev_b32_e32 v4, s10, v4
	v_mul_lo_u32 v7, v4, s8
	v_mul_hi_u32 v10, s12, v4
	s_cmp_lg_u32 s24, s26
	v_sub_u32_e32 v1, v1, v7
	v_add_u32_e32 v7, v4, v10
	v_mul_lo_u32 v10, v1, s0
	v_mul_lo_u32 v13, v1, s1
	v_lshrrev_b32_e32 v1, s13, v7
	v_mul_lo_u32 v7, v1, s11
	v_mul_hi_u32 v16, s15, v1
	v_sub_u32_e32 v4, v4, v7
	v_add_u32_e32 v7, v1, v16
	v_lshrrev_b32_e32 v7, s16, v7
	v_mul_hi_u32 v19, s18, v7
	v_mul_lo_u32 v22, v7, s14
	v_mul_lo_u32 v16, v4, s2
	;; [unrolled: 1-line block ×3, first 2 shown]
	v_sub_u32_e32 v22, v1, v22
	v_add_u32_e32 v1, v7, v19
	v_lshrrev_b32_e32 v1, s19, v1
	v_mul_lo_u32 v19, v1, s17
	v_mul_lo_u32 v24, v22, s4
	;; [unrolled: 1-line block ×3, first 2 shown]
	v_add3_u32 v10, v10, v21, v16
	v_sub_u32_e32 v7, v7, v19
	v_mul_lo_u32 v19, v7, s6
	v_mul_lo_u32 v7, v7, s7
	v_add3_u32 v4, v13, v23, v4
	v_add3_u32 v21, v24, v10, v19
	;; [unrolled: 1-line block ×3, first 2 shown]
	s_cbranch_scc1 .LBB62_118
; %bb.119:
	s_and_b32 s4, s25, 3
	s_cmp_eq_u32 s4, 0
	s_cbranch_scc0 .LBB62_123
	s_branch .LBB62_125
.LBB62_120:
                                        ; implicit-def: $vgpr21
                                        ; implicit-def: $vgpr23
	s_branch .LBB62_126
.LBB62_121:
	v_mov_b32_e32 v21, 0
	v_mov_b32_e32 v23, 0
	s_branch .LBB62_125
.LBB62_122:
	v_mov_b32_e32 v21, 0
	v_mov_b32_e32 v23, 0
	;; [unrolled: 1-line block ×3, first 2 shown]
	s_and_b32 s4, s25, 3
	s_cmp_eq_u32 s4, 0
	s_cbranch_scc1 .LBB62_125
.LBB62_123:
	s_lshl_b32 s0, s24, 3
	s_add_u32 s0, s34, s0
	s_addc_u32 s1, s35, 0
	s_add_u32 s0, s0, 0xc4
	s_addc_u32 s1, s1, 0
	s_mul_i32 s2, s24, 12
	s_add_u32 s2, s34, s2
	s_addc_u32 s3, s35, 0
.LBB62_124:                             ; =>This Inner Loop Header: Depth=1
	s_load_dwordx2 s[6:7], s[2:3], 0x4
	s_load_dword s5, s[2:3], 0xc
	s_load_dwordx2 s[8:9], s[0:1], 0x0
	s_add_u32 s2, s2, 12
	s_addc_u32 s3, s3, 0
	s_waitcnt lgkmcnt(0)
	v_mul_hi_u32 v4, s7, v1
	s_add_u32 s0, s0, 8
	s_addc_u32 s1, s1, 0
	s_add_i32 s4, s4, -1
	v_add_u32_e32 v4, v1, v4
	v_lshrrev_b32_e32 v4, s5, v4
	v_mul_lo_u32 v7, v4, s6
	s_cmp_lg_u32 s4, 0
	v_sub_u32_e32 v1, v1, v7
	v_mad_u64_u32 v[21:22], s[6:7], v1, s8, v[21:22]
	v_mad_u64_u32 v[23:24], s[6:7], v1, s9, v[23:24]
	v_mov_b32_e32 v1, v4
	s_cbranch_scc1 .LBB62_124
.LBB62_125:
	s_cbranch_execnz .LBB62_128
.LBB62_126:
	s_load_dwordx4 s[0:3], s[34:35], 0x4
	s_load_dwordx2 s[4:5], s[34:35], 0xc4
	s_cmp_lt_u32 s33, 2
	s_waitcnt lgkmcnt(0)
	v_mul_hi_u32 v1, s1, v25
	v_add_u32_e32 v1, v25, v1
	v_lshrrev_b32_e32 v1, s2, v1
	v_mul_lo_u32 v4, v1, s0
	v_sub_u32_e32 v4, v25, v4
	v_mul_lo_u32 v21, v4, s4
	v_mul_lo_u32 v23, v4, s5
	s_cbranch_scc1 .LBB62_128
; %bb.127:
	s_load_dwordx4 s[0:3], s[34:35], 0x10
	s_load_dwordx2 s[4:5], s[34:35], 0xcc
	s_waitcnt lgkmcnt(0)
	v_mul_hi_u32 v4, s1, v1
	v_add_u32_e32 v4, v1, v4
	v_lshrrev_b32_e32 v4, s2, v4
	v_mul_lo_u32 v4, v4, s0
	v_sub_u32_e32 v1, v1, v4
	v_mad_u64_u32 v[21:22], s[0:1], v1, s4, v[21:22]
	v_mad_u64_u32 v[23:24], s[0:1], v1, s5, v[23:24]
.LBB62_128:
	s_waitcnt lgkmcnt(0)
	s_load_dwordx4 s[16:19], s[34:35], 0x148
	s_brev_b32 s12, -2
	s_movk_i32 s13, 0x7fff
	s_waitcnt lgkmcnt(0)
	global_load_ushort v4, v2, s[18:19]
	global_load_ushort v7, v5, s[18:19]
	;; [unrolled: 1-line block ×7, first 2 shown]
	s_waitcnt vmcnt(6)
	v_lshlrev_b32_e32 v8, 16, v4
	v_fma_f32 v2, |v8|, -0.5, 0.5
	v_mul_f32_e32 v4, v8, v8
	v_cmp_ge_f32_e64 vcc, |v8|, 0.5
	s_waitcnt vmcnt(5)
	v_lshlrev_b32_e32 v14, 16, v7
	v_cndmask_b32_e32 v11, v4, v2, vcc
	v_fma_f32 v2, |v14|, -0.5, 0.5
	v_mul_f32_e32 v4, v14, v14
	v_cmp_ge_f32_e64 vcc, |v14|, 0.5
	s_waitcnt vmcnt(4)
	v_lshlrev_b32_e32 v16, 16, v16
	v_cndmask_b32_e32 v17, v4, v2, vcc
	;; [unrolled: 6-line block ×3, first 2 shown]
	v_fma_f32 v2, |v19|, -0.5, 0.5
	v_mul_f32_e32 v4, v19, v19
	v_cmp_ge_f32_e64 vcc, |v19|, 0.5
	v_cndmask_b32_e32 v22, v4, v2, vcc
	v_mov_b32_e32 v4, 0x3c5fc5da
	v_fmac_f32_e32 v4, 0x3d1c21a7, v11
	v_mov_b32_e32 v2, 0x3d034c3c
	v_fma_f32 v5, v11, v4, v2
	v_mov_b32_e32 v4, 0x3d3641b1
	v_fma_f32 v7, v11, v5, v4
	;; [unrolled: 2-line block ×4, first 2 shown]
	v_mul_f32_e32 v24, v11, v24
	v_sqrt_f32_e32 v11, v11
	v_cmp_lt_f32_e64 vcc, |v8|, 0.5
	s_waitcnt vmcnt(2)
	v_lshlrev_b32_e32 v1, 16, v1
	v_cmp_ge_f32_e64 s[4:5], |v1|, 0.5
	v_fmac_f32_e32 v11, v11, v24
	v_add_f32_e32 v11, v11, v11
	v_fma_f32 v24, |v8|, v24, |v8|
	v_sub_f32_e32 v11, 0x3fc90fdb, v11
	v_cndmask_b32_e32 v11, v11, v24, vcc
	v_mov_b32_e32 v24, 0x3c5fc5da
	v_fmac_f32_e32 v24, 0x3d1c21a7, v17
	v_fma_f32 v24, v17, v24, v2
	v_fma_f32 v24, v17, v24, v4
	;; [unrolled: 1-line block ×4, first 2 shown]
	v_mul_f32_e32 v24, v17, v24
	v_sqrt_f32_e32 v17, v17
	v_cmp_lt_f32_e64 vcc, |v14|, 0.5
	v_bfi_b32 v11, s12, v11, v8
	v_fmac_f32_e32 v17, v17, v24
	v_add_f32_e32 v17, v17, v17
	v_fma_f32 v24, |v14|, v24, |v14|
	v_sub_f32_e32 v17, 0x3fc90fdb, v17
	v_cndmask_b32_e32 v17, v17, v24, vcc
	v_mov_b32_e32 v24, 0x3c5fc5da
	v_fmac_f32_e32 v24, 0x3d1c21a7, v20
	v_fma_f32 v24, v20, v24, v2
	v_fma_f32 v24, v20, v24, v4
	;; [unrolled: 1-line block ×4, first 2 shown]
	v_mul_f32_e32 v24, v20, v24
	v_sqrt_f32_e32 v20, v20
	v_cmp_lt_f32_e64 vcc, |v16|, 0.5
	v_bfi_b32 v17, s12, v17, v14
	v_bfe_u32 v8, v17, 16, 1
	v_fmac_f32_e32 v20, v20, v24
	v_add_f32_e32 v20, v20, v20
	v_fma_f32 v24, |v16|, v24, |v16|
	v_sub_f32_e32 v20, 0x3fc90fdb, v20
	v_cndmask_b32_e32 v20, v20, v24, vcc
	v_mov_b32_e32 v24, 0x3c5fc5da
	v_fmac_f32_e32 v24, 0x3d1c21a7, v22
	v_fma_f32 v24, v22, v24, v2
	v_fma_f32 v24, v22, v24, v4
	;; [unrolled: 1-line block ×4, first 2 shown]
	v_mul_f32_e32 v24, v22, v24
	v_sqrt_f32_e32 v22, v22
	v_cmp_lt_f32_e64 vcc, |v19|, 0.5
	v_add3_u32 v8, v17, v8, s13
	v_bfi_b32 v20, s12, v20, v16
	v_fmac_f32_e32 v22, v22, v24
	v_add_f32_e32 v22, v22, v22
	v_fma_f32 v24, |v19|, v24, |v19|
	v_sub_f32_e32 v22, 0x3fc90fdb, v22
	v_cndmask_b32_e32 v22, v22, v24, vcc
	v_bfi_b32 v19, s12, v22, v19
	v_cmp_o_f32_e32 vcc, v17, v17
	v_bfe_u32 v17, v19, 16, 1
	v_add3_u32 v17, v19, v17, s13
	v_cmp_o_f32_e64 s[2:3], v19, v19
	global_load_ushort v19, v23, s[18:19]
	v_bfe_u32 v16, v20, 16, 1
	v_add3_u32 v16, v20, v16, s13
	v_cmp_o_f32_e64 s[0:1], v20, v20
	v_fma_f32 v20, |v1|, -0.5, 0.5
	v_mul_f32_e32 v22, v1, v1
	v_cndmask_b32_e64 v20, v22, v20, s[4:5]
	v_mov_b32_e32 v22, 0x3c5fc5da
	v_fmac_f32_e32 v22, 0x3d1c21a7, v20
	v_fma_f32 v22, v20, v22, v2
	v_fma_f32 v22, v20, v22, v4
	;; [unrolled: 1-line block ×4, first 2 shown]
	v_mul_f32_e32 v22, v20, v22
	v_sqrt_f32_e32 v20, v20
	v_cmp_lt_f32_e64 s[4:5], |v1|, 0.5
	v_lshrrev_b32_e32 v14, 16, v8
	v_mov_b32_e32 v8, 0x7fc0
	v_fmac_f32_e32 v20, v20, v22
	v_add_f32_e32 v20, v20, v20
	v_sub_f32_e32 v20, 0x3fc90fdb, v20
	v_fma_f32 v22, |v1|, v22, |v1|
	v_cndmask_b32_e64 v20, v20, v22, s[4:5]
	v_bfi_b32 v1, s12, v20, v1
	v_bfe_u32 v20, v1, 16, 1
	v_add3_u32 v20, v1, v20, s13
	v_cmp_o_f32_e64 s[4:5], v1, v1
	s_waitcnt vmcnt(2)
	v_lshlrev_b32_e32 v1, 16, v10
	v_fma_f32 v10, |v1|, -0.5, 0.5
	v_mul_f32_e32 v22, v1, v1
	v_cmp_ge_f32_e64 s[6:7], |v1|, 0.5
	v_cndmask_b32_e64 v10, v22, v10, s[6:7]
	v_mov_b32_e32 v22, 0x3c5fc5da
	v_fmac_f32_e32 v22, 0x3d1c21a7, v10
	v_fma_f32 v22, v10, v22, v2
	v_fma_f32 v22, v10, v22, v4
	;; [unrolled: 1-line block ×4, first 2 shown]
	v_mul_f32_e32 v22, v10, v22
	v_sqrt_f32_e32 v10, v10
	v_cmp_lt_f32_e64 s[6:7], |v1|, 0.5
	v_lshrrev_b32_e32 v16, 16, v16
	v_lshrrev_b32_e32 v17, 16, v17
	v_fmac_f32_e32 v10, v10, v22
	v_add_f32_e32 v10, v10, v10
	v_sub_f32_e32 v10, 0x3fc90fdb, v10
	v_fma_f32 v22, |v1|, v22, |v1|
	v_cndmask_b32_e64 v10, v10, v22, s[6:7]
	v_bfi_b32 v1, s12, v10, v1
	v_bfe_u32 v10, v1, 16, 1
	v_add3_u32 v10, v1, v10, s13
	v_cmp_o_f32_e64 s[6:7], v1, v1
	s_waitcnt vmcnt(1)
	v_lshlrev_b32_e32 v1, 16, v13
	v_fma_f32 v13, |v1|, -0.5, 0.5
	v_mul_f32_e32 v22, v1, v1
	v_cmp_ge_f32_e64 s[8:9], |v1|, 0.5
	v_cndmask_b32_e64 v13, v22, v13, s[8:9]
	v_mov_b32_e32 v22, 0x3c5fc5da
	v_fmac_f32_e32 v22, 0x3d1c21a7, v13
	v_fma_f32 v22, v13, v22, v2
	v_fma_f32 v22, v13, v22, v4
	;; [unrolled: 1-line block ×4, first 2 shown]
	v_mul_f32_e32 v22, v13, v22
	v_sqrt_f32_e32 v13, v13
	v_cmp_lt_f32_e64 s[8:9], |v1|, 0.5
	v_lshrrev_b32_e32 v20, 16, v20
	v_lshrrev_b32_e32 v10, 16, v10
	v_fmac_f32_e32 v13, v13, v22
	v_add_f32_e32 v13, v13, v13
	v_sub_f32_e32 v13, 0x3fc90fdb, v13
	v_fma_f32 v22, |v1|, v22, |v1|
	v_cndmask_b32_e64 v13, v13, v22, s[8:9]
	v_bfi_b32 v1, s12, v13, v1
	v_bfe_u32 v13, v1, 16, 1
	v_add3_u32 v13, v1, v13, s13
	v_cmp_o_f32_e64 s[8:9], v1, v1
	v_lshrrev_b32_e32 v13, 16, v13
	v_cndmask_b32_e64 v10, v8, v10, s[6:7]
	v_cndmask_b32_e64 v13, v8, v13, s[8:9]
	s_waitcnt vmcnt(0)
	v_lshlrev_b32_e32 v1, 16, v19
	v_fma_f32 v19, |v1|, -0.5, 0.5
	v_mul_f32_e32 v22, v1, v1
	v_cmp_ge_f32_e64 s[10:11], |v1|, 0.5
	v_cndmask_b32_e64 v19, v22, v19, s[10:11]
	v_mov_b32_e32 v22, 0x3c5fc5da
	v_fmac_f32_e32 v22, 0x3d1c21a7, v19
	v_fmac_f32_e32 v2, v19, v22
	;; [unrolled: 1-line block ×4, first 2 shown]
	v_sqrt_f32_e32 v4, v19
	v_fmac_f32_e32 v7, v19, v5
	v_mul_f32_e32 v2, v19, v7
	v_cmp_lt_f32_e64 s[10:11], |v1|, 0.5
	v_fmac_f32_e32 v4, v4, v2
	v_add_f32_e32 v4, v4, v4
	v_sub_f32_e32 v4, 0x3fc90fdb, v4
	v_fma_f32 v2, |v1|, v2, |v1|
	v_cndmask_b32_e64 v2, v4, v2, s[10:11]
	v_bfi_b32 v1, s12, v2, v1
	v_bfe_u32 v2, v1, 16, 1
	v_add3_u32 v2, v1, v2, s13
	v_cmp_o_f32_e64 s[10:11], v1, v1
	v_bfe_u32 v1, v11, 16, 1
	v_add3_u32 v1, v11, v1, s13
	v_lshrrev_b32_e32 v1, 16, v1
	v_cmp_o_f32_e64 s[12:13], v11, v11
	v_cndmask_b32_e64 v1, v8, v1, s[12:13]
	v_cndmask_b32_e32 v4, v8, v14, vcc
	s_mov_b64 vcc, s[10:11]
	v_cndmask_b32_e64 v5, v8, v16, s[0:1]
	v_cndmask_b32_e64 v7, v8, v17, s[2:3]
	;; [unrolled: 1-line block ×3, first 2 shown]
	v_cndmask_b32_sdwa v2, v8, v2, vcc dst_sel:DWORD dst_unused:UNUSED_PAD src0_sel:DWORD src1_sel:WORD_1
	global_store_short v0, v1, s[16:17]
	global_store_short v3, v4, s[16:17]
	;; [unrolled: 1-line block ×8, first 2 shown]
	s_endpgm
.LBB62_129:
	v_mov_b32_e32 v0, 0
	v_mov_b32_e32 v2, 0
	s_branch .LBB62_135
.LBB62_130:
	v_mov_b32_e32 v0, 0
	v_mov_b32_e32 v2, 0
	s_branch .LBB62_151
.LBB62_131:
	s_mov_b32 s57, 0
	v_mov_b32_e32 v0, 0
	v_mov_b32_e32 v2, 0
	;; [unrolled: 1-line block ×3, first 2 shown]
.LBB62_132:
	s_and_b32 s4, s58, 3
	s_cmp_eq_u32 s4, 0
	s_cbranch_scc1 .LBB62_135
; %bb.133:
	s_lshl_b32 s0, s57, 3
	s_add_u32 s0, s34, s0
	s_addc_u32 s1, s35, 0
	s_add_u32 s0, s0, 0xc4
	s_addc_u32 s1, s1, 0
	s_mul_i32 s2, s57, 12
	s_add_u32 s2, s34, s2
	s_addc_u32 s3, s35, 0
.LBB62_134:                             ; =>This Inner Loop Header: Depth=1
	s_load_dwordx2 s[6:7], s[2:3], 0x4
	s_load_dword s5, s[2:3], 0xc
	s_load_dwordx2 s[8:9], s[0:1], 0x0
	s_add_u32 s2, s2, 12
	s_addc_u32 s3, s3, 0
	s_waitcnt lgkmcnt(0)
	v_mul_hi_u32 v3, s7, v1
	s_add_u32 s0, s0, 8
	s_addc_u32 s1, s1, 0
	s_add_i32 s4, s4, -1
	v_add_u32_e32 v3, v1, v3
	v_lshrrev_b32_e32 v4, s5, v3
	v_mul_lo_u32 v3, v4, s6
	s_cmp_lg_u32 s4, 0
	v_sub_u32_e32 v3, v1, v3
	v_mad_u64_u32 v[0:1], s[6:7], v3, s8, v[0:1]
	v_mad_u64_u32 v[2:3], s[6:7], v3, s9, v[2:3]
	v_mov_b32_e32 v1, v4
	s_cbranch_scc1 .LBB62_134
.LBB62_135:
	s_cbranch_execnz .LBB62_138
.LBB62_136:
	s_waitcnt lgkmcnt(0)
	v_mul_hi_u32 v0, s25, v19
	s_andn2_b64 vcc, exec, s[42:43]
	v_add_u32_e32 v0, v19, v0
	v_lshrrev_b32_e32 v1, s26, v0
	v_mul_lo_u32 v0, v1, s24
	v_sub_u32_e32 v2, v19, v0
	v_mul_lo_u32 v0, v2, s20
	v_mul_lo_u32 v2, v2, s21
	s_cbranch_vccnz .LBB62_138
; %bb.137:
	v_mul_hi_u32 v3, s40, v1
	v_add_u32_e32 v3, v1, v3
	v_lshrrev_b32_e32 v3, s41, v3
	v_mul_lo_u32 v3, v3, s27
	v_sub_u32_e32 v3, v1, v3
	v_mad_u64_u32 v[0:1], s[0:1], v3, s22, v[0:1]
	v_mad_u64_u32 v[2:3], s[0:1], v3, s23, v[2:3]
.LBB62_138:
	s_waitcnt lgkmcnt(0)
	global_load_ushort v1, v2, s[18:19]
	v_mov_b32_e32 v2, 0x3c5fc5da
	v_mov_b32_e32 v3, 0x3d034c3c
	;; [unrolled: 1-line block ×5, first 2 shown]
	s_brev_b32 s0, -2
	s_movk_i32 s1, 0x7fff
	v_mov_b32_e32 v7, 0x7fc0
	v_add_u32_e32 v19, 0x80, v19
	s_waitcnt vmcnt(0)
	v_lshlrev_b32_e32 v1, 16, v1
	v_fma_f32 v8, |v1|, -0.5, 0.5
	v_mul_f32_e32 v9, v1, v1
	v_cmp_ge_f32_e64 vcc, |v1|, 0.5
	v_cndmask_b32_e32 v8, v9, v8, vcc
	v_fmac_f32_e32 v2, 0x3d1c21a7, v8
	v_fmac_f32_e32 v3, v8, v2
	v_sqrt_f32_e32 v9, v8
	v_fmac_f32_e32 v4, v8, v3
	v_fmac_f32_e32 v5, v8, v4
	v_fmac_f32_e32 v6, v8, v5
	v_mul_f32_e32 v2, v8, v6
	v_fmac_f32_e32 v9, v9, v2
	v_add_f32_e32 v3, v9, v9
	v_fma_f32 v2, |v1|, v2, |v1|
	v_sub_f32_e32 v3, 0x3fc90fdb, v3
	v_cmp_lt_f32_e64 vcc, |v1|, 0.5
	v_cndmask_b32_e32 v2, v3, v2, vcc
	v_bfi_b32 v1, s0, v2, v1
	v_bfe_u32 v2, v1, 16, 1
	v_cmp_o_f32_e32 vcc, v1, v1
	v_add3_u32 v1, v1, v2, s1
	v_cndmask_b32_sdwa v1, v7, v1, vcc dst_sel:DWORD dst_unused:UNUSED_PAD src0_sel:DWORD src1_sel:WORD_1
	global_store_short v0, v1, s[16:17]
	s_or_b64 exec, exec, s[48:49]
	v_cmp_gt_i32_e32 vcc, s55, v19
	s_and_saveexec_b64 s[48:49], vcc
	s_cbranch_execnz .LBB62_15
.LBB62_139:
	s_or_b64 exec, exec, s[48:49]
	v_cmp_gt_i32_e32 vcc, s55, v19
	s_and_saveexec_b64 s[48:49], vcc
	s_cbranch_execz .LBB62_155
.LBB62_140:
	s_andn2_b64 vcc, exec, s[36:37]
	s_cbranch_vccnz .LBB62_145
; %bb.141:
	s_andn2_b64 vcc, exec, s[46:47]
	s_cbranch_vccnz .LBB62_146
; %bb.142:
	s_add_i32 s58, s56, 1
	s_cmp_eq_u32 s54, 2
	s_cbranch_scc1 .LBB62_163
; %bb.143:
	s_and_b32 s57, s58, 28
	v_mov_b32_e32 v2, 0
	s_mov_b32 s59, 0
	s_mov_b64 s[50:51], s[34:35]
	s_mov_b64 s[52:53], s[44:45]
	v_mov_b32_e32 v0, 0
	v_mov_b32_e32 v1, v19
.LBB62_144:                             ; =>This Inner Loop Header: Depth=1
	s_load_dwordx8 s[8:15], s[50:51], 0x4
	s_load_dwordx4 s[28:31], s[50:51], 0x24
	s_load_dwordx8 s[0:7], s[52:53], 0x0
	s_add_u32 s50, s50, 48
	s_addc_u32 s51, s51, 0
	s_waitcnt lgkmcnt(0)
	v_mul_hi_u32 v3, s9, v1
	s_add_i32 s59, s59, 4
	s_add_u32 s52, s52, 32
	s_addc_u32 s53, s53, 0
	v_add_u32_e32 v3, v1, v3
	v_lshrrev_b32_e32 v3, s10, v3
	v_mul_lo_u32 v4, v3, s8
	v_mul_hi_u32 v5, s12, v3
	s_cmp_eq_u32 s57, s59
	v_sub_u32_e32 v1, v1, v4
	v_add_u32_e32 v4, v3, v5
	v_mul_lo_u32 v5, v1, s0
	v_mul_lo_u32 v6, v1, s1
	v_lshrrev_b32_e32 v1, s13, v4
	v_mul_lo_u32 v4, v1, s11
	v_mul_hi_u32 v7, s15, v1
	v_sub_u32_e32 v3, v3, v4
	v_add_u32_e32 v4, v1, v7
	v_lshrrev_b32_e32 v4, s28, v4
	v_mul_hi_u32 v8, s30, v4
	v_mul_lo_u32 v9, v4, s14
	v_mul_lo_u32 v7, v3, s2
	;; [unrolled: 1-line block ×3, first 2 shown]
	v_sub_u32_e32 v9, v1, v9
	v_add_u32_e32 v1, v4, v8
	v_lshrrev_b32_e32 v1, s31, v1
	v_mul_lo_u32 v8, v1, s29
	v_mul_lo_u32 v10, v9, s4
	;; [unrolled: 1-line block ×3, first 2 shown]
	v_add3_u32 v0, v5, v0, v7
	v_sub_u32_e32 v4, v4, v8
	v_mul_lo_u32 v8, v4, s6
	v_mul_lo_u32 v4, v4, s7
	v_add3_u32 v2, v6, v2, v3
	v_add3_u32 v0, v10, v0, v8
	;; [unrolled: 1-line block ×3, first 2 shown]
	s_cbranch_scc0 .LBB62_144
	s_branch .LBB62_164
.LBB62_145:
                                        ; implicit-def: $vgpr0
                                        ; implicit-def: $vgpr2
	s_branch .LBB62_168
.LBB62_146:
	v_mov_b32_e32 v0, 0
	v_mov_b32_e32 v2, 0
	s_branch .LBB62_167
.LBB62_147:
	s_mov_b32 s57, 0
	v_mov_b32_e32 v0, 0
	v_mov_b32_e32 v2, 0
	v_mov_b32_e32 v1, v19
.LBB62_148:
	s_and_b32 s4, s58, 3
	s_cmp_eq_u32 s4, 0
	s_cbranch_scc1 .LBB62_151
; %bb.149:
	s_lshl_b32 s0, s57, 3
	s_add_u32 s0, s34, s0
	s_addc_u32 s1, s35, 0
	s_add_u32 s0, s0, 0xc4
	s_addc_u32 s1, s1, 0
	s_mul_i32 s2, s57, 12
	s_add_u32 s2, s34, s2
	s_addc_u32 s3, s35, 0
.LBB62_150:                             ; =>This Inner Loop Header: Depth=1
	s_load_dwordx2 s[6:7], s[2:3], 0x4
	s_load_dword s5, s[2:3], 0xc
	s_load_dwordx2 s[8:9], s[0:1], 0x0
	s_add_u32 s2, s2, 12
	s_addc_u32 s3, s3, 0
	s_waitcnt lgkmcnt(0)
	v_mul_hi_u32 v3, s7, v1
	s_add_u32 s0, s0, 8
	s_addc_u32 s1, s1, 0
	s_add_i32 s4, s4, -1
	v_add_u32_e32 v3, v1, v3
	v_lshrrev_b32_e32 v4, s5, v3
	v_mul_lo_u32 v3, v4, s6
	s_cmp_lg_u32 s4, 0
	v_sub_u32_e32 v3, v1, v3
	v_mad_u64_u32 v[0:1], s[6:7], v3, s8, v[0:1]
	v_mad_u64_u32 v[2:3], s[6:7], v3, s9, v[2:3]
	v_mov_b32_e32 v1, v4
	s_cbranch_scc1 .LBB62_150
.LBB62_151:
	s_cbranch_execnz .LBB62_154
.LBB62_152:
	s_waitcnt lgkmcnt(0)
	v_mul_hi_u32 v0, s25, v19
	s_andn2_b64 vcc, exec, s[42:43]
	v_add_u32_e32 v0, v19, v0
	v_lshrrev_b32_e32 v1, s26, v0
	v_mul_lo_u32 v0, v1, s24
	v_sub_u32_e32 v2, v19, v0
	v_mul_lo_u32 v0, v2, s20
	v_mul_lo_u32 v2, v2, s21
	s_cbranch_vccnz .LBB62_154
; %bb.153:
	v_mul_hi_u32 v3, s40, v1
	v_add_u32_e32 v3, v1, v3
	v_lshrrev_b32_e32 v3, s41, v3
	v_mul_lo_u32 v3, v3, s27
	v_sub_u32_e32 v3, v1, v3
	v_mad_u64_u32 v[0:1], s[0:1], v3, s22, v[0:1]
	v_mad_u64_u32 v[2:3], s[0:1], v3, s23, v[2:3]
.LBB62_154:
	s_waitcnt lgkmcnt(0)
	global_load_ushort v1, v2, s[18:19]
	v_mov_b32_e32 v2, 0x3c5fc5da
	v_mov_b32_e32 v3, 0x3d034c3c
	;; [unrolled: 1-line block ×5, first 2 shown]
	s_brev_b32 s0, -2
	s_movk_i32 s1, 0x7fff
	v_mov_b32_e32 v7, 0x7fc0
	v_add_u32_e32 v19, 0x80, v19
	s_waitcnt vmcnt(0)
	v_lshlrev_b32_e32 v1, 16, v1
	v_fma_f32 v8, |v1|, -0.5, 0.5
	v_mul_f32_e32 v9, v1, v1
	v_cmp_ge_f32_e64 vcc, |v1|, 0.5
	v_cndmask_b32_e32 v8, v9, v8, vcc
	v_fmac_f32_e32 v2, 0x3d1c21a7, v8
	v_fmac_f32_e32 v3, v8, v2
	v_sqrt_f32_e32 v9, v8
	v_fmac_f32_e32 v4, v8, v3
	v_fmac_f32_e32 v5, v8, v4
	;; [unrolled: 1-line block ×3, first 2 shown]
	v_mul_f32_e32 v2, v8, v6
	v_fmac_f32_e32 v9, v9, v2
	v_add_f32_e32 v3, v9, v9
	v_fma_f32 v2, |v1|, v2, |v1|
	v_sub_f32_e32 v3, 0x3fc90fdb, v3
	v_cmp_lt_f32_e64 vcc, |v1|, 0.5
	v_cndmask_b32_e32 v2, v3, v2, vcc
	v_bfi_b32 v1, s0, v2, v1
	v_bfe_u32 v2, v1, 16, 1
	v_cmp_o_f32_e32 vcc, v1, v1
	v_add3_u32 v1, v1, v2, s1
	v_cndmask_b32_sdwa v1, v7, v1, vcc dst_sel:DWORD dst_unused:UNUSED_PAD src0_sel:DWORD src1_sel:WORD_1
	global_store_short v0, v1, s[16:17]
	s_or_b64 exec, exec, s[48:49]
	v_cmp_gt_i32_e32 vcc, s55, v19
	s_and_saveexec_b64 s[48:49], vcc
	s_cbranch_execnz .LBB62_140
.LBB62_155:
	s_or_b64 exec, exec, s[48:49]
	v_cmp_gt_i32_e32 vcc, s55, v19
	s_and_saveexec_b64 s[48:49], vcc
	s_cbranch_execz .LBB62_171
.LBB62_156:
	s_andn2_b64 vcc, exec, s[36:37]
	s_cbranch_vccnz .LBB62_161
; %bb.157:
	s_andn2_b64 vcc, exec, s[46:47]
	s_cbranch_vccnz .LBB62_162
; %bb.158:
	s_add_i32 s58, s56, 1
	s_cmp_eq_u32 s54, 2
	s_cbranch_scc1 .LBB62_179
; %bb.159:
	s_and_b32 s57, s58, 28
	v_mov_b32_e32 v2, 0
	s_mov_b32 s59, 0
	s_mov_b64 s[50:51], s[34:35]
	s_mov_b64 s[52:53], s[44:45]
	v_mov_b32_e32 v0, 0
	v_mov_b32_e32 v1, v19
.LBB62_160:                             ; =>This Inner Loop Header: Depth=1
	s_load_dwordx8 s[8:15], s[50:51], 0x4
	s_load_dwordx4 s[28:31], s[50:51], 0x24
	s_load_dwordx8 s[0:7], s[52:53], 0x0
	s_add_u32 s50, s50, 48
	s_addc_u32 s51, s51, 0
	s_waitcnt lgkmcnt(0)
	v_mul_hi_u32 v3, s9, v1
	s_add_i32 s59, s59, 4
	s_add_u32 s52, s52, 32
	s_addc_u32 s53, s53, 0
	v_add_u32_e32 v3, v1, v3
	v_lshrrev_b32_e32 v3, s10, v3
	v_mul_lo_u32 v4, v3, s8
	v_mul_hi_u32 v5, s12, v3
	s_cmp_eq_u32 s57, s59
	v_sub_u32_e32 v1, v1, v4
	v_add_u32_e32 v4, v3, v5
	v_mul_lo_u32 v5, v1, s0
	v_mul_lo_u32 v6, v1, s1
	v_lshrrev_b32_e32 v1, s13, v4
	v_mul_lo_u32 v4, v1, s11
	v_mul_hi_u32 v7, s15, v1
	v_sub_u32_e32 v3, v3, v4
	v_add_u32_e32 v4, v1, v7
	v_lshrrev_b32_e32 v4, s28, v4
	v_mul_hi_u32 v8, s30, v4
	v_mul_lo_u32 v9, v4, s14
	v_mul_lo_u32 v7, v3, s2
	v_mul_lo_u32 v3, v3, s3
	v_sub_u32_e32 v9, v1, v9
	v_add_u32_e32 v1, v4, v8
	v_lshrrev_b32_e32 v1, s31, v1
	v_mul_lo_u32 v8, v1, s29
	v_mul_lo_u32 v10, v9, s4
	;; [unrolled: 1-line block ×3, first 2 shown]
	v_add3_u32 v0, v5, v0, v7
	v_sub_u32_e32 v4, v4, v8
	v_mul_lo_u32 v8, v4, s6
	v_mul_lo_u32 v4, v4, s7
	v_add3_u32 v2, v6, v2, v3
	v_add3_u32 v0, v10, v0, v8
	;; [unrolled: 1-line block ×3, first 2 shown]
	s_cbranch_scc0 .LBB62_160
	s_branch .LBB62_180
.LBB62_161:
                                        ; implicit-def: $vgpr0
                                        ; implicit-def: $vgpr2
	s_branch .LBB62_184
.LBB62_162:
	v_mov_b32_e32 v0, 0
	v_mov_b32_e32 v2, 0
	s_branch .LBB62_183
.LBB62_163:
	s_mov_b32 s57, 0
	v_mov_b32_e32 v0, 0
	v_mov_b32_e32 v2, 0
	;; [unrolled: 1-line block ×3, first 2 shown]
.LBB62_164:
	s_and_b32 s4, s58, 3
	s_cmp_eq_u32 s4, 0
	s_cbranch_scc1 .LBB62_167
; %bb.165:
	s_lshl_b32 s0, s57, 3
	s_add_u32 s0, s34, s0
	s_addc_u32 s1, s35, 0
	s_add_u32 s0, s0, 0xc4
	s_addc_u32 s1, s1, 0
	s_mul_i32 s2, s57, 12
	s_add_u32 s2, s34, s2
	s_addc_u32 s3, s35, 0
.LBB62_166:                             ; =>This Inner Loop Header: Depth=1
	s_load_dwordx2 s[6:7], s[2:3], 0x4
	s_load_dword s5, s[2:3], 0xc
	s_load_dwordx2 s[8:9], s[0:1], 0x0
	s_add_u32 s2, s2, 12
	s_addc_u32 s3, s3, 0
	s_waitcnt lgkmcnt(0)
	v_mul_hi_u32 v3, s7, v1
	s_add_u32 s0, s0, 8
	s_addc_u32 s1, s1, 0
	s_add_i32 s4, s4, -1
	v_add_u32_e32 v3, v1, v3
	v_lshrrev_b32_e32 v4, s5, v3
	v_mul_lo_u32 v3, v4, s6
	s_cmp_lg_u32 s4, 0
	v_sub_u32_e32 v3, v1, v3
	v_mad_u64_u32 v[0:1], s[6:7], v3, s8, v[0:1]
	v_mad_u64_u32 v[2:3], s[6:7], v3, s9, v[2:3]
	v_mov_b32_e32 v1, v4
	s_cbranch_scc1 .LBB62_166
.LBB62_167:
	s_cbranch_execnz .LBB62_170
.LBB62_168:
	s_waitcnt lgkmcnt(0)
	v_mul_hi_u32 v0, s25, v19
	s_andn2_b64 vcc, exec, s[42:43]
	v_add_u32_e32 v0, v19, v0
	v_lshrrev_b32_e32 v1, s26, v0
	v_mul_lo_u32 v0, v1, s24
	v_sub_u32_e32 v2, v19, v0
	v_mul_lo_u32 v0, v2, s20
	v_mul_lo_u32 v2, v2, s21
	s_cbranch_vccnz .LBB62_170
; %bb.169:
	v_mul_hi_u32 v3, s40, v1
	v_add_u32_e32 v3, v1, v3
	v_lshrrev_b32_e32 v3, s41, v3
	v_mul_lo_u32 v3, v3, s27
	v_sub_u32_e32 v3, v1, v3
	v_mad_u64_u32 v[0:1], s[0:1], v3, s22, v[0:1]
	v_mad_u64_u32 v[2:3], s[0:1], v3, s23, v[2:3]
.LBB62_170:
	s_waitcnt lgkmcnt(0)
	global_load_ushort v1, v2, s[18:19]
	v_mov_b32_e32 v2, 0x3c5fc5da
	v_mov_b32_e32 v3, 0x3d034c3c
	;; [unrolled: 1-line block ×5, first 2 shown]
	s_brev_b32 s0, -2
	s_movk_i32 s1, 0x7fff
	v_mov_b32_e32 v7, 0x7fc0
	v_add_u32_e32 v19, 0x80, v19
	s_waitcnt vmcnt(0)
	v_lshlrev_b32_e32 v1, 16, v1
	v_fma_f32 v8, |v1|, -0.5, 0.5
	v_mul_f32_e32 v9, v1, v1
	v_cmp_ge_f32_e64 vcc, |v1|, 0.5
	v_cndmask_b32_e32 v8, v9, v8, vcc
	v_fmac_f32_e32 v2, 0x3d1c21a7, v8
	v_fmac_f32_e32 v3, v8, v2
	v_sqrt_f32_e32 v9, v8
	v_fmac_f32_e32 v4, v8, v3
	v_fmac_f32_e32 v5, v8, v4
	;; [unrolled: 1-line block ×3, first 2 shown]
	v_mul_f32_e32 v2, v8, v6
	v_fmac_f32_e32 v9, v9, v2
	v_add_f32_e32 v3, v9, v9
	v_fma_f32 v2, |v1|, v2, |v1|
	v_sub_f32_e32 v3, 0x3fc90fdb, v3
	v_cmp_lt_f32_e64 vcc, |v1|, 0.5
	v_cndmask_b32_e32 v2, v3, v2, vcc
	v_bfi_b32 v1, s0, v2, v1
	v_bfe_u32 v2, v1, 16, 1
	v_cmp_o_f32_e32 vcc, v1, v1
	v_add3_u32 v1, v1, v2, s1
	v_cndmask_b32_sdwa v1, v7, v1, vcc dst_sel:DWORD dst_unused:UNUSED_PAD src0_sel:DWORD src1_sel:WORD_1
	global_store_short v0, v1, s[16:17]
	s_or_b64 exec, exec, s[48:49]
	v_cmp_gt_i32_e32 vcc, s55, v19
	s_and_saveexec_b64 s[48:49], vcc
	s_cbranch_execnz .LBB62_156
.LBB62_171:
	s_or_b64 exec, exec, s[48:49]
	v_cmp_gt_i32_e32 vcc, s55, v19
	s_and_saveexec_b64 s[48:49], vcc
	s_cbranch_execz .LBB62_187
.LBB62_172:
	s_andn2_b64 vcc, exec, s[36:37]
	s_cbranch_vccnz .LBB62_177
; %bb.173:
	s_andn2_b64 vcc, exec, s[46:47]
	s_cbranch_vccnz .LBB62_178
; %bb.174:
	s_add_i32 s58, s56, 1
	s_cmp_eq_u32 s54, 2
	s_cbranch_scc1 .LBB62_195
; %bb.175:
	s_and_b32 s57, s58, 28
	v_mov_b32_e32 v2, 0
	s_mov_b32 s59, 0
	s_mov_b64 s[50:51], s[34:35]
	s_mov_b64 s[52:53], s[44:45]
	v_mov_b32_e32 v0, 0
	v_mov_b32_e32 v1, v19
.LBB62_176:                             ; =>This Inner Loop Header: Depth=1
	s_load_dwordx8 s[8:15], s[50:51], 0x4
	s_load_dwordx4 s[28:31], s[50:51], 0x24
	s_load_dwordx8 s[0:7], s[52:53], 0x0
	s_add_u32 s50, s50, 48
	s_addc_u32 s51, s51, 0
	s_waitcnt lgkmcnt(0)
	v_mul_hi_u32 v3, s9, v1
	s_add_i32 s59, s59, 4
	s_add_u32 s52, s52, 32
	s_addc_u32 s53, s53, 0
	v_add_u32_e32 v3, v1, v3
	v_lshrrev_b32_e32 v3, s10, v3
	v_mul_lo_u32 v4, v3, s8
	v_mul_hi_u32 v5, s12, v3
	s_cmp_eq_u32 s57, s59
	v_sub_u32_e32 v1, v1, v4
	v_add_u32_e32 v4, v3, v5
	v_mul_lo_u32 v5, v1, s0
	v_mul_lo_u32 v6, v1, s1
	v_lshrrev_b32_e32 v1, s13, v4
	v_mul_lo_u32 v4, v1, s11
	v_mul_hi_u32 v7, s15, v1
	v_sub_u32_e32 v3, v3, v4
	v_add_u32_e32 v4, v1, v7
	v_lshrrev_b32_e32 v4, s28, v4
	v_mul_hi_u32 v8, s30, v4
	v_mul_lo_u32 v9, v4, s14
	v_mul_lo_u32 v7, v3, s2
	;; [unrolled: 1-line block ×3, first 2 shown]
	v_sub_u32_e32 v9, v1, v9
	v_add_u32_e32 v1, v4, v8
	v_lshrrev_b32_e32 v1, s31, v1
	v_mul_lo_u32 v8, v1, s29
	v_mul_lo_u32 v10, v9, s4
	;; [unrolled: 1-line block ×3, first 2 shown]
	v_add3_u32 v0, v5, v0, v7
	v_sub_u32_e32 v4, v4, v8
	v_mul_lo_u32 v8, v4, s6
	v_mul_lo_u32 v4, v4, s7
	v_add3_u32 v2, v6, v2, v3
	v_add3_u32 v0, v10, v0, v8
	;; [unrolled: 1-line block ×3, first 2 shown]
	s_cbranch_scc0 .LBB62_176
	s_branch .LBB62_196
.LBB62_177:
                                        ; implicit-def: $vgpr0
                                        ; implicit-def: $vgpr2
	s_branch .LBB62_200
.LBB62_178:
	v_mov_b32_e32 v0, 0
	v_mov_b32_e32 v2, 0
	s_branch .LBB62_199
.LBB62_179:
	s_mov_b32 s57, 0
	v_mov_b32_e32 v0, 0
	v_mov_b32_e32 v2, 0
	;; [unrolled: 1-line block ×3, first 2 shown]
.LBB62_180:
	s_and_b32 s4, s58, 3
	s_cmp_eq_u32 s4, 0
	s_cbranch_scc1 .LBB62_183
; %bb.181:
	s_lshl_b32 s0, s57, 3
	s_add_u32 s0, s34, s0
	s_addc_u32 s1, s35, 0
	s_add_u32 s0, s0, 0xc4
	s_addc_u32 s1, s1, 0
	s_mul_i32 s2, s57, 12
	s_add_u32 s2, s34, s2
	s_addc_u32 s3, s35, 0
.LBB62_182:                             ; =>This Inner Loop Header: Depth=1
	s_load_dwordx2 s[6:7], s[2:3], 0x4
	s_load_dword s5, s[2:3], 0xc
	s_load_dwordx2 s[8:9], s[0:1], 0x0
	s_add_u32 s2, s2, 12
	s_addc_u32 s3, s3, 0
	s_waitcnt lgkmcnt(0)
	v_mul_hi_u32 v3, s7, v1
	s_add_u32 s0, s0, 8
	s_addc_u32 s1, s1, 0
	s_add_i32 s4, s4, -1
	v_add_u32_e32 v3, v1, v3
	v_lshrrev_b32_e32 v4, s5, v3
	v_mul_lo_u32 v3, v4, s6
	s_cmp_lg_u32 s4, 0
	v_sub_u32_e32 v3, v1, v3
	v_mad_u64_u32 v[0:1], s[6:7], v3, s8, v[0:1]
	v_mad_u64_u32 v[2:3], s[6:7], v3, s9, v[2:3]
	v_mov_b32_e32 v1, v4
	s_cbranch_scc1 .LBB62_182
.LBB62_183:
	s_cbranch_execnz .LBB62_186
.LBB62_184:
	s_waitcnt lgkmcnt(0)
	v_mul_hi_u32 v0, s25, v19
	s_andn2_b64 vcc, exec, s[42:43]
	v_add_u32_e32 v0, v19, v0
	v_lshrrev_b32_e32 v1, s26, v0
	v_mul_lo_u32 v0, v1, s24
	v_sub_u32_e32 v2, v19, v0
	v_mul_lo_u32 v0, v2, s20
	v_mul_lo_u32 v2, v2, s21
	s_cbranch_vccnz .LBB62_186
; %bb.185:
	v_mul_hi_u32 v3, s40, v1
	v_add_u32_e32 v3, v1, v3
	v_lshrrev_b32_e32 v3, s41, v3
	v_mul_lo_u32 v3, v3, s27
	v_sub_u32_e32 v3, v1, v3
	v_mad_u64_u32 v[0:1], s[0:1], v3, s22, v[0:1]
	v_mad_u64_u32 v[2:3], s[0:1], v3, s23, v[2:3]
.LBB62_186:
	s_waitcnt lgkmcnt(0)
	global_load_ushort v1, v2, s[18:19]
	v_mov_b32_e32 v2, 0x3c5fc5da
	v_mov_b32_e32 v3, 0x3d034c3c
	;; [unrolled: 1-line block ×5, first 2 shown]
	s_brev_b32 s0, -2
	s_movk_i32 s1, 0x7fff
	v_mov_b32_e32 v7, 0x7fc0
	v_add_u32_e32 v19, 0x80, v19
	s_waitcnt vmcnt(0)
	v_lshlrev_b32_e32 v1, 16, v1
	v_fma_f32 v8, |v1|, -0.5, 0.5
	v_mul_f32_e32 v9, v1, v1
	v_cmp_ge_f32_e64 vcc, |v1|, 0.5
	v_cndmask_b32_e32 v8, v9, v8, vcc
	v_fmac_f32_e32 v2, 0x3d1c21a7, v8
	v_fmac_f32_e32 v3, v8, v2
	v_sqrt_f32_e32 v9, v8
	v_fmac_f32_e32 v4, v8, v3
	v_fmac_f32_e32 v5, v8, v4
	;; [unrolled: 1-line block ×3, first 2 shown]
	v_mul_f32_e32 v2, v8, v6
	v_fmac_f32_e32 v9, v9, v2
	v_add_f32_e32 v3, v9, v9
	v_fma_f32 v2, |v1|, v2, |v1|
	v_sub_f32_e32 v3, 0x3fc90fdb, v3
	v_cmp_lt_f32_e64 vcc, |v1|, 0.5
	v_cndmask_b32_e32 v2, v3, v2, vcc
	v_bfi_b32 v1, s0, v2, v1
	v_bfe_u32 v2, v1, 16, 1
	v_cmp_o_f32_e32 vcc, v1, v1
	v_add3_u32 v1, v1, v2, s1
	v_cndmask_b32_sdwa v1, v7, v1, vcc dst_sel:DWORD dst_unused:UNUSED_PAD src0_sel:DWORD src1_sel:WORD_1
	global_store_short v0, v1, s[16:17]
	s_or_b64 exec, exec, s[48:49]
	v_cmp_gt_i32_e32 vcc, s55, v19
	s_and_saveexec_b64 s[48:49], vcc
	s_cbranch_execnz .LBB62_172
.LBB62_187:
	s_or_b64 exec, exec, s[48:49]
	v_cmp_gt_i32_e32 vcc, s55, v19
	s_and_saveexec_b64 s[48:49], vcc
	s_cbranch_execz .LBB62_203
.LBB62_188:
	s_andn2_b64 vcc, exec, s[36:37]
	s_cbranch_vccnz .LBB62_193
; %bb.189:
	s_andn2_b64 vcc, exec, s[46:47]
	s_cbranch_vccnz .LBB62_194
; %bb.190:
	s_add_i32 s58, s56, 1
	s_cmp_eq_u32 s54, 2
	s_cbranch_scc1 .LBB62_211
; %bb.191:
	s_and_b32 s57, s58, 28
	v_mov_b32_e32 v2, 0
	s_mov_b32 s59, 0
	s_mov_b64 s[50:51], s[34:35]
	s_mov_b64 s[52:53], s[44:45]
	v_mov_b32_e32 v0, 0
	v_mov_b32_e32 v1, v19
.LBB62_192:                             ; =>This Inner Loop Header: Depth=1
	s_load_dwordx8 s[8:15], s[50:51], 0x4
	s_load_dwordx4 s[28:31], s[50:51], 0x24
	s_load_dwordx8 s[0:7], s[52:53], 0x0
	s_add_u32 s50, s50, 48
	s_addc_u32 s51, s51, 0
	s_waitcnt lgkmcnt(0)
	v_mul_hi_u32 v3, s9, v1
	s_add_i32 s59, s59, 4
	s_add_u32 s52, s52, 32
	s_addc_u32 s53, s53, 0
	v_add_u32_e32 v3, v1, v3
	v_lshrrev_b32_e32 v3, s10, v3
	v_mul_lo_u32 v4, v3, s8
	v_mul_hi_u32 v5, s12, v3
	s_cmp_eq_u32 s57, s59
	v_sub_u32_e32 v1, v1, v4
	v_add_u32_e32 v4, v3, v5
	v_mul_lo_u32 v5, v1, s0
	v_mul_lo_u32 v6, v1, s1
	v_lshrrev_b32_e32 v1, s13, v4
	v_mul_lo_u32 v4, v1, s11
	v_mul_hi_u32 v7, s15, v1
	v_sub_u32_e32 v3, v3, v4
	v_add_u32_e32 v4, v1, v7
	v_lshrrev_b32_e32 v4, s28, v4
	v_mul_hi_u32 v8, s30, v4
	v_mul_lo_u32 v9, v4, s14
	v_mul_lo_u32 v7, v3, s2
	;; [unrolled: 1-line block ×3, first 2 shown]
	v_sub_u32_e32 v9, v1, v9
	v_add_u32_e32 v1, v4, v8
	v_lshrrev_b32_e32 v1, s31, v1
	v_mul_lo_u32 v8, v1, s29
	v_mul_lo_u32 v10, v9, s4
	;; [unrolled: 1-line block ×3, first 2 shown]
	v_add3_u32 v0, v5, v0, v7
	v_sub_u32_e32 v4, v4, v8
	v_mul_lo_u32 v8, v4, s6
	v_mul_lo_u32 v4, v4, s7
	v_add3_u32 v2, v6, v2, v3
	v_add3_u32 v0, v10, v0, v8
	;; [unrolled: 1-line block ×3, first 2 shown]
	s_cbranch_scc0 .LBB62_192
	s_branch .LBB62_212
.LBB62_193:
                                        ; implicit-def: $vgpr0
                                        ; implicit-def: $vgpr2
	s_branch .LBB62_216
.LBB62_194:
	v_mov_b32_e32 v0, 0
	v_mov_b32_e32 v2, 0
	s_branch .LBB62_215
.LBB62_195:
	s_mov_b32 s57, 0
	v_mov_b32_e32 v0, 0
	v_mov_b32_e32 v2, 0
	;; [unrolled: 1-line block ×3, first 2 shown]
.LBB62_196:
	s_and_b32 s4, s58, 3
	s_cmp_eq_u32 s4, 0
	s_cbranch_scc1 .LBB62_199
; %bb.197:
	s_lshl_b32 s0, s57, 3
	s_add_u32 s0, s34, s0
	s_addc_u32 s1, s35, 0
	s_add_u32 s0, s0, 0xc4
	s_addc_u32 s1, s1, 0
	s_mul_i32 s2, s57, 12
	s_add_u32 s2, s34, s2
	s_addc_u32 s3, s35, 0
.LBB62_198:                             ; =>This Inner Loop Header: Depth=1
	s_load_dwordx2 s[6:7], s[2:3], 0x4
	s_load_dword s5, s[2:3], 0xc
	s_load_dwordx2 s[8:9], s[0:1], 0x0
	s_add_u32 s2, s2, 12
	s_addc_u32 s3, s3, 0
	s_waitcnt lgkmcnt(0)
	v_mul_hi_u32 v3, s7, v1
	s_add_u32 s0, s0, 8
	s_addc_u32 s1, s1, 0
	s_add_i32 s4, s4, -1
	v_add_u32_e32 v3, v1, v3
	v_lshrrev_b32_e32 v4, s5, v3
	v_mul_lo_u32 v3, v4, s6
	s_cmp_lg_u32 s4, 0
	v_sub_u32_e32 v3, v1, v3
	v_mad_u64_u32 v[0:1], s[6:7], v3, s8, v[0:1]
	v_mad_u64_u32 v[2:3], s[6:7], v3, s9, v[2:3]
	v_mov_b32_e32 v1, v4
	s_cbranch_scc1 .LBB62_198
.LBB62_199:
	s_cbranch_execnz .LBB62_202
.LBB62_200:
	s_waitcnt lgkmcnt(0)
	v_mul_hi_u32 v0, s25, v19
	s_andn2_b64 vcc, exec, s[42:43]
	v_add_u32_e32 v0, v19, v0
	v_lshrrev_b32_e32 v1, s26, v0
	v_mul_lo_u32 v0, v1, s24
	v_sub_u32_e32 v2, v19, v0
	v_mul_lo_u32 v0, v2, s20
	v_mul_lo_u32 v2, v2, s21
	s_cbranch_vccnz .LBB62_202
; %bb.201:
	v_mul_hi_u32 v3, s40, v1
	v_add_u32_e32 v3, v1, v3
	v_lshrrev_b32_e32 v3, s41, v3
	v_mul_lo_u32 v3, v3, s27
	v_sub_u32_e32 v3, v1, v3
	v_mad_u64_u32 v[0:1], s[0:1], v3, s22, v[0:1]
	v_mad_u64_u32 v[2:3], s[0:1], v3, s23, v[2:3]
.LBB62_202:
	s_waitcnt lgkmcnt(0)
	global_load_ushort v1, v2, s[18:19]
	v_mov_b32_e32 v2, 0x3c5fc5da
	v_mov_b32_e32 v3, 0x3d034c3c
	;; [unrolled: 1-line block ×5, first 2 shown]
	s_brev_b32 s0, -2
	s_movk_i32 s1, 0x7fff
	v_mov_b32_e32 v7, 0x7fc0
	v_add_u32_e32 v19, 0x80, v19
	s_waitcnt vmcnt(0)
	v_lshlrev_b32_e32 v1, 16, v1
	v_fma_f32 v8, |v1|, -0.5, 0.5
	v_mul_f32_e32 v9, v1, v1
	v_cmp_ge_f32_e64 vcc, |v1|, 0.5
	v_cndmask_b32_e32 v8, v9, v8, vcc
	v_fmac_f32_e32 v2, 0x3d1c21a7, v8
	v_fmac_f32_e32 v3, v8, v2
	v_sqrt_f32_e32 v9, v8
	v_fmac_f32_e32 v4, v8, v3
	v_fmac_f32_e32 v5, v8, v4
	;; [unrolled: 1-line block ×3, first 2 shown]
	v_mul_f32_e32 v2, v8, v6
	v_fmac_f32_e32 v9, v9, v2
	v_add_f32_e32 v3, v9, v9
	v_fma_f32 v2, |v1|, v2, |v1|
	v_sub_f32_e32 v3, 0x3fc90fdb, v3
	v_cmp_lt_f32_e64 vcc, |v1|, 0.5
	v_cndmask_b32_e32 v2, v3, v2, vcc
	v_bfi_b32 v1, s0, v2, v1
	v_bfe_u32 v2, v1, 16, 1
	v_cmp_o_f32_e32 vcc, v1, v1
	v_add3_u32 v1, v1, v2, s1
	v_cndmask_b32_sdwa v1, v7, v1, vcc dst_sel:DWORD dst_unused:UNUSED_PAD src0_sel:DWORD src1_sel:WORD_1
	global_store_short v0, v1, s[16:17]
	s_or_b64 exec, exec, s[48:49]
	v_cmp_gt_i32_e32 vcc, s55, v19
	s_and_saveexec_b64 s[48:49], vcc
	s_cbranch_execnz .LBB62_188
.LBB62_203:
	s_or_b64 exec, exec, s[48:49]
	v_cmp_gt_i32_e32 vcc, s55, v19
	s_and_saveexec_b64 s[48:49], vcc
	s_cbranch_execz .LBB62_219
.LBB62_204:
	s_andn2_b64 vcc, exec, s[36:37]
	s_cbranch_vccnz .LBB62_209
; %bb.205:
	s_andn2_b64 vcc, exec, s[46:47]
	s_cbranch_vccnz .LBB62_210
; %bb.206:
	s_add_i32 s58, s56, 1
	s_cmp_eq_u32 s54, 2
	s_cbranch_scc1 .LBB62_222
; %bb.207:
	s_and_b32 s57, s58, 28
	v_mov_b32_e32 v2, 0
	s_mov_b32 s59, 0
	s_mov_b64 s[50:51], s[34:35]
	s_mov_b64 s[52:53], s[44:45]
	v_mov_b32_e32 v0, 0
	v_mov_b32_e32 v1, v19
.LBB62_208:                             ; =>This Inner Loop Header: Depth=1
	s_load_dwordx8 s[8:15], s[50:51], 0x4
	s_load_dwordx4 s[28:31], s[50:51], 0x24
	s_load_dwordx8 s[0:7], s[52:53], 0x0
	s_add_u32 s50, s50, 48
	s_addc_u32 s51, s51, 0
	s_waitcnt lgkmcnt(0)
	v_mul_hi_u32 v3, s9, v1
	s_add_i32 s59, s59, 4
	s_add_u32 s52, s52, 32
	s_addc_u32 s53, s53, 0
	v_add_u32_e32 v3, v1, v3
	v_lshrrev_b32_e32 v3, s10, v3
	v_mul_lo_u32 v4, v3, s8
	v_mul_hi_u32 v5, s12, v3
	s_cmp_eq_u32 s57, s59
	v_sub_u32_e32 v1, v1, v4
	v_add_u32_e32 v4, v3, v5
	v_mul_lo_u32 v5, v1, s0
	v_mul_lo_u32 v6, v1, s1
	v_lshrrev_b32_e32 v1, s13, v4
	v_mul_lo_u32 v4, v1, s11
	v_mul_hi_u32 v7, s15, v1
	v_sub_u32_e32 v3, v3, v4
	v_add_u32_e32 v4, v1, v7
	v_lshrrev_b32_e32 v4, s28, v4
	v_mul_hi_u32 v8, s30, v4
	v_mul_lo_u32 v9, v4, s14
	v_mul_lo_u32 v7, v3, s2
	;; [unrolled: 1-line block ×3, first 2 shown]
	v_sub_u32_e32 v9, v1, v9
	v_add_u32_e32 v1, v4, v8
	v_lshrrev_b32_e32 v1, s31, v1
	v_mul_lo_u32 v8, v1, s29
	v_mul_lo_u32 v10, v9, s4
	;; [unrolled: 1-line block ×3, first 2 shown]
	v_add3_u32 v0, v5, v0, v7
	v_sub_u32_e32 v4, v4, v8
	v_mul_lo_u32 v8, v4, s6
	v_mul_lo_u32 v4, v4, s7
	v_add3_u32 v2, v6, v2, v3
	v_add3_u32 v0, v10, v0, v8
	;; [unrolled: 1-line block ×3, first 2 shown]
	s_cbranch_scc0 .LBB62_208
	s_branch .LBB62_223
.LBB62_209:
                                        ; implicit-def: $vgpr0
                                        ; implicit-def: $vgpr2
	s_branch .LBB62_227
.LBB62_210:
	v_mov_b32_e32 v0, 0
	v_mov_b32_e32 v2, 0
	s_branch .LBB62_226
.LBB62_211:
	s_mov_b32 s57, 0
	v_mov_b32_e32 v0, 0
	v_mov_b32_e32 v2, 0
	v_mov_b32_e32 v1, v19
.LBB62_212:
	s_and_b32 s4, s58, 3
	s_cmp_eq_u32 s4, 0
	s_cbranch_scc1 .LBB62_215
; %bb.213:
	s_lshl_b32 s0, s57, 3
	s_add_u32 s0, s34, s0
	s_addc_u32 s1, s35, 0
	s_add_u32 s0, s0, 0xc4
	s_addc_u32 s1, s1, 0
	s_mul_i32 s2, s57, 12
	s_add_u32 s2, s34, s2
	s_addc_u32 s3, s35, 0
.LBB62_214:                             ; =>This Inner Loop Header: Depth=1
	s_load_dwordx2 s[6:7], s[2:3], 0x4
	s_load_dword s5, s[2:3], 0xc
	s_load_dwordx2 s[8:9], s[0:1], 0x0
	s_add_u32 s2, s2, 12
	s_addc_u32 s3, s3, 0
	s_waitcnt lgkmcnt(0)
	v_mul_hi_u32 v3, s7, v1
	s_add_u32 s0, s0, 8
	s_addc_u32 s1, s1, 0
	s_add_i32 s4, s4, -1
	v_add_u32_e32 v3, v1, v3
	v_lshrrev_b32_e32 v4, s5, v3
	v_mul_lo_u32 v3, v4, s6
	s_cmp_lg_u32 s4, 0
	v_sub_u32_e32 v3, v1, v3
	v_mad_u64_u32 v[0:1], s[6:7], v3, s8, v[0:1]
	v_mad_u64_u32 v[2:3], s[6:7], v3, s9, v[2:3]
	v_mov_b32_e32 v1, v4
	s_cbranch_scc1 .LBB62_214
.LBB62_215:
	s_cbranch_execnz .LBB62_218
.LBB62_216:
	s_waitcnt lgkmcnt(0)
	v_mul_hi_u32 v0, s25, v19
	s_andn2_b64 vcc, exec, s[42:43]
	v_add_u32_e32 v0, v19, v0
	v_lshrrev_b32_e32 v1, s26, v0
	v_mul_lo_u32 v0, v1, s24
	v_sub_u32_e32 v2, v19, v0
	v_mul_lo_u32 v0, v2, s20
	v_mul_lo_u32 v2, v2, s21
	s_cbranch_vccnz .LBB62_218
; %bb.217:
	v_mul_hi_u32 v3, s40, v1
	v_add_u32_e32 v3, v1, v3
	v_lshrrev_b32_e32 v3, s41, v3
	v_mul_lo_u32 v3, v3, s27
	v_sub_u32_e32 v3, v1, v3
	v_mad_u64_u32 v[0:1], s[0:1], v3, s22, v[0:1]
	v_mad_u64_u32 v[2:3], s[0:1], v3, s23, v[2:3]
.LBB62_218:
	s_waitcnt lgkmcnt(0)
	global_load_ushort v1, v2, s[18:19]
	v_mov_b32_e32 v2, 0x3c5fc5da
	v_mov_b32_e32 v3, 0x3d034c3c
	;; [unrolled: 1-line block ×5, first 2 shown]
	s_brev_b32 s0, -2
	s_movk_i32 s1, 0x7fff
	v_mov_b32_e32 v7, 0x7fc0
	v_add_u32_e32 v19, 0x80, v19
	s_waitcnt vmcnt(0)
	v_lshlrev_b32_e32 v1, 16, v1
	v_fma_f32 v8, |v1|, -0.5, 0.5
	v_mul_f32_e32 v9, v1, v1
	v_cmp_ge_f32_e64 vcc, |v1|, 0.5
	v_cndmask_b32_e32 v8, v9, v8, vcc
	v_fmac_f32_e32 v2, 0x3d1c21a7, v8
	v_fmac_f32_e32 v3, v8, v2
	v_sqrt_f32_e32 v9, v8
	v_fmac_f32_e32 v4, v8, v3
	v_fmac_f32_e32 v5, v8, v4
	;; [unrolled: 1-line block ×3, first 2 shown]
	v_mul_f32_e32 v2, v8, v6
	v_fmac_f32_e32 v9, v9, v2
	v_add_f32_e32 v3, v9, v9
	v_fma_f32 v2, |v1|, v2, |v1|
	v_sub_f32_e32 v3, 0x3fc90fdb, v3
	v_cmp_lt_f32_e64 vcc, |v1|, 0.5
	v_cndmask_b32_e32 v2, v3, v2, vcc
	v_bfi_b32 v1, s0, v2, v1
	v_bfe_u32 v2, v1, 16, 1
	v_cmp_o_f32_e32 vcc, v1, v1
	v_add3_u32 v1, v1, v2, s1
	v_cndmask_b32_sdwa v1, v7, v1, vcc dst_sel:DWORD dst_unused:UNUSED_PAD src0_sel:DWORD src1_sel:WORD_1
	global_store_short v0, v1, s[16:17]
	s_or_b64 exec, exec, s[48:49]
	v_cmp_gt_i32_e32 vcc, s55, v19
	s_and_saveexec_b64 s[48:49], vcc
	s_cbranch_execnz .LBB62_204
.LBB62_219:
	s_or_b64 exec, exec, s[48:49]
	v_cmp_gt_i32_e32 vcc, s55, v19
	s_and_saveexec_b64 s[48:49], vcc
	s_cbranch_execnz .LBB62_230
.LBB62_220:
	s_or_b64 exec, exec, s[48:49]
                                        ; implicit-def: $vgpr25
                                        ; implicit-def: $vgpr19
	s_andn2_saveexec_b64 s[0:1], s[38:39]
	s_cbranch_execnz .LBB62_8
.LBB62_221:
	s_endpgm
.LBB62_222:
	s_mov_b32 s57, 0
	v_mov_b32_e32 v0, 0
	v_mov_b32_e32 v2, 0
	;; [unrolled: 1-line block ×3, first 2 shown]
.LBB62_223:
	s_and_b32 s4, s58, 3
	s_cmp_eq_u32 s4, 0
	s_cbranch_scc1 .LBB62_226
; %bb.224:
	s_lshl_b32 s0, s57, 3
	s_add_u32 s0, s34, s0
	s_addc_u32 s1, s35, 0
	s_add_u32 s0, s0, 0xc4
	s_addc_u32 s1, s1, 0
	s_mul_i32 s2, s57, 12
	s_add_u32 s2, s34, s2
	s_addc_u32 s3, s35, 0
.LBB62_225:                             ; =>This Inner Loop Header: Depth=1
	s_load_dwordx2 s[6:7], s[2:3], 0x4
	s_load_dword s5, s[2:3], 0xc
	s_load_dwordx2 s[8:9], s[0:1], 0x0
	s_add_u32 s2, s2, 12
	s_addc_u32 s3, s3, 0
	s_waitcnt lgkmcnt(0)
	v_mul_hi_u32 v3, s7, v1
	s_add_u32 s0, s0, 8
	s_addc_u32 s1, s1, 0
	s_add_i32 s4, s4, -1
	v_add_u32_e32 v3, v1, v3
	v_lshrrev_b32_e32 v4, s5, v3
	v_mul_lo_u32 v3, v4, s6
	s_cmp_lg_u32 s4, 0
	v_sub_u32_e32 v3, v1, v3
	v_mad_u64_u32 v[0:1], s[6:7], v3, s8, v[0:1]
	v_mad_u64_u32 v[2:3], s[6:7], v3, s9, v[2:3]
	v_mov_b32_e32 v1, v4
	s_cbranch_scc1 .LBB62_225
.LBB62_226:
	s_cbranch_execnz .LBB62_229
.LBB62_227:
	s_waitcnt lgkmcnt(0)
	v_mul_hi_u32 v0, s25, v19
	s_andn2_b64 vcc, exec, s[42:43]
	v_add_u32_e32 v0, v19, v0
	v_lshrrev_b32_e32 v1, s26, v0
	v_mul_lo_u32 v0, v1, s24
	v_sub_u32_e32 v2, v19, v0
	v_mul_lo_u32 v0, v2, s20
	v_mul_lo_u32 v2, v2, s21
	s_cbranch_vccnz .LBB62_229
; %bb.228:
	v_mul_hi_u32 v3, s40, v1
	v_add_u32_e32 v3, v1, v3
	v_lshrrev_b32_e32 v3, s41, v3
	v_mul_lo_u32 v3, v3, s27
	v_sub_u32_e32 v3, v1, v3
	v_mad_u64_u32 v[0:1], s[0:1], v3, s22, v[0:1]
	v_mad_u64_u32 v[2:3], s[0:1], v3, s23, v[2:3]
.LBB62_229:
	s_waitcnt lgkmcnt(0)
	global_load_ushort v1, v2, s[18:19]
	v_mov_b32_e32 v2, 0x3c5fc5da
	v_mov_b32_e32 v3, 0x3d034c3c
	;; [unrolled: 1-line block ×5, first 2 shown]
	s_brev_b32 s0, -2
	s_movk_i32 s1, 0x7fff
	v_mov_b32_e32 v7, 0x7fc0
	v_add_u32_e32 v19, 0x80, v19
	s_waitcnt vmcnt(0)
	v_lshlrev_b32_e32 v1, 16, v1
	v_fma_f32 v8, |v1|, -0.5, 0.5
	v_mul_f32_e32 v9, v1, v1
	v_cmp_ge_f32_e64 vcc, |v1|, 0.5
	v_cndmask_b32_e32 v8, v9, v8, vcc
	v_fmac_f32_e32 v2, 0x3d1c21a7, v8
	v_fmac_f32_e32 v3, v8, v2
	v_sqrt_f32_e32 v9, v8
	v_fmac_f32_e32 v4, v8, v3
	v_fmac_f32_e32 v5, v8, v4
	;; [unrolled: 1-line block ×3, first 2 shown]
	v_mul_f32_e32 v2, v8, v6
	v_fmac_f32_e32 v9, v9, v2
	v_add_f32_e32 v3, v9, v9
	v_fma_f32 v2, |v1|, v2, |v1|
	v_sub_f32_e32 v3, 0x3fc90fdb, v3
	v_cmp_lt_f32_e64 vcc, |v1|, 0.5
	v_cndmask_b32_e32 v2, v3, v2, vcc
	v_bfi_b32 v1, s0, v2, v1
	v_bfe_u32 v2, v1, 16, 1
	v_cmp_o_f32_e32 vcc, v1, v1
	v_add3_u32 v1, v1, v2, s1
	v_cndmask_b32_sdwa v1, v7, v1, vcc dst_sel:DWORD dst_unused:UNUSED_PAD src0_sel:DWORD src1_sel:WORD_1
	global_store_short v0, v1, s[16:17]
	s_or_b64 exec, exec, s[48:49]
	v_cmp_gt_i32_e32 vcc, s55, v19
	s_and_saveexec_b64 s[48:49], vcc
	s_cbranch_execz .LBB62_220
.LBB62_230:
	s_andn2_b64 vcc, exec, s[36:37]
	s_cbranch_vccnz .LBB62_235
; %bb.231:
	s_andn2_b64 vcc, exec, s[46:47]
	s_cbranch_vccnz .LBB62_236
; %bb.232:
	s_add_i32 s56, s56, 1
	s_cmp_eq_u32 s54, 2
	s_cbranch_scc1 .LBB62_237
; %bb.233:
	s_and_b32 s50, s56, 28
	v_mov_b32_e32 v2, 0
	s_mov_b32 s51, 0
	s_mov_b64 s[46:47], s[34:35]
	v_mov_b32_e32 v0, 0
	v_mov_b32_e32 v1, v19
.LBB62_234:                             ; =>This Inner Loop Header: Depth=1
	s_load_dwordx8 s[8:15], s[46:47], 0x4
	s_load_dwordx4 s[28:31], s[46:47], 0x24
	s_load_dwordx8 s[0:7], s[44:45], 0x0
	s_add_u32 s46, s46, 48
	s_addc_u32 s47, s47, 0
	s_waitcnt lgkmcnt(0)
	v_mul_hi_u32 v3, s9, v1
	s_add_i32 s51, s51, 4
	s_add_u32 s44, s44, 32
	s_addc_u32 s45, s45, 0
	v_add_u32_e32 v3, v1, v3
	v_lshrrev_b32_e32 v3, s10, v3
	v_mul_lo_u32 v4, v3, s8
	v_mul_hi_u32 v5, s12, v3
	s_cmp_eq_u32 s50, s51
	v_sub_u32_e32 v1, v1, v4
	v_add_u32_e32 v4, v3, v5
	v_mul_lo_u32 v5, v1, s0
	v_mul_lo_u32 v6, v1, s1
	v_lshrrev_b32_e32 v1, s13, v4
	v_mul_lo_u32 v4, v1, s11
	v_mul_hi_u32 v7, s15, v1
	v_sub_u32_e32 v3, v3, v4
	v_add_u32_e32 v4, v1, v7
	v_lshrrev_b32_e32 v4, s28, v4
	v_mul_hi_u32 v8, s30, v4
	v_mul_lo_u32 v9, v4, s14
	v_mul_lo_u32 v7, v3, s2
	;; [unrolled: 1-line block ×3, first 2 shown]
	v_sub_u32_e32 v9, v1, v9
	v_add_u32_e32 v1, v4, v8
	v_lshrrev_b32_e32 v1, s31, v1
	v_mul_lo_u32 v8, v1, s29
	v_mul_lo_u32 v10, v9, s4
	;; [unrolled: 1-line block ×3, first 2 shown]
	v_add3_u32 v0, v5, v0, v7
	v_sub_u32_e32 v4, v4, v8
	v_mul_lo_u32 v8, v4, s6
	v_mul_lo_u32 v4, v4, s7
	v_add3_u32 v2, v6, v2, v3
	v_add3_u32 v0, v10, v0, v8
	;; [unrolled: 1-line block ×3, first 2 shown]
	s_cbranch_scc0 .LBB62_234
	s_branch .LBB62_238
.LBB62_235:
                                        ; implicit-def: $vgpr0
                                        ; implicit-def: $vgpr2
	s_branch .LBB62_242
.LBB62_236:
	v_mov_b32_e32 v0, 0
	v_mov_b32_e32 v2, 0
	s_branch .LBB62_241
.LBB62_237:
	s_mov_b32 s50, 0
	v_mov_b32_e32 v0, 0
	v_mov_b32_e32 v2, 0
	;; [unrolled: 1-line block ×3, first 2 shown]
.LBB62_238:
	s_and_b32 s4, s56, 3
	s_cmp_eq_u32 s4, 0
	s_cbranch_scc1 .LBB62_241
; %bb.239:
	s_lshl_b32 s0, s50, 3
	s_add_u32 s0, s34, s0
	s_addc_u32 s1, s35, 0
	s_add_u32 s0, s0, 0xc4
	s_addc_u32 s1, s1, 0
	s_mul_i32 s2, s50, 12
	s_add_u32 s2, s34, s2
	s_addc_u32 s3, s35, 0
.LBB62_240:                             ; =>This Inner Loop Header: Depth=1
	s_load_dwordx2 s[6:7], s[2:3], 0x4
	s_load_dword s5, s[2:3], 0xc
	s_load_dwordx2 s[8:9], s[0:1], 0x0
	s_add_u32 s2, s2, 12
	s_addc_u32 s3, s3, 0
	s_waitcnt lgkmcnt(0)
	v_mul_hi_u32 v3, s7, v1
	s_add_u32 s0, s0, 8
	s_addc_u32 s1, s1, 0
	s_add_i32 s4, s4, -1
	v_add_u32_e32 v3, v1, v3
	v_lshrrev_b32_e32 v4, s5, v3
	v_mul_lo_u32 v3, v4, s6
	s_cmp_lg_u32 s4, 0
	v_sub_u32_e32 v3, v1, v3
	v_mad_u64_u32 v[0:1], s[6:7], v3, s8, v[0:1]
	v_mad_u64_u32 v[2:3], s[6:7], v3, s9, v[2:3]
	v_mov_b32_e32 v1, v4
	s_cbranch_scc1 .LBB62_240
.LBB62_241:
	s_cbranch_execnz .LBB62_244
.LBB62_242:
	s_waitcnt lgkmcnt(0)
	v_mul_hi_u32 v0, s25, v19
	s_andn2_b64 vcc, exec, s[42:43]
	v_add_u32_e32 v0, v19, v0
	v_lshrrev_b32_e32 v1, s26, v0
	v_mul_lo_u32 v0, v1, s24
	v_sub_u32_e32 v2, v19, v0
	v_mul_lo_u32 v0, v2, s20
	v_mul_lo_u32 v2, v2, s21
	s_cbranch_vccnz .LBB62_244
; %bb.243:
	v_mul_hi_u32 v3, s40, v1
	v_add_u32_e32 v3, v1, v3
	v_lshrrev_b32_e32 v3, s41, v3
	v_mul_lo_u32 v3, v3, s27
	v_sub_u32_e32 v3, v1, v3
	v_mad_u64_u32 v[0:1], s[0:1], v3, s22, v[0:1]
	v_mad_u64_u32 v[2:3], s[0:1], v3, s23, v[2:3]
.LBB62_244:
	s_waitcnt lgkmcnt(0)
	global_load_ushort v1, v2, s[18:19]
	v_mov_b32_e32 v2, 0x3c5fc5da
	v_mov_b32_e32 v3, 0x3d034c3c
	;; [unrolled: 1-line block ×5, first 2 shown]
	s_brev_b32 s0, -2
	s_movk_i32 s1, 0x7fff
	v_mov_b32_e32 v7, 0x7fc0
	s_waitcnt vmcnt(0)
	v_lshlrev_b32_e32 v1, 16, v1
	v_fma_f32 v8, |v1|, -0.5, 0.5
	v_mul_f32_e32 v9, v1, v1
	v_cmp_ge_f32_e64 vcc, |v1|, 0.5
	v_cndmask_b32_e32 v8, v9, v8, vcc
	v_fmac_f32_e32 v2, 0x3d1c21a7, v8
	v_fmac_f32_e32 v3, v8, v2
	v_sqrt_f32_e32 v9, v8
	v_fmac_f32_e32 v4, v8, v3
	v_fmac_f32_e32 v5, v8, v4
	;; [unrolled: 1-line block ×3, first 2 shown]
	v_mul_f32_e32 v2, v8, v6
	v_fmac_f32_e32 v9, v9, v2
	v_add_f32_e32 v3, v9, v9
	v_fma_f32 v2, |v1|, v2, |v1|
	v_sub_f32_e32 v3, 0x3fc90fdb, v3
	v_cmp_lt_f32_e64 vcc, |v1|, 0.5
	v_cndmask_b32_e32 v2, v3, v2, vcc
	v_bfi_b32 v1, s0, v2, v1
	v_bfe_u32 v2, v1, 16, 1
	v_cmp_o_f32_e32 vcc, v1, v1
	v_add3_u32 v1, v1, v2, s1
	v_cndmask_b32_sdwa v1, v7, v1, vcc dst_sel:DWORD dst_unused:UNUSED_PAD src0_sel:DWORD src1_sel:WORD_1
	global_store_short v0, v1, s[16:17]
	s_or_b64 exec, exec, s[48:49]
                                        ; implicit-def: $vgpr25
                                        ; implicit-def: $vgpr19
	s_andn2_saveexec_b64 s[0:1], s[38:39]
	s_cbranch_execz .LBB62_221
	s_branch .LBB62_8
	.section	.rodata,"a",@progbits
	.p2align	6, 0x0
	.amdhsa_kernel _ZN2at6native32elementwise_kernel_manual_unrollILi128ELi8EZNS0_22gpu_kernel_impl_nocastIZZZNS0_16asin_kernel_cudaERNS_18TensorIteratorBaseEENKUlvE0_clEvENKUlvE2_clEvEUlN3c108BFloat16EE_EEvS4_RKT_EUlibE_EEviT1_
		.amdhsa_group_segment_fixed_size 0
		.amdhsa_private_segment_fixed_size 0
		.amdhsa_kernarg_size 360
		.amdhsa_user_sgpr_count 6
		.amdhsa_user_sgpr_private_segment_buffer 1
		.amdhsa_user_sgpr_dispatch_ptr 0
		.amdhsa_user_sgpr_queue_ptr 0
		.amdhsa_user_sgpr_kernarg_segment_ptr 1
		.amdhsa_user_sgpr_dispatch_id 0
		.amdhsa_user_sgpr_flat_scratch_init 0
		.amdhsa_user_sgpr_private_segment_size 0
		.amdhsa_uses_dynamic_stack 0
		.amdhsa_system_sgpr_private_segment_wavefront_offset 0
		.amdhsa_system_sgpr_workgroup_id_x 1
		.amdhsa_system_sgpr_workgroup_id_y 0
		.amdhsa_system_sgpr_workgroup_id_z 0
		.amdhsa_system_sgpr_workgroup_info 0
		.amdhsa_system_vgpr_workitem_id 0
		.amdhsa_next_free_vgpr 26
		.amdhsa_next_free_sgpr 60
		.amdhsa_reserve_vcc 1
		.amdhsa_reserve_flat_scratch 0
		.amdhsa_float_round_mode_32 0
		.amdhsa_float_round_mode_16_64 0
		.amdhsa_float_denorm_mode_32 3
		.amdhsa_float_denorm_mode_16_64 3
		.amdhsa_dx10_clamp 1
		.amdhsa_ieee_mode 1
		.amdhsa_fp16_overflow 0
		.amdhsa_exception_fp_ieee_invalid_op 0
		.amdhsa_exception_fp_denorm_src 0
		.amdhsa_exception_fp_ieee_div_zero 0
		.amdhsa_exception_fp_ieee_overflow 0
		.amdhsa_exception_fp_ieee_underflow 0
		.amdhsa_exception_fp_ieee_inexact 0
		.amdhsa_exception_int_div_zero 0
	.end_amdhsa_kernel
	.section	.text._ZN2at6native32elementwise_kernel_manual_unrollILi128ELi8EZNS0_22gpu_kernel_impl_nocastIZZZNS0_16asin_kernel_cudaERNS_18TensorIteratorBaseEENKUlvE0_clEvENKUlvE2_clEvEUlN3c108BFloat16EE_EEvS4_RKT_EUlibE_EEviT1_,"axG",@progbits,_ZN2at6native32elementwise_kernel_manual_unrollILi128ELi8EZNS0_22gpu_kernel_impl_nocastIZZZNS0_16asin_kernel_cudaERNS_18TensorIteratorBaseEENKUlvE0_clEvENKUlvE2_clEvEUlN3c108BFloat16EE_EEvS4_RKT_EUlibE_EEviT1_,comdat
.Lfunc_end62:
	.size	_ZN2at6native32elementwise_kernel_manual_unrollILi128ELi8EZNS0_22gpu_kernel_impl_nocastIZZZNS0_16asin_kernel_cudaERNS_18TensorIteratorBaseEENKUlvE0_clEvENKUlvE2_clEvEUlN3c108BFloat16EE_EEvS4_RKT_EUlibE_EEviT1_, .Lfunc_end62-_ZN2at6native32elementwise_kernel_manual_unrollILi128ELi8EZNS0_22gpu_kernel_impl_nocastIZZZNS0_16asin_kernel_cudaERNS_18TensorIteratorBaseEENKUlvE0_clEvENKUlvE2_clEvEUlN3c108BFloat16EE_EEvS4_RKT_EUlibE_EEviT1_
                                        ; -- End function
	.set _ZN2at6native32elementwise_kernel_manual_unrollILi128ELi8EZNS0_22gpu_kernel_impl_nocastIZZZNS0_16asin_kernel_cudaERNS_18TensorIteratorBaseEENKUlvE0_clEvENKUlvE2_clEvEUlN3c108BFloat16EE_EEvS4_RKT_EUlibE_EEviT1_.num_vgpr, 26
	.set _ZN2at6native32elementwise_kernel_manual_unrollILi128ELi8EZNS0_22gpu_kernel_impl_nocastIZZZNS0_16asin_kernel_cudaERNS_18TensorIteratorBaseEENKUlvE0_clEvENKUlvE2_clEvEUlN3c108BFloat16EE_EEvS4_RKT_EUlibE_EEviT1_.num_agpr, 0
	.set _ZN2at6native32elementwise_kernel_manual_unrollILi128ELi8EZNS0_22gpu_kernel_impl_nocastIZZZNS0_16asin_kernel_cudaERNS_18TensorIteratorBaseEENKUlvE0_clEvENKUlvE2_clEvEUlN3c108BFloat16EE_EEvS4_RKT_EUlibE_EEviT1_.numbered_sgpr, 60
	.set _ZN2at6native32elementwise_kernel_manual_unrollILi128ELi8EZNS0_22gpu_kernel_impl_nocastIZZZNS0_16asin_kernel_cudaERNS_18TensorIteratorBaseEENKUlvE0_clEvENKUlvE2_clEvEUlN3c108BFloat16EE_EEvS4_RKT_EUlibE_EEviT1_.num_named_barrier, 0
	.set _ZN2at6native32elementwise_kernel_manual_unrollILi128ELi8EZNS0_22gpu_kernel_impl_nocastIZZZNS0_16asin_kernel_cudaERNS_18TensorIteratorBaseEENKUlvE0_clEvENKUlvE2_clEvEUlN3c108BFloat16EE_EEvS4_RKT_EUlibE_EEviT1_.private_seg_size, 0
	.set _ZN2at6native32elementwise_kernel_manual_unrollILi128ELi8EZNS0_22gpu_kernel_impl_nocastIZZZNS0_16asin_kernel_cudaERNS_18TensorIteratorBaseEENKUlvE0_clEvENKUlvE2_clEvEUlN3c108BFloat16EE_EEvS4_RKT_EUlibE_EEviT1_.uses_vcc, 1
	.set _ZN2at6native32elementwise_kernel_manual_unrollILi128ELi8EZNS0_22gpu_kernel_impl_nocastIZZZNS0_16asin_kernel_cudaERNS_18TensorIteratorBaseEENKUlvE0_clEvENKUlvE2_clEvEUlN3c108BFloat16EE_EEvS4_RKT_EUlibE_EEviT1_.uses_flat_scratch, 0
	.set _ZN2at6native32elementwise_kernel_manual_unrollILi128ELi8EZNS0_22gpu_kernel_impl_nocastIZZZNS0_16asin_kernel_cudaERNS_18TensorIteratorBaseEENKUlvE0_clEvENKUlvE2_clEvEUlN3c108BFloat16EE_EEvS4_RKT_EUlibE_EEviT1_.has_dyn_sized_stack, 0
	.set _ZN2at6native32elementwise_kernel_manual_unrollILi128ELi8EZNS0_22gpu_kernel_impl_nocastIZZZNS0_16asin_kernel_cudaERNS_18TensorIteratorBaseEENKUlvE0_clEvENKUlvE2_clEvEUlN3c108BFloat16EE_EEvS4_RKT_EUlibE_EEviT1_.has_recursion, 0
	.set _ZN2at6native32elementwise_kernel_manual_unrollILi128ELi8EZNS0_22gpu_kernel_impl_nocastIZZZNS0_16asin_kernel_cudaERNS_18TensorIteratorBaseEENKUlvE0_clEvENKUlvE2_clEvEUlN3c108BFloat16EE_EEvS4_RKT_EUlibE_EEviT1_.has_indirect_call, 0
	.section	.AMDGPU.csdata,"",@progbits
; Kernel info:
; codeLenInByte = 14076
; TotalNumSgprs: 64
; NumVgprs: 26
; ScratchSize: 0
; MemoryBound: 0
; FloatMode: 240
; IeeeMode: 1
; LDSByteSize: 0 bytes/workgroup (compile time only)
; SGPRBlocks: 7
; VGPRBlocks: 6
; NumSGPRsForWavesPerEU: 64
; NumVGPRsForWavesPerEU: 26
; Occupancy: 9
; WaveLimiterHint : 1
; COMPUTE_PGM_RSRC2:SCRATCH_EN: 0
; COMPUTE_PGM_RSRC2:USER_SGPR: 6
; COMPUTE_PGM_RSRC2:TRAP_HANDLER: 0
; COMPUTE_PGM_RSRC2:TGID_X_EN: 1
; COMPUTE_PGM_RSRC2:TGID_Y_EN: 0
; COMPUTE_PGM_RSRC2:TGID_Z_EN: 0
; COMPUTE_PGM_RSRC2:TIDIG_COMP_CNT: 0
	.section	.text._ZN2at6native32elementwise_kernel_manual_unrollILi128ELi4EZNS0_15gpu_kernel_implIZZZNS0_16asin_kernel_cudaERNS_18TensorIteratorBaseEENKUlvE0_clEvENKUlvE2_clEvEUlN3c108BFloat16EE_EEvS4_RKT_EUlibE_EEviT1_,"axG",@progbits,_ZN2at6native32elementwise_kernel_manual_unrollILi128ELi4EZNS0_15gpu_kernel_implIZZZNS0_16asin_kernel_cudaERNS_18TensorIteratorBaseEENKUlvE0_clEvENKUlvE2_clEvEUlN3c108BFloat16EE_EEvS4_RKT_EUlibE_EEviT1_,comdat
	.globl	_ZN2at6native32elementwise_kernel_manual_unrollILi128ELi4EZNS0_15gpu_kernel_implIZZZNS0_16asin_kernel_cudaERNS_18TensorIteratorBaseEENKUlvE0_clEvENKUlvE2_clEvEUlN3c108BFloat16EE_EEvS4_RKT_EUlibE_EEviT1_ ; -- Begin function _ZN2at6native32elementwise_kernel_manual_unrollILi128ELi4EZNS0_15gpu_kernel_implIZZZNS0_16asin_kernel_cudaERNS_18TensorIteratorBaseEENKUlvE0_clEvENKUlvE2_clEvEUlN3c108BFloat16EE_EEvS4_RKT_EUlibE_EEviT1_
	.p2align	8
	.type	_ZN2at6native32elementwise_kernel_manual_unrollILi128ELi4EZNS0_15gpu_kernel_implIZZZNS0_16asin_kernel_cudaERNS_18TensorIteratorBaseEENKUlvE0_clEvENKUlvE2_clEvEUlN3c108BFloat16EE_EEvS4_RKT_EUlibE_EEviT1_,@function
_ZN2at6native32elementwise_kernel_manual_unrollILi128ELi4EZNS0_15gpu_kernel_implIZZZNS0_16asin_kernel_cudaERNS_18TensorIteratorBaseEENKUlvE0_clEvENKUlvE2_clEvEUlN3c108BFloat16EE_EEvS4_RKT_EUlibE_EEviT1_: ; @_ZN2at6native32elementwise_kernel_manual_unrollILi128ELi4EZNS0_15gpu_kernel_implIZZZNS0_16asin_kernel_cudaERNS_18TensorIteratorBaseEENKUlvE0_clEvENKUlvE2_clEvEUlN3c108BFloat16EE_EEvS4_RKT_EUlibE_EEviT1_
; %bb.0:
	v_mov_b32_e32 v1, 0
	global_load_ushort v1, v1, s[4:5] offset:33
	s_load_dwordx4 s[8:11], s[4:5], 0x8
	s_load_dwordx2 s[2:3], s[4:5], 0x18
	s_load_dword s38, s[4:5], 0x0
	v_lshl_or_b32 v2, s6, 9, v0
	v_or_b32_e32 v0, 0x180, v2
	s_mov_b64 s[12:13], 0
	s_mov_b64 s[6:7], 0
	s_waitcnt lgkmcnt(0)
	v_cmp_le_i32_e32 vcc, s38, v0
	s_waitcnt vmcnt(0)
	v_readfirstlane_b32 s33, v1
	s_and_b32 s0, 0xffff, s33
	s_lshr_b32 s42, s0, 8
	s_and_saveexec_b64 s[0:1], vcc
	s_xor_b64 s[4:5], exec, s[0:1]
	s_cbranch_execz .LBB63_1029
; %bb.1:
	v_cmp_gt_i32_e32 vcc, s38, v2
	s_mov_b64 s[18:19], -1
	s_mov_b64 s[20:21], 0
	s_mov_b64 s[14:15], 0
	s_and_saveexec_b64 s[16:17], vcc
	s_cbranch_execz .LBB63_252
; %bb.2:
	v_mul_lo_u32 v0, v2, s3
	v_mov_b32_e32 v1, s11
	s_and_b32 s22, 0xffff, s42
	s_cmp_lt_i32 s22, 11
	v_ashrrev_i32_e32 v3, 31, v0
	v_add_co_u32_e32 v0, vcc, s10, v0
	v_addc_co_u32_e32 v1, vcc, v1, v3, vcc
	s_cbranch_scc1 .LBB63_9
; %bb.3:
	s_cmp_gt_i32 s22, 25
	s_cbranch_scc0 .LBB63_18
; %bb.4:
	s_cmp_gt_i32 s22, 28
	s_cbranch_scc0 .LBB63_22
	;; [unrolled: 3-line block ×4, first 2 shown]
; %bb.7:
	s_cmp_eq_u32 s22, 46
	s_cbranch_scc0 .LBB63_28
; %bb.8:
	global_load_dword v3, v[0:1], off
	s_mov_b64 s[0:1], -1
	s_branch .LBB63_30
.LBB63_9:
                                        ; implicit-def: $vgpr3
	s_mov_b64 s[0:1], 0
	s_cbranch_execnz .LBB63_203
.LBB63_10:
	s_andn2_b64 vcc, exec, s[0:1]
	s_cbranch_vccnz .LBB63_250
.LBB63_11:
	s_waitcnt vmcnt(0)
	v_lshlrev_b32_e32 v0, 16, v3
	v_fma_f32 v1, |v0|, -0.5, 0.5
	v_mul_f32_e32 v3, v0, v0
	v_cmp_ge_f32_e64 vcc, |v0|, 0.5
	v_cndmask_b32_e32 v1, v3, v1, vcc
	v_mov_b32_e32 v3, 0x3c5fc5da
	v_fmac_f32_e32 v3, 0x3d1c21a7, v1
	v_mov_b32_e32 v4, 0x3d034c3c
	v_fmac_f32_e32 v4, v1, v3
	;; [unrolled: 2-line block ×4, first 2 shown]
	v_sqrt_f32_e32 v3, v1
	v_mov_b32_e32 v5, 0x3e2aaaac
	v_fmac_f32_e32 v5, v1, v4
	v_mul_f32_e32 v1, v1, v5
	v_fmac_f32_e32 v3, v3, v1
	v_add_f32_e32 v3, v3, v3
	v_sub_f32_e32 v3, 0x3fc90fdb, v3
	v_fma_f32 v1, |v0|, v1, |v0|
	v_cmp_lt_f32_e64 vcc, |v0|, 0.5
	v_cndmask_b32_e32 v1, v3, v1, vcc
	s_brev_b32 s0, -2
	v_bfi_b32 v0, s0, v1, v0
	v_bfe_u32 v1, v0, 16, 1
	s_movk_i32 s0, 0x7fff
	v_add3_u32 v1, v0, v1, s0
	v_cmp_o_f32_e32 vcc, v0, v0
	v_mul_lo_u32 v0, v2, s2
	v_mov_b32_e32 v3, 0x7fc0
	v_cndmask_b32_sdwa v3, v3, v1, vcc dst_sel:DWORD dst_unused:UNUSED_PAD src0_sel:DWORD src1_sel:WORD_1
	v_mov_b32_e32 v4, s9
	v_ashrrev_i32_e32 v1, 31, v0
	s_and_b32 s24, s33, 0xff
	v_add_co_u32_e32 v0, vcc, s8, v0
	s_cmp_lt_i32 s24, 11
	v_addc_co_u32_e32 v1, vcc, v4, v1, vcc
	s_cbranch_scc1 .LBB63_19
; %bb.12:
	s_and_b32 s25, 0xffff, s24
	s_cmp_gt_i32 s25, 25
	s_cbranch_scc0 .LBB63_23
; %bb.13:
	s_cmp_gt_i32 s25, 28
	s_cbranch_scc0 .LBB63_25
; %bb.14:
	;; [unrolled: 3-line block ×4, first 2 shown]
	s_mov_b64 s[18:19], 0
	s_mov_b64 s[0:1], -1
	s_cmp_eq_u32 s25, 46
	s_mov_b64 s[6:7], 0
	s_cbranch_scc0 .LBB63_34
; %bb.17:
	v_and_b32_e32 v4, 0xffff, v3
	global_store_dword v[0:1], v4, off
	s_mov_b64 s[6:7], -1
	s_mov_b64 s[0:1], 0
	s_branch .LBB63_34
.LBB63_18:
	s_mov_b64 s[0:1], 0
                                        ; implicit-def: $vgpr3
	s_cbranch_execnz .LBB63_168
	s_branch .LBB63_202
.LBB63_19:
	s_mov_b64 s[0:1], 0
	s_mov_b64 s[6:7], 0
	s_cbranch_execnz .LBB63_103
.LBB63_20:
	s_andn2_b64 vcc, exec, s[6:7]
	s_cbranch_vccnz .LBB63_141
.LBB63_21:
	v_add_u32_e32 v2, 0x80, v2
	s_mov_b64 s[18:19], -1
	s_branch .LBB63_251
.LBB63_22:
	s_mov_b64 s[6:7], -1
	s_mov_b64 s[0:1], 0
                                        ; implicit-def: $vgpr3
	s_branch .LBB63_149
.LBB63_23:
	s_mov_b64 s[18:19], -1
	s_mov_b64 s[0:1], 0
	s_mov_b64 s[6:7], 0
	s_branch .LBB63_61
.LBB63_24:
	s_mov_b64 s[6:7], -1
	s_mov_b64 s[0:1], 0
                                        ; implicit-def: $vgpr3
	s_branch .LBB63_144
.LBB63_25:
	s_mov_b64 s[18:19], -1
	s_mov_b64 s[0:1], 0
	s_mov_b64 s[6:7], 0
	s_branch .LBB63_44
.LBB63_26:
	s_mov_b64 s[6:7], -1
	s_branch .LBB63_29
.LBB63_27:
	s_mov_b64 s[18:19], -1
	s_mov_b64 s[0:1], 0
	s_mov_b64 s[6:7], 0
	s_branch .LBB63_40
.LBB63_28:
	s_mov_b64 s[14:15], -1
.LBB63_29:
	s_mov_b64 s[0:1], 0
                                        ; implicit-def: $vgpr3
.LBB63_30:
	s_and_b64 vcc, exec, s[6:7]
	s_cbranch_vccz .LBB63_143
; %bb.31:
	s_cmp_eq_u32 s22, 44
	s_cbranch_scc0 .LBB63_142
; %bb.32:
	global_load_ubyte v3, v[0:1], off
	s_movk_i32 s6, 0xff
	v_mov_b32_e32 v4, 0x7f800001
	v_mov_b32_e32 v5, 0x400000
	;; [unrolled: 1-line block ×3, first 2 shown]
	s_mov_b64 s[0:1], -1
	s_mov_b64 s[14:15], 0
	s_waitcnt vmcnt(0)
	v_lshlrev_b32_e32 v7, 23, v3
	v_cmp_ne_u32_e32 vcc, s6, v3
	v_cndmask_b32_e32 v4, v4, v7, vcc
	v_cmp_ne_u32_e32 vcc, 0, v3
	v_cndmask_b32_e32 v3, v5, v4, vcc
	v_add_u32_e32 v4, 0x7fff, v3
	v_cmp_o_f32_e32 vcc, v3, v3
	v_cndmask_b32_sdwa v3, v6, v4, vcc dst_sel:DWORD dst_unused:UNUSED_PAD src0_sel:DWORD src1_sel:WORD_1
	s_branch .LBB63_143
.LBB63_33:
	s_mov_b64 s[18:19], -1
	s_mov_b64 s[0:1], 0
	s_mov_b64 s[6:7], 0
.LBB63_34:
	s_and_b64 vcc, exec, s[18:19]
	s_cbranch_vccz .LBB63_39
; %bb.35:
	s_cmp_eq_u32 s25, 44
	s_mov_b64 s[0:1], -1
	s_cbranch_scc0 .LBB63_39
; %bb.36:
	v_and_b32_e32 v5, 0xffff, v3
	v_bfe_u32 v4, v5, 7, 8
	s_movk_i32 s0, 0xff
	v_cmp_ne_u32_e32 vcc, s0, v4
	v_mov_b32_e32 v6, 0xff
	s_and_saveexec_b64 s[6:7], vcc
	s_cbranch_execz .LBB63_38
; %bb.37:
	v_lshlrev_b32_e32 v7, 16, v5
	s_mov_b32 s0, 0x3f0000
	v_lshrrev_b32_e32 v6, 7, v5
	v_and_b32_e32 v5, 64, v5
	v_and_or_b32 v4, v7, s0, v4
	v_cmp_ne_u32_e32 vcc, 0, v5
	v_cmp_ne_u32_e64 s[0:1], 0, v4
	s_and_b64 s[0:1], vcc, s[0:1]
	v_cndmask_b32_e64 v4, 0, 1, s[0:1]
	v_add_u32_e32 v6, v6, v4
.LBB63_38:
	s_or_b64 exec, exec, s[6:7]
	s_mov_b64 s[6:7], -1
	s_mov_b64 s[0:1], 0
	global_store_byte v[0:1], v6, off
.LBB63_39:
	s_mov_b64 s[18:19], 0
.LBB63_40:
	s_and_b64 vcc, exec, s[18:19]
	s_cbranch_vccz .LBB63_43
; %bb.41:
	s_cmp_eq_u32 s25, 29
	s_mov_b64 s[0:1], -1
	s_cbranch_scc0 .LBB63_43
; %bb.42:
	v_lshlrev_b32_e32 v4, 16, v3
	v_trunc_f32_e32 v4, v4
	v_mul_f32_e32 v5, 0x2f800000, v4
	v_floor_f32_e32 v6, v5
	v_fmac_f32_e32 v4, 0xcf800000, v6
	v_cvt_u32_f32_e32 v5, v6
	v_cvt_u32_f32_e32 v4, v4
	s_mov_b64 s[6:7], -1
	s_mov_b64 s[0:1], 0
	s_mov_b64 s[18:19], 0
	global_store_dwordx2 v[0:1], v[4:5], off
	s_branch .LBB63_44
.LBB63_43:
	s_mov_b64 s[18:19], 0
.LBB63_44:
	s_and_b64 vcc, exec, s[18:19]
	s_cbranch_vccz .LBB63_60
; %bb.45:
	s_cmp_lt_i32 s25, 27
	s_mov_b64 s[6:7], -1
	s_cbranch_scc1 .LBB63_51
; %bb.46:
	s_cmp_gt_i32 s25, 27
	s_cbranch_scc0 .LBB63_48
; %bb.47:
	v_lshlrev_b32_e32 v4, 16, v3
	v_cvt_u32_f32_e32 v4, v4
	s_mov_b64 s[6:7], 0
	global_store_dword v[0:1], v4, off
.LBB63_48:
	s_andn2_b64 vcc, exec, s[6:7]
	s_cbranch_vccnz .LBB63_50
; %bb.49:
	v_lshlrev_b32_e32 v4, 16, v3
	v_cvt_u32_f32_e32 v4, v4
	global_store_short v[0:1], v4, off
.LBB63_50:
	s_mov_b64 s[6:7], 0
.LBB63_51:
	s_andn2_b64 vcc, exec, s[6:7]
	s_cbranch_vccnz .LBB63_59
; %bb.52:
	v_lshlrev_b32_e32 v6, 16, v3
	v_and_b32_e32 v5, 0x7fffffff, v6
	s_mov_b32 s6, 0x43800000
	v_cmp_gt_u32_e32 vcc, s6, v5
	v_mov_b32_e32 v7, 0x80
	s_and_saveexec_b64 s[6:7], vcc
	s_cbranch_execz .LBB63_58
; %bb.53:
	s_mov_b32 s18, 0x3bffffff
	v_and_b32_e32 v4, 0xffff, v3
	v_cmp_lt_u32_e32 vcc, s18, v5
	s_mov_b64 s[18:19], 0
                                        ; implicit-def: $vgpr5
	s_and_saveexec_b64 s[22:23], vcc
	s_xor_b64 s[22:23], exec, s[22:23]
	s_cbranch_execz .LBB63_279
; %bb.54:
	v_bfe_u32 v5, v4, 4, 1
	s_mov_b32 s26, 0x487ffff
	v_add3_u32 v5, v6, v5, s26
	s_mov_b64 s[18:19], exec
	v_lshrrev_b32_e32 v5, 20, v5
                                        ; implicit-def: $vgpr6
	s_andn2_saveexec_b64 s[22:23], s[22:23]
	s_cbranch_execnz .LBB63_280
.LBB63_55:
	s_or_b64 exec, exec, s[22:23]
	v_mov_b32_e32 v7, 0
	s_and_saveexec_b64 s[22:23], s[18:19]
.LBB63_56:
	v_lshrrev_b32_e32 v4, 8, v4
	s_movk_i32 s18, 0x80
	v_and_or_b32 v7, v4, s18, v5
.LBB63_57:
	s_or_b64 exec, exec, s[22:23]
.LBB63_58:
	s_or_b64 exec, exec, s[6:7]
	global_store_byte v[0:1], v7, off
.LBB63_59:
	s_mov_b64 s[6:7], -1
.LBB63_60:
	s_mov_b64 s[18:19], 0
.LBB63_61:
	s_and_b64 vcc, exec, s[18:19]
	s_cbranch_vccz .LBB63_102
; %bb.62:
	s_cmp_gt_i32 s25, 22
	s_mov_b64 s[18:19], -1
	s_cbranch_scc0 .LBB63_94
; %bb.63:
	s_cmp_lt_i32 s25, 24
	s_mov_b64 s[6:7], -1
	s_cbranch_scc1 .LBB63_83
; %bb.64:
	s_cmp_gt_i32 s25, 24
	s_cbranch_scc0 .LBB63_72
; %bb.65:
	v_lshlrev_b32_e32 v6, 16, v3
	v_and_b32_e32 v5, 0x7fffffff, v6
	s_mov_b32 s6, 0x47800000
	v_cmp_gt_u32_e32 vcc, s6, v5
	v_mov_b32_e32 v7, 0x80
	s_and_saveexec_b64 s[6:7], vcc
	s_cbranch_execz .LBB63_71
; %bb.66:
	s_mov_b32 s18, 0x37ffffff
	v_and_b32_e32 v4, 0xffff, v3
	v_cmp_lt_u32_e32 vcc, s18, v5
	s_mov_b64 s[18:19], 0
                                        ; implicit-def: $vgpr5
	s_and_saveexec_b64 s[22:23], vcc
	s_xor_b64 s[22:23], exec, s[22:23]
	s_cbranch_execz .LBB63_283
; %bb.67:
	v_bfe_u32 v5, v4, 5, 1
	s_mov_b32 s26, 0x88fffff
	v_add3_u32 v5, v6, v5, s26
	s_mov_b64 s[18:19], exec
	v_lshrrev_b32_e32 v5, 21, v5
                                        ; implicit-def: $vgpr6
	s_andn2_saveexec_b64 s[22:23], s[22:23]
	s_cbranch_execnz .LBB63_284
.LBB63_68:
	s_or_b64 exec, exec, s[22:23]
	v_mov_b32_e32 v7, 0
	s_and_saveexec_b64 s[22:23], s[18:19]
.LBB63_69:
	v_lshrrev_b32_e32 v4, 8, v4
	s_movk_i32 s18, 0x80
	v_and_or_b32 v7, v4, s18, v5
.LBB63_70:
	s_or_b64 exec, exec, s[22:23]
.LBB63_71:
	s_or_b64 exec, exec, s[6:7]
	s_mov_b64 s[6:7], 0
	global_store_byte v[0:1], v7, off
.LBB63_72:
	s_and_b64 vcc, exec, s[6:7]
	s_cbranch_vccz .LBB63_82
; %bb.73:
	v_lshlrev_b32_e32 v6, 16, v3
	v_and_b32_e32 v7, 0x7fffffff, v6
	s_mov_b32 s6, 0x43f00000
	v_and_b32_e32 v4, 0xffff, v3
	v_cmp_gt_u32_e32 vcc, s6, v7
                                        ; implicit-def: $vgpr5
	s_and_saveexec_b64 s[6:7], vcc
	s_xor_b64 s[6:7], exec, s[6:7]
	s_cbranch_execz .LBB63_79
; %bb.74:
	s_mov_b32 s18, 0x3c7fffff
	v_cmp_lt_u32_e32 vcc, s18, v7
                                        ; implicit-def: $vgpr5
	s_and_saveexec_b64 s[18:19], vcc
	s_xor_b64 s[18:19], exec, s[18:19]
; %bb.75:
	v_bfe_u32 v5, v4, 4, 1
	s_mov_b32 s22, 0x407ffff
	v_add3_u32 v5, v6, v5, s22
	v_lshrrev_b32_e32 v6, 20, v5
	v_and_b32_e32 v5, 0xff00000, v5
	s_mov_b32 s22, 0x7f00000
	v_mov_b32_e32 v7, 0x7e
	v_cmp_ne_u32_e32 vcc, s22, v5
	v_cndmask_b32_e32 v5, v7, v6, vcc
                                        ; implicit-def: $vgpr6
; %bb.76:
	s_andn2_saveexec_b64 s[18:19], s[18:19]
; %bb.77:
	s_mov_b32 s22, 0x46800000
	v_add_f32_e64 v5, |v6|, s22
; %bb.78:
	s_or_b64 exec, exec, s[18:19]
                                        ; implicit-def: $vgpr7
.LBB63_79:
	s_andn2_saveexec_b64 s[6:7], s[6:7]
; %bb.80:
	s_mov_b32 s18, 0x7f800000
	v_mov_b32_e32 v5, 0x7e
	v_mov_b32_e32 v6, 0x7f
	v_cmp_lt_u32_e32 vcc, s18, v7
	v_cndmask_b32_e32 v5, v5, v6, vcc
; %bb.81:
	s_or_b64 exec, exec, s[6:7]
	v_lshrrev_b32_e32 v4, 8, v4
	s_movk_i32 s6, 0x80
	v_and_or_b32 v4, v4, s6, v5
	global_store_byte v[0:1], v4, off
.LBB63_82:
	s_mov_b64 s[6:7], 0
.LBB63_83:
	s_andn2_b64 vcc, exec, s[6:7]
	s_cbranch_vccnz .LBB63_93
; %bb.84:
	v_lshlrev_b32_e32 v6, 16, v3
	v_and_b32_e32 v7, 0x7fffffff, v6
	s_mov_b32 s6, 0x47800000
	v_and_b32_e32 v4, 0xffff, v3
	v_cmp_gt_u32_e32 vcc, s6, v7
                                        ; implicit-def: $vgpr5
	s_and_saveexec_b64 s[6:7], vcc
	s_xor_b64 s[6:7], exec, s[6:7]
	s_cbranch_execz .LBB63_90
; %bb.85:
	s_mov_b32 s18, 0x387fffff
	v_cmp_lt_u32_e32 vcc, s18, v7
                                        ; implicit-def: $vgpr5
	s_and_saveexec_b64 s[18:19], vcc
	s_xor_b64 s[18:19], exec, s[18:19]
; %bb.86:
	v_bfe_u32 v5, v4, 5, 1
	s_mov_b32 s22, 0x80fffff
	v_add3_u32 v5, v6, v5, s22
	v_lshrrev_b32_e32 v5, 21, v5
                                        ; implicit-def: $vgpr6
; %bb.87:
	s_andn2_saveexec_b64 s[18:19], s[18:19]
; %bb.88:
	s_mov_b32 s22, 0x43000000
	v_add_f32_e64 v5, |v6|, s22
; %bb.89:
	s_or_b64 exec, exec, s[18:19]
                                        ; implicit-def: $vgpr7
.LBB63_90:
	s_andn2_saveexec_b64 s[6:7], s[6:7]
; %bb.91:
	s_mov_b32 s18, 0x7f800000
	v_mov_b32_e32 v5, 0x7c
	v_mov_b32_e32 v6, 0x7f
	v_cmp_lt_u32_e32 vcc, s18, v7
	v_cndmask_b32_e32 v5, v5, v6, vcc
; %bb.92:
	s_or_b64 exec, exec, s[6:7]
	v_lshrrev_b32_e32 v4, 8, v4
	s_movk_i32 s6, 0x80
	v_and_or_b32 v4, v4, s6, v5
	global_store_byte v[0:1], v4, off
.LBB63_93:
	s_mov_b64 s[18:19], 0
	s_mov_b64 s[6:7], -1
.LBB63_94:
	s_andn2_b64 vcc, exec, s[18:19]
	s_cbranch_vccnz .LBB63_102
; %bb.95:
	s_cmp_gt_i32 s25, 14
	s_mov_b64 s[18:19], -1
	s_cbranch_scc0 .LBB63_99
; %bb.96:
	s_cmp_eq_u32 s25, 15
	s_mov_b64 s[0:1], -1
	s_cbranch_scc0 .LBB63_98
; %bb.97:
	global_store_short v[0:1], v3, off
	s_mov_b64 s[6:7], -1
	s_mov_b64 s[0:1], 0
.LBB63_98:
	s_mov_b64 s[18:19], 0
.LBB63_99:
	s_and_b64 vcc, exec, s[18:19]
	s_cbranch_vccz .LBB63_102
; %bb.100:
	s_cmp_eq_u32 s25, 11
	s_mov_b64 s[0:1], -1
	s_cbranch_scc0 .LBB63_102
; %bb.101:
	v_and_b32_e32 v4, 0x7fff, v3
	v_cmp_ne_u16_e32 vcc, 0, v4
	v_cndmask_b32_e64 v4, 0, 1, vcc
	s_mov_b64 s[6:7], -1
	s_mov_b64 s[0:1], 0
	global_store_byte v[0:1], v4, off
.LBB63_102:
	s_branch .LBB63_20
.LBB63_103:
	s_and_b32 s18, 0xffff, s24
	s_cmp_lt_i32 s18, 5
	s_mov_b64 s[6:7], -1
	s_cbranch_scc1 .LBB63_124
; %bb.104:
	s_cmp_lt_i32 s18, 8
	s_cbranch_scc1 .LBB63_114
; %bb.105:
	s_cmp_lt_i32 s18, 9
	s_cbranch_scc1 .LBB63_111
; %bb.106:
	s_cmp_gt_i32 s18, 9
	s_cbranch_scc0 .LBB63_108
; %bb.107:
	v_lshlrev_b32_e32 v4, 16, v3
	v_cvt_f64_f32_e32 v[4:5], v4
	v_mov_b32_e32 v6, 0
	v_mov_b32_e32 v7, v6
	s_mov_b64 s[6:7], 0
	global_store_dwordx4 v[0:1], v[4:7], off
.LBB63_108:
	s_andn2_b64 vcc, exec, s[6:7]
	s_cbranch_vccnz .LBB63_110
; %bb.109:
	v_lshlrev_b32_e32 v4, 16, v3
	v_mov_b32_e32 v5, 0
	global_store_dwordx2 v[0:1], v[4:5], off
.LBB63_110:
	s_mov_b64 s[6:7], 0
.LBB63_111:
	s_andn2_b64 vcc, exec, s[6:7]
	s_cbranch_vccnz .LBB63_113
; %bb.112:
	v_lshlrev_b32_e32 v4, 16, v3
	v_cvt_f16_f32_e32 v4, v4
	global_store_dword v[0:1], v4, off
.LBB63_113:
	s_mov_b64 s[6:7], 0
.LBB63_114:
	s_andn2_b64 vcc, exec, s[6:7]
	s_cbranch_vccnz .LBB63_123
; %bb.115:
	s_cmp_lt_i32 s18, 6
	s_mov_b64 s[6:7], -1
	s_cbranch_scc1 .LBB63_121
; %bb.116:
	s_cmp_gt_i32 s18, 6
	s_cbranch_scc0 .LBB63_118
; %bb.117:
	v_lshlrev_b32_e32 v4, 16, v3
	v_cvt_f64_f32_e32 v[4:5], v4
	s_mov_b64 s[6:7], 0
	global_store_dwordx2 v[0:1], v[4:5], off
.LBB63_118:
	s_andn2_b64 vcc, exec, s[6:7]
	s_cbranch_vccnz .LBB63_120
; %bb.119:
	v_lshlrev_b32_e32 v4, 16, v3
	global_store_dword v[0:1], v4, off
.LBB63_120:
	s_mov_b64 s[6:7], 0
.LBB63_121:
	s_andn2_b64 vcc, exec, s[6:7]
	s_cbranch_vccnz .LBB63_123
; %bb.122:
	v_lshlrev_b32_e32 v4, 16, v3
	v_cvt_f16_f32_e32 v4, v4
	global_store_short v[0:1], v4, off
.LBB63_123:
	s_mov_b64 s[6:7], 0
.LBB63_124:
	s_andn2_b64 vcc, exec, s[6:7]
	s_cbranch_vccnz .LBB63_140
; %bb.125:
	s_cmp_lt_i32 s18, 2
	s_mov_b64 s[6:7], -1
	s_cbranch_scc1 .LBB63_135
; %bb.126:
	s_cmp_lt_i32 s18, 3
	s_cbranch_scc1 .LBB63_132
; %bb.127:
	s_cmp_gt_i32 s18, 3
	s_cbranch_scc0 .LBB63_129
; %bb.128:
	v_lshlrev_b32_e32 v4, 16, v3
	v_trunc_f32_e32 v4, v4
	s_mov_b32 s6, 0x2f800000
	v_mul_f32_e64 v5, |v4|, s6
	v_floor_f32_e32 v5, v5
	s_mov_b32 s6, 0xcf800000
	v_cvt_u32_f32_e32 v6, v5
	v_fma_f32 v5, v5, s6, |v4|
	v_cvt_u32_f32_e32 v5, v5
	v_ashrrev_i32_e32 v7, 31, v4
	v_xor_b32_e32 v6, v6, v7
	s_mov_b64 s[6:7], 0
	v_xor_b32_e32 v4, v5, v7
	v_sub_co_u32_e32 v4, vcc, v4, v7
	v_subb_co_u32_e32 v5, vcc, v6, v7, vcc
	global_store_dwordx2 v[0:1], v[4:5], off
.LBB63_129:
	s_andn2_b64 vcc, exec, s[6:7]
	s_cbranch_vccnz .LBB63_131
; %bb.130:
	v_lshlrev_b32_e32 v4, 16, v3
	v_cvt_i32_f32_e32 v4, v4
	global_store_dword v[0:1], v4, off
.LBB63_131:
	s_mov_b64 s[6:7], 0
.LBB63_132:
	s_andn2_b64 vcc, exec, s[6:7]
	s_cbranch_vccnz .LBB63_134
; %bb.133:
	v_lshlrev_b32_e32 v4, 16, v3
	v_cvt_i32_f32_e32 v4, v4
	global_store_short v[0:1], v4, off
.LBB63_134:
	s_mov_b64 s[6:7], 0
.LBB63_135:
	s_andn2_b64 vcc, exec, s[6:7]
	s_cbranch_vccnz .LBB63_140
; %bb.136:
	s_mov_b64 s[6:7], -1
	s_cmp_gt_i32 s18, 0
	v_lshlrev_b32_e32 v3, 16, v3
	s_cbranch_scc0 .LBB63_138
; %bb.137:
	v_cvt_i32_f32_e32 v4, v3
	s_mov_b64 s[6:7], 0
	global_store_byte v[0:1], v4, off
.LBB63_138:
	s_andn2_b64 vcc, exec, s[6:7]
	s_cbranch_vccnz .LBB63_140
; %bb.139:
	v_trunc_f32_e32 v3, v3
	s_mov_b32 s6, 0x2f800000
	v_mul_f32_e64 v4, |v3|, s6
	v_floor_f32_e32 v4, v4
	s_mov_b32 s6, 0xcf800000
	v_fma_f32 v4, v4, s6, |v3|
	v_cvt_u32_f32_e32 v4, v4
	v_ashrrev_i32_e32 v3, 31, v3
	v_xor_b32_e32 v4, v4, v3
	v_sub_u32_e32 v3, v4, v3
	global_store_byte v[0:1], v3, off
.LBB63_140:
	s_branch .LBB63_21
.LBB63_141:
	s_mov_b64 s[18:19], 0
                                        ; implicit-def: $vgpr2
	s_branch .LBB63_251
.LBB63_142:
	s_mov_b64 s[14:15], -1
                                        ; implicit-def: $vgpr3
.LBB63_143:
	s_mov_b64 s[6:7], 0
.LBB63_144:
	s_and_b64 vcc, exec, s[6:7]
	s_cbranch_vccz .LBB63_148
; %bb.145:
	s_cmp_eq_u32 s22, 29
	s_cbranch_scc0 .LBB63_147
; %bb.146:
	global_load_dwordx2 v[3:4], v[0:1], off
	s_movk_i32 s6, 0x7fff
	s_mov_b64 s[0:1], -1
	s_mov_b64 s[14:15], 0
	s_waitcnt vmcnt(0)
	v_ffbh_u32_e32 v5, v4
	v_min_u32_e32 v5, 32, v5
	v_lshlrev_b64 v[3:4], v5, v[3:4]
	v_min_u32_e32 v3, 1, v3
	v_or_b32_e32 v3, v4, v3
	v_cvt_f32_u32_e32 v3, v3
	v_sub_u32_e32 v4, 32, v5
	v_ldexp_f32 v3, v3, v4
	v_bfe_u32 v4, v3, 16, 1
	v_add3_u32 v3, v3, v4, s6
	v_lshrrev_b32_e32 v3, 16, v3
	s_branch .LBB63_148
.LBB63_147:
	s_mov_b64 s[14:15], -1
                                        ; implicit-def: $vgpr3
.LBB63_148:
	s_mov_b64 s[6:7], 0
.LBB63_149:
	s_and_b64 vcc, exec, s[6:7]
	s_cbranch_vccz .LBB63_167
; %bb.150:
	s_cmp_lt_i32 s22, 27
	s_cbranch_scc1 .LBB63_153
; %bb.151:
	s_cmp_gt_i32 s22, 27
	s_cbranch_scc0 .LBB63_154
; %bb.152:
	global_load_dword v3, v[0:1], off
	s_movk_i32 s0, 0x7fff
	s_waitcnt vmcnt(0)
	v_cvt_f32_u32_e32 v3, v3
	v_bfe_u32 v4, v3, 16, 1
	v_add3_u32 v3, v3, v4, s0
	v_lshrrev_b32_e32 v3, 16, v3
	s_mov_b64 s[0:1], 0
	s_branch .LBB63_155
.LBB63_153:
	s_mov_b64 s[0:1], -1
                                        ; implicit-def: $vgpr3
	s_branch .LBB63_158
.LBB63_154:
	s_mov_b64 s[0:1], -1
                                        ; implicit-def: $vgpr3
.LBB63_155:
	s_andn2_b64 vcc, exec, s[0:1]
	s_cbranch_vccnz .LBB63_157
; %bb.156:
	global_load_ushort v3, v[0:1], off
	s_movk_i32 s0, 0x7fff
	s_waitcnt vmcnt(0)
	v_cvt_f32_u32_e32 v3, v3
	v_bfe_u32 v4, v3, 16, 1
	v_add3_u32 v3, v3, v4, s0
	v_lshrrev_b32_e32 v3, 16, v3
.LBB63_157:
	s_mov_b64 s[0:1], 0
.LBB63_158:
	s_andn2_b64 vcc, exec, s[0:1]
	s_cbranch_vccnz .LBB63_166
; %bb.159:
	global_load_ubyte v3, v[0:1], off
	s_movk_i32 s0, 0x7f
	s_waitcnt vmcnt(0)
	v_cmp_lt_i16_e32 vcc, s0, v3
	s_mov_b64 s[0:1], 0
	s_and_saveexec_b64 s[6:7], vcc
	s_xor_b64 s[6:7], exec, s[6:7]
	s_cbranch_execz .LBB63_179
; %bb.160:
	s_movk_i32 s0, 0x80
	v_cmp_eq_u16_e32 vcc, s0, v3
	s_mov_b64 s[0:1], -1
	s_and_saveexec_b64 s[18:19], vcc
; %bb.161:
	s_xor_b64 s[0:1], exec, -1
; %bb.162:
	s_or_b64 exec, exec, s[18:19]
	s_and_b64 s[0:1], s[0:1], exec
	s_or_saveexec_b64 s[6:7], s[6:7]
	v_mov_b32_e32 v4, 0x7f800001
	s_xor_b64 exec, exec, s[6:7]
	s_cbranch_execnz .LBB63_180
.LBB63_163:
	s_or_b64 exec, exec, s[6:7]
	s_and_saveexec_b64 s[6:7], s[0:1]
	s_cbranch_execz .LBB63_165
.LBB63_164:
	v_lshlrev_b32_e32 v4, 24, v3
	v_and_b32_e32 v3, 0xffff, v3
	v_and_b32_e32 v5, 7, v3
	v_ffbh_u32_e32 v7, v5
	v_min_u32_e32 v7, 32, v7
	v_subrev_u32_e32 v8, 28, v7
	v_bfe_u32 v6, v3, 3, 4
	v_lshlrev_b32_e32 v3, v8, v3
	v_sub_u32_e32 v7, 29, v7
	v_and_b32_e32 v3, 7, v3
	v_cmp_eq_u32_e32 vcc, 0, v6
	v_cndmask_b32_e32 v6, v6, v7, vcc
	v_cndmask_b32_e32 v3, v5, v3, vcc
	v_mov_b32_e32 v5, 0x3b800000
	v_lshlrev_b32_e32 v3, 20, v3
	v_and_b32_e32 v4, 0x80000000, v4
	v_lshl_add_u32 v5, v6, 23, v5
	v_or3_b32 v4, v4, v5, v3
.LBB63_165:
	s_or_b64 exec, exec, s[6:7]
	v_bfe_u32 v3, v4, 16, 1
	s_movk_i32 s0, 0x7fff
	v_add3_u32 v3, v4, v3, s0
	v_cmp_o_f32_e32 vcc, v4, v4
	v_mov_b32_e32 v4, 0x7fc0
	v_cndmask_b32_sdwa v3, v4, v3, vcc dst_sel:DWORD dst_unused:UNUSED_PAD src0_sel:DWORD src1_sel:WORD_1
.LBB63_166:
	s_mov_b64 s[0:1], -1
.LBB63_167:
	s_branch .LBB63_202
.LBB63_168:
	s_cmp_gt_i32 s22, 22
	s_cbranch_scc0 .LBB63_178
; %bb.169:
	s_cmp_lt_i32 s22, 24
	s_cbranch_scc1 .LBB63_181
; %bb.170:
	s_cmp_gt_i32 s22, 24
	s_cbranch_scc0 .LBB63_182
; %bb.171:
	global_load_ubyte v3, v[0:1], off
	s_movk_i32 s0, 0x7f
	s_waitcnt vmcnt(0)
	v_cmp_lt_i16_e32 vcc, s0, v3
	s_mov_b64 s[0:1], 0
	s_and_saveexec_b64 s[6:7], vcc
	s_xor_b64 s[6:7], exec, s[6:7]
	s_cbranch_execz .LBB63_194
; %bb.172:
	s_movk_i32 s0, 0x80
	v_cmp_eq_u16_e32 vcc, s0, v3
	s_mov_b64 s[0:1], -1
	s_and_saveexec_b64 s[18:19], vcc
; %bb.173:
	s_xor_b64 s[0:1], exec, -1
; %bb.174:
	s_or_b64 exec, exec, s[18:19]
	s_and_b64 s[0:1], s[0:1], exec
	s_or_saveexec_b64 s[6:7], s[6:7]
	v_mov_b32_e32 v4, 0x7f800001
	s_xor_b64 exec, exec, s[6:7]
	s_cbranch_execnz .LBB63_195
.LBB63_175:
	s_or_b64 exec, exec, s[6:7]
	s_and_saveexec_b64 s[6:7], s[0:1]
	s_cbranch_execz .LBB63_177
.LBB63_176:
	v_lshlrev_b32_e32 v4, 24, v3
	v_and_b32_e32 v3, 0xffff, v3
	v_and_b32_e32 v5, 3, v3
	v_ffbh_u32_e32 v7, v5
	v_min_u32_e32 v7, 32, v7
	v_subrev_u32_e32 v8, 29, v7
	v_bfe_u32 v6, v3, 2, 5
	v_lshlrev_b32_e32 v3, v8, v3
	v_sub_u32_e32 v7, 30, v7
	v_and_b32_e32 v3, 3, v3
	v_cmp_eq_u32_e32 vcc, 0, v6
	v_cndmask_b32_e32 v6, v6, v7, vcc
	v_cndmask_b32_e32 v3, v5, v3, vcc
	v_mov_b32_e32 v5, 0x37800000
	v_lshlrev_b32_e32 v3, 21, v3
	v_and_b32_e32 v4, 0x80000000, v4
	v_lshl_add_u32 v5, v6, 23, v5
	v_or3_b32 v4, v4, v5, v3
.LBB63_177:
	s_or_b64 exec, exec, s[6:7]
	v_bfe_u32 v3, v4, 16, 1
	s_movk_i32 s0, 0x7fff
	v_add3_u32 v3, v4, v3, s0
	v_cmp_o_f32_e32 vcc, v4, v4
	v_mov_b32_e32 v4, 0x7fc0
	v_cndmask_b32_sdwa v3, v4, v3, vcc dst_sel:DWORD dst_unused:UNUSED_PAD src0_sel:DWORD src1_sel:WORD_1
	s_mov_b64 s[0:1], 0
	s_branch .LBB63_183
.LBB63_178:
	s_mov_b64 s[6:7], -1
                                        ; implicit-def: $vgpr3
	s_branch .LBB63_189
.LBB63_179:
	s_or_saveexec_b64 s[6:7], s[6:7]
	v_mov_b32_e32 v4, 0x7f800001
	s_xor_b64 exec, exec, s[6:7]
	s_cbranch_execz .LBB63_163
.LBB63_180:
	v_cmp_ne_u16_e32 vcc, 0, v3
	s_andn2_b64 s[0:1], s[0:1], exec
	s_and_b64 s[18:19], vcc, exec
	v_mov_b32_e32 v4, 0
	s_or_b64 s[0:1], s[0:1], s[18:19]
	s_or_b64 exec, exec, s[6:7]
	s_and_saveexec_b64 s[6:7], s[0:1]
	s_cbranch_execnz .LBB63_164
	s_branch .LBB63_165
.LBB63_181:
	s_mov_b64 s[0:1], -1
                                        ; implicit-def: $vgpr3
	s_branch .LBB63_186
.LBB63_182:
	s_mov_b64 s[0:1], -1
                                        ; implicit-def: $vgpr3
.LBB63_183:
	s_and_b64 vcc, exec, s[0:1]
	s_cbranch_vccz .LBB63_185
; %bb.184:
	global_load_ubyte v3, v[0:1], off
	s_mov_b32 s0, 0x7f800000
	s_brev_b32 s1, 1
	s_movk_i32 s6, 0x7fff
	s_waitcnt vmcnt(0)
	v_lshlrev_b32_e32 v3, 24, v3
	v_and_b32_e32 v4, 0x7f000000, v3
	v_ffbh_u32_e32 v5, v4
	v_min_u32_e32 v5, 32, v5
	v_sub_u32_e64 v5, v5, 4 clamp
	v_lshlrev_b32_e32 v7, v5, v4
	v_lshlrev_b32_e32 v5, 23, v5
	v_lshrrev_b32_e32 v7, 4, v7
	v_add_u32_e32 v6, 0x1000000, v4
	v_sub_u32_e32 v5, v7, v5
	v_ashrrev_i32_e32 v6, 8, v6
	v_add_u32_e32 v5, 0x3c000000, v5
	v_and_or_b32 v5, v6, s0, v5
	v_cmp_ne_u32_e32 vcc, 0, v4
	v_cndmask_b32_e32 v4, 0, v5, vcc
	v_and_or_b32 v3, v3, s1, v4
	v_bfe_u32 v4, v4, 16, 1
	v_add3_u32 v4, v3, v4, s6
	v_cmp_o_f32_e32 vcc, v3, v3
	v_mov_b32_e32 v3, 0x7fc0
	v_cndmask_b32_sdwa v3, v3, v4, vcc dst_sel:DWORD dst_unused:UNUSED_PAD src0_sel:DWORD src1_sel:WORD_1
.LBB63_185:
	s_mov_b64 s[0:1], 0
.LBB63_186:
	s_andn2_b64 vcc, exec, s[0:1]
	s_cbranch_vccnz .LBB63_188
; %bb.187:
	global_load_ubyte v3, v[0:1], off
	s_movk_i32 s0, 0x7f00
	s_brev_b32 s1, 16
	s_brev_b32 s6, 1
	s_movk_i32 s7, 0x7fff
	s_waitcnt vmcnt(0)
	v_lshlrev_b16_e32 v4, 8, v3
	v_lshlrev_b32_e32 v3, 25, v3
	v_lshrrev_b32_e32 v5, 4, v3
	v_and_or_b32 v6, v4, s0, 0.5
	v_or_b32_e32 v5, 0x70000000, v5
	v_add_f32_e32 v6, -0.5, v6
	v_mul_f32_e32 v5, 0x7800000, v5
	v_cmp_gt_u32_e32 vcc, s1, v3
	v_bfe_i32 v4, v4, 0, 16
	v_cndmask_b32_e32 v3, v5, v6, vcc
	v_and_or_b32 v4, v4, s6, v3
	v_bfe_u32 v3, v3, 16, 1
	v_add3_u32 v3, v4, v3, s7
	v_cmp_o_f32_e32 vcc, v4, v4
	v_mov_b32_e32 v4, 0x7fc0
	v_cndmask_b32_sdwa v3, v4, v3, vcc dst_sel:DWORD dst_unused:UNUSED_PAD src0_sel:DWORD src1_sel:WORD_1
.LBB63_188:
	s_mov_b64 s[6:7], 0
	s_mov_b64 s[0:1], -1
.LBB63_189:
	s_andn2_b64 vcc, exec, s[6:7]
	s_cbranch_vccnz .LBB63_202
; %bb.190:
	s_cmp_gt_i32 s22, 14
	s_cbranch_scc0 .LBB63_193
; %bb.191:
	s_cmp_eq_u32 s22, 15
	s_cbranch_scc0 .LBB63_196
; %bb.192:
	global_load_ushort v3, v[0:1], off
	s_mov_b64 s[0:1], -1
	s_mov_b64 s[14:15], 0
	s_branch .LBB63_197
.LBB63_193:
	s_mov_b64 s[6:7], -1
                                        ; implicit-def: $vgpr3
	s_branch .LBB63_198
.LBB63_194:
	s_or_saveexec_b64 s[6:7], s[6:7]
	v_mov_b32_e32 v4, 0x7f800001
	s_xor_b64 exec, exec, s[6:7]
	s_cbranch_execz .LBB63_175
.LBB63_195:
	v_cmp_ne_u16_e32 vcc, 0, v3
	s_andn2_b64 s[0:1], s[0:1], exec
	s_and_b64 s[18:19], vcc, exec
	v_mov_b32_e32 v4, 0
	s_or_b64 s[0:1], s[0:1], s[18:19]
	s_or_b64 exec, exec, s[6:7]
	s_and_saveexec_b64 s[6:7], s[0:1]
	s_cbranch_execnz .LBB63_176
	s_branch .LBB63_177
.LBB63_196:
	s_mov_b64 s[14:15], -1
                                        ; implicit-def: $vgpr3
.LBB63_197:
	s_mov_b64 s[6:7], 0
.LBB63_198:
	s_and_b64 vcc, exec, s[6:7]
	s_cbranch_vccz .LBB63_202
; %bb.199:
	s_cmp_eq_u32 s22, 11
	s_cbranch_scc0 .LBB63_201
; %bb.200:
	global_load_ubyte v3, v[0:1], off
	s_mov_b64 s[0:1], -1
	s_mov_b64 s[14:15], 0
	s_waitcnt vmcnt(0)
	v_cmp_ne_u16_e32 vcc, 0, v3
	v_cndmask_b32_e64 v3, 0, 1.0, vcc
	v_lshrrev_b32_e32 v3, 16, v3
	s_branch .LBB63_202
.LBB63_201:
	s_mov_b64 s[14:15], -1
                                        ; implicit-def: $vgpr3
.LBB63_202:
	s_branch .LBB63_10
.LBB63_203:
	s_cmp_lt_i32 s22, 5
	s_cbranch_scc1 .LBB63_208
; %bb.204:
	s_cmp_lt_i32 s22, 8
	s_cbranch_scc1 .LBB63_209
; %bb.205:
	;; [unrolled: 3-line block ×3, first 2 shown]
	s_cmp_gt_i32 s22, 9
	s_cbranch_scc0 .LBB63_211
; %bb.207:
	global_load_dwordx2 v[3:4], v[0:1], off
	s_movk_i32 s0, 0x7fff
	s_waitcnt vmcnt(0)
	v_cvt_f32_f64_e32 v3, v[3:4]
	v_mov_b32_e32 v4, 0x7fc0
	v_bfe_u32 v5, v3, 16, 1
	v_cmp_o_f32_e32 vcc, v3, v3
	v_add3_u32 v3, v3, v5, s0
	v_cndmask_b32_sdwa v3, v4, v3, vcc dst_sel:DWORD dst_unused:UNUSED_PAD src0_sel:DWORD src1_sel:WORD_1
	s_mov_b64 s[0:1], 0
	s_branch .LBB63_212
.LBB63_208:
                                        ; implicit-def: $vgpr3
	s_branch .LBB63_230
.LBB63_209:
	s_mov_b64 s[0:1], -1
                                        ; implicit-def: $vgpr3
	s_branch .LBB63_218
.LBB63_210:
	s_mov_b64 s[0:1], -1
                                        ; implicit-def: $vgpr3
	s_branch .LBB63_215
.LBB63_211:
	s_mov_b64 s[0:1], -1
                                        ; implicit-def: $vgpr3
.LBB63_212:
	s_andn2_b64 vcc, exec, s[0:1]
	s_cbranch_vccnz .LBB63_214
; %bb.213:
	global_load_dword v3, v[0:1], off
	s_movk_i32 s0, 0x7fff
	v_mov_b32_e32 v4, 0x7fc0
	s_waitcnt vmcnt(0)
	v_bfe_u32 v5, v3, 16, 1
	v_cmp_o_f32_e32 vcc, v3, v3
	v_add3_u32 v3, v3, v5, s0
	v_cndmask_b32_sdwa v3, v4, v3, vcc dst_sel:DWORD dst_unused:UNUSED_PAD src0_sel:DWORD src1_sel:WORD_1
.LBB63_214:
	s_mov_b64 s[0:1], 0
.LBB63_215:
	s_andn2_b64 vcc, exec, s[0:1]
	s_cbranch_vccnz .LBB63_217
; %bb.216:
	global_load_dword v3, v[0:1], off
	s_movk_i32 s0, 0x7fff
	v_mov_b32_e32 v5, 0x7fc0
	s_waitcnt vmcnt(0)
	v_cvt_f32_f16_e32 v4, v3
	v_cmp_o_f16_e32 vcc, v3, v3
	v_bfe_u32 v3, v4, 16, 1
	v_add3_u32 v3, v4, v3, s0
	v_cndmask_b32_sdwa v3, v5, v3, vcc dst_sel:DWORD dst_unused:UNUSED_PAD src0_sel:DWORD src1_sel:WORD_1
.LBB63_217:
	s_mov_b64 s[0:1], 0
.LBB63_218:
	s_andn2_b64 vcc, exec, s[0:1]
	s_cbranch_vccnz .LBB63_229
; %bb.219:
	s_cmp_lt_i32 s22, 6
	s_cbranch_scc1 .LBB63_222
; %bb.220:
	s_cmp_gt_i32 s22, 6
	s_cbranch_scc0 .LBB63_223
; %bb.221:
	global_load_dwordx2 v[3:4], v[0:1], off
	s_movk_i32 s0, 0x7fff
	s_waitcnt vmcnt(0)
	v_cvt_f32_f64_e32 v3, v[3:4]
	v_mov_b32_e32 v4, 0x7fc0
	v_bfe_u32 v5, v3, 16, 1
	v_cmp_o_f32_e32 vcc, v3, v3
	v_add3_u32 v3, v3, v5, s0
	v_cndmask_b32_sdwa v3, v4, v3, vcc dst_sel:DWORD dst_unused:UNUSED_PAD src0_sel:DWORD src1_sel:WORD_1
	s_mov_b64 s[0:1], 0
	s_branch .LBB63_224
.LBB63_222:
	s_mov_b64 s[0:1], -1
                                        ; implicit-def: $vgpr3
	s_branch .LBB63_227
.LBB63_223:
	s_mov_b64 s[0:1], -1
                                        ; implicit-def: $vgpr3
.LBB63_224:
	s_andn2_b64 vcc, exec, s[0:1]
	s_cbranch_vccnz .LBB63_226
; %bb.225:
	global_load_dword v3, v[0:1], off
	s_movk_i32 s0, 0x7fff
	v_mov_b32_e32 v4, 0x7fc0
	s_waitcnt vmcnt(0)
	v_bfe_u32 v5, v3, 16, 1
	v_cmp_o_f32_e32 vcc, v3, v3
	v_add3_u32 v3, v3, v5, s0
	v_cndmask_b32_sdwa v3, v4, v3, vcc dst_sel:DWORD dst_unused:UNUSED_PAD src0_sel:DWORD src1_sel:WORD_1
.LBB63_226:
	s_mov_b64 s[0:1], 0
.LBB63_227:
	s_andn2_b64 vcc, exec, s[0:1]
	s_cbranch_vccnz .LBB63_229
; %bb.228:
	global_load_ushort v3, v[0:1], off
	s_movk_i32 s0, 0x7fff
	v_mov_b32_e32 v5, 0x7fc0
	s_waitcnt vmcnt(0)
	v_cvt_f32_f16_e32 v4, v3
	v_cmp_o_f16_e32 vcc, v3, v3
	v_bfe_u32 v3, v4, 16, 1
	v_add3_u32 v3, v4, v3, s0
	v_cndmask_b32_sdwa v3, v5, v3, vcc dst_sel:DWORD dst_unused:UNUSED_PAD src0_sel:DWORD src1_sel:WORD_1
.LBB63_229:
	s_cbranch_execnz .LBB63_249
.LBB63_230:
	s_cmp_lt_i32 s22, 2
	s_cbranch_scc1 .LBB63_234
; %bb.231:
	s_cmp_lt_i32 s22, 3
	s_cbranch_scc1 .LBB63_235
; %bb.232:
	s_cmp_gt_i32 s22, 3
	s_cbranch_scc0 .LBB63_236
; %bb.233:
	global_load_dwordx2 v[3:4], v[0:1], off
	s_movk_i32 s0, 0x7fff
	s_waitcnt vmcnt(0)
	v_xor_b32_e32 v6, v3, v4
	v_ffbh_i32_e32 v5, v4
	v_ashrrev_i32_e32 v6, 31, v6
	v_add_u32_e32 v5, -1, v5
	v_add_u32_e32 v6, 32, v6
	v_min_u32_e32 v5, v5, v6
	v_lshlrev_b64 v[3:4], v5, v[3:4]
	v_min_u32_e32 v3, 1, v3
	v_or_b32_e32 v3, v4, v3
	v_cvt_f32_i32_e32 v3, v3
	v_sub_u32_e32 v4, 32, v5
	v_ldexp_f32 v3, v3, v4
	v_bfe_u32 v4, v3, 16, 1
	v_add3_u32 v3, v3, v4, s0
	v_lshrrev_b32_e32 v3, 16, v3
	s_mov_b64 s[0:1], 0
	s_branch .LBB63_237
.LBB63_234:
	s_mov_b64 s[0:1], -1
                                        ; implicit-def: $vgpr3
	s_branch .LBB63_243
.LBB63_235:
	s_mov_b64 s[0:1], -1
                                        ; implicit-def: $vgpr3
	s_branch .LBB63_240
.LBB63_236:
	s_mov_b64 s[0:1], -1
                                        ; implicit-def: $vgpr3
.LBB63_237:
	s_andn2_b64 vcc, exec, s[0:1]
	s_cbranch_vccnz .LBB63_239
; %bb.238:
	global_load_dword v3, v[0:1], off
	s_movk_i32 s0, 0x7fff
	s_waitcnt vmcnt(0)
	v_cvt_f32_i32_e32 v3, v3
	v_bfe_u32 v4, v3, 16, 1
	v_add3_u32 v3, v3, v4, s0
	v_lshrrev_b32_e32 v3, 16, v3
.LBB63_239:
	s_mov_b64 s[0:1], 0
.LBB63_240:
	s_andn2_b64 vcc, exec, s[0:1]
	s_cbranch_vccnz .LBB63_242
; %bb.241:
	global_load_sshort v3, v[0:1], off
	s_movk_i32 s0, 0x7fff
	s_waitcnt vmcnt(0)
	v_cvt_f32_i32_e32 v3, v3
	v_bfe_u32 v4, v3, 16, 1
	v_add3_u32 v3, v3, v4, s0
	v_lshrrev_b32_e32 v3, 16, v3
.LBB63_242:
	s_mov_b64 s[0:1], 0
.LBB63_243:
	s_andn2_b64 vcc, exec, s[0:1]
	s_cbranch_vccnz .LBB63_249
; %bb.244:
	s_cmp_gt_i32 s22, 0
	s_cbranch_scc0 .LBB63_246
; %bb.245:
	global_load_sbyte v3, v[0:1], off
	s_movk_i32 s0, 0x7fff
	s_waitcnt vmcnt(0)
	v_cvt_f32_i32_e32 v3, v3
	v_bfe_u32 v4, v3, 16, 1
	v_add3_u32 v3, v3, v4, s0
	v_lshrrev_b32_e32 v3, 16, v3
	s_mov_b64 s[0:1], 0
	s_branch .LBB63_247
.LBB63_246:
	s_mov_b64 s[0:1], -1
                                        ; implicit-def: $vgpr3
.LBB63_247:
	s_andn2_b64 vcc, exec, s[0:1]
	s_cbranch_vccnz .LBB63_249
; %bb.248:
	global_load_ubyte v0, v[0:1], off
	s_movk_i32 s0, 0x7fff
	s_waitcnt vmcnt(0)
	v_cvt_f32_ubyte0_e32 v0, v0
	v_bfe_u32 v1, v0, 16, 1
	v_add3_u32 v0, v0, v1, s0
	v_lshrrev_b32_e32 v3, 16, v0
.LBB63_249:
	s_branch .LBB63_11
.LBB63_250:
	s_mov_b64 s[0:1], 0
                                        ; implicit-def: $vgpr2
	s_mov_b64 s[18:19], 0
.LBB63_251:
	s_and_b64 s[6:7], s[0:1], exec
	s_and_b64 s[14:15], s[14:15], exec
	s_orn2_b64 s[18:19], s[18:19], exec
.LBB63_252:
	s_or_b64 exec, exec, s[16:17]
	s_mov_b64 s[22:23], 0
	s_mov_b64 s[0:1], 0
                                        ; implicit-def: $vgpr0_vgpr1
                                        ; implicit-def: $vgpr4
	s_and_saveexec_b64 s[16:17], s[18:19]
	s_cbranch_execz .LBB63_261
; %bb.253:
	v_cmp_gt_i32_e32 vcc, s38, v2
	s_mov_b64 s[0:1], -1
	s_mov_b64 s[18:19], s[14:15]
	s_mov_b64 s[20:21], s[6:7]
	s_and_saveexec_b64 s[22:23], vcc
	s_cbranch_execz .LBB63_514
; %bb.254:
	v_mul_lo_u32 v0, v2, s3
	v_mov_b32_e32 v1, s11
	s_and_b32 s26, 0xffff, s42
	s_cmp_lt_i32 s26, 11
	s_waitcnt vmcnt(0)
	v_ashrrev_i32_e32 v3, 31, v0
	v_add_co_u32_e32 v0, vcc, s10, v0
	v_addc_co_u32_e32 v1, vcc, v1, v3, vcc
	s_cbranch_scc1 .LBB63_264
; %bb.255:
	s_cmp_gt_i32 s26, 25
	s_cbranch_scc0 .LBB63_273
; %bb.256:
	s_cmp_gt_i32 s26, 28
	s_cbranch_scc0 .LBB63_275
	;; [unrolled: 3-line block ×4, first 2 shown]
; %bb.259:
	s_cmp_eq_u32 s26, 46
	s_mov_b64 s[20:21], 0
	s_cbranch_scc0 .LBB63_285
; %bb.260:
	global_load_dword v3, v[0:1], off
	s_mov_b64 s[18:19], 0
	s_branch .LBB63_286
.LBB63_261:
	s_or_b64 exec, exec, s[16:17]
	s_mov_b64 s[16:17], 0
	s_and_saveexec_b64 s[18:19], s[14:15]
	s_cbranch_execnz .LBB63_861
.LBB63_262:
	s_or_b64 exec, exec, s[18:19]
	s_and_saveexec_b64 s[14:15], s[20:21]
	s_xor_b64 s[14:15], exec, s[14:15]
	s_cbranch_execz .LBB63_862
.LBB63_263:
	global_load_ubyte v3, v[0:1], off
	s_or_b64 s[0:1], s[0:1], exec
	s_waitcnt vmcnt(0)
	v_cmp_ne_u16_e32 vcc, 0, v3
	v_cndmask_b32_e64 v3, 0, 1.0, vcc
	v_lshrrev_b32_e32 v4, 16, v3
	s_or_b64 exec, exec, s[14:15]
	s_and_saveexec_b64 s[14:15], s[22:23]
	s_cbranch_execz .LBB63_908
	s_branch .LBB63_863
.LBB63_264:
	s_mov_b64 s[0:1], 0
                                        ; implicit-def: $vgpr3
	s_mov_b64 s[18:19], s[14:15]
	s_cbranch_execnz .LBB63_463
.LBB63_265:
	s_andn2_b64 vcc, exec, s[0:1]
	s_cbranch_vccnz .LBB63_511
.LBB63_266:
	s_waitcnt vmcnt(0)
	v_lshlrev_b32_e32 v0, 16, v3
	v_fma_f32 v1, |v0|, -0.5, 0.5
	v_mul_f32_e32 v3, v0, v0
	v_cmp_ge_f32_e64 vcc, |v0|, 0.5
	v_cndmask_b32_e32 v1, v3, v1, vcc
	v_mov_b32_e32 v3, 0x3c5fc5da
	v_fmac_f32_e32 v3, 0x3d1c21a7, v1
	v_mov_b32_e32 v4, 0x3d034c3c
	v_fmac_f32_e32 v4, v1, v3
	;; [unrolled: 2-line block ×4, first 2 shown]
	v_sqrt_f32_e32 v3, v1
	v_mov_b32_e32 v5, 0x3e2aaaac
	v_fmac_f32_e32 v5, v1, v4
	v_mul_f32_e32 v1, v1, v5
	v_fmac_f32_e32 v3, v3, v1
	v_add_f32_e32 v3, v3, v3
	v_sub_f32_e32 v3, 0x3fc90fdb, v3
	v_fma_f32 v1, |v0|, v1, |v0|
	v_cmp_lt_f32_e64 vcc, |v0|, 0.5
	v_cndmask_b32_e32 v1, v3, v1, vcc
	s_brev_b32 s0, -2
	v_bfi_b32 v0, s0, v1, v0
	v_bfe_u32 v1, v0, 16, 1
	s_movk_i32 s0, 0x7fff
	v_add3_u32 v1, v0, v1, s0
	v_cmp_o_f32_e32 vcc, v0, v0
	v_mul_lo_u32 v0, v2, s2
	v_mov_b32_e32 v3, 0x7fc0
	v_cndmask_b32_sdwa v3, v3, v1, vcc dst_sel:DWORD dst_unused:UNUSED_PAD src0_sel:DWORD src1_sel:WORD_1
	v_mov_b32_e32 v4, s9
	v_ashrrev_i32_e32 v1, 31, v0
	s_and_b32 s28, s33, 0xff
	v_add_co_u32_e32 v0, vcc, s8, v0
	s_cmp_lt_i32 s28, 11
	v_addc_co_u32_e32 v1, vcc, v4, v1, vcc
	s_cbranch_scc1 .LBB63_274
; %bb.267:
	s_and_b32 s29, 0xffff, s28
	s_cmp_gt_i32 s29, 25
	s_cbranch_scc0 .LBB63_276
; %bb.268:
	s_cmp_gt_i32 s29, 28
	s_cbranch_scc0 .LBB63_278
; %bb.269:
	;; [unrolled: 3-line block ×4, first 2 shown]
	s_mov_b64 s[24:25], 0
	s_mov_b64 s[0:1], -1
	s_cmp_eq_u32 s29, 46
	s_mov_b64 s[20:21], 0
	s_cbranch_scc0 .LBB63_290
; %bb.272:
	v_and_b32_e32 v4, 0xffff, v3
	global_store_dword v[0:1], v4, off
	s_mov_b64 s[20:21], -1
	s_mov_b64 s[0:1], 0
	s_branch .LBB63_290
.LBB63_273:
	s_mov_b64 s[20:21], -1
	s_mov_b64 s[0:1], 0
	s_mov_b64 s[18:19], s[14:15]
                                        ; implicit-def: $vgpr3
	s_branch .LBB63_427
.LBB63_274:
	s_mov_b64 s[24:25], -1
	s_mov_b64 s[20:21], 0
	s_mov_b64 s[0:1], s[6:7]
	s_branch .LBB63_359
.LBB63_275:
	s_mov_b64 s[20:21], -1
	s_mov_b64 s[0:1], 0
	s_mov_b64 s[18:19], s[14:15]
                                        ; implicit-def: $vgpr3
	s_branch .LBB63_408
.LBB63_276:
	s_mov_b64 s[24:25], -1
	s_mov_b64 s[20:21], 0
	s_mov_b64 s[0:1], s[6:7]
	s_branch .LBB63_317
.LBB63_277:
	s_mov_b64 s[20:21], -1
	s_mov_b64 s[0:1], 0
	s_mov_b64 s[18:19], s[14:15]
                                        ; implicit-def: $vgpr3
	s_branch .LBB63_403
.LBB63_278:
	s_mov_b64 s[24:25], -1
	s_mov_b64 s[20:21], 0
	s_mov_b64 s[0:1], s[6:7]
	s_branch .LBB63_300
.LBB63_279:
	s_andn2_saveexec_b64 s[22:23], s[22:23]
	s_cbranch_execz .LBB63_55
.LBB63_280:
	s_mov_b32 s26, 0x46000000
	v_add_f32_e64 v5, |v6|, s26
	v_and_b32_e32 v5, 0xff, v5
	v_cmp_ne_u32_e32 vcc, 0, v5
	s_andn2_b64 s[18:19], s[18:19], exec
	s_and_b64 s[26:27], vcc, exec
	s_or_b64 s[18:19], s[18:19], s[26:27]
	s_or_b64 exec, exec, s[22:23]
	v_mov_b32_e32 v7, 0
	s_and_saveexec_b64 s[22:23], s[18:19]
	s_cbranch_execnz .LBB63_56
	s_branch .LBB63_57
.LBB63_281:
	s_mov_b64 s[20:21], -1
	s_mov_b64 s[0:1], 0
	s_mov_b64 s[18:19], s[14:15]
                                        ; implicit-def: $vgpr3
	s_branch .LBB63_286
.LBB63_282:
	s_mov_b64 s[24:25], -1
	s_mov_b64 s[20:21], 0
	s_mov_b64 s[0:1], s[6:7]
	s_branch .LBB63_296
.LBB63_283:
	s_andn2_saveexec_b64 s[22:23], s[22:23]
	s_cbranch_execz .LBB63_68
.LBB63_284:
	s_mov_b32 s26, 0x42800000
	v_add_f32_e64 v5, |v6|, s26
	v_and_b32_e32 v5, 0xff, v5
	v_cmp_ne_u32_e32 vcc, 0, v5
	s_andn2_b64 s[18:19], s[18:19], exec
	s_and_b64 s[26:27], vcc, exec
	s_or_b64 s[18:19], s[18:19], s[26:27]
	s_or_b64 exec, exec, s[22:23]
	v_mov_b32_e32 v7, 0
	s_and_saveexec_b64 s[22:23], s[18:19]
	s_cbranch_execnz .LBB63_69
	s_branch .LBB63_70
.LBB63_285:
	s_mov_b64 s[18:19], -1
                                        ; implicit-def: $vgpr3
	s_mov_b64 s[0:1], 0
.LBB63_286:
	s_and_b64 vcc, exec, s[20:21]
	s_cbranch_vccz .LBB63_402
; %bb.287:
	s_cmp_eq_u32 s26, 44
	s_cbranch_scc0 .LBB63_401
; %bb.288:
	global_load_ubyte v3, v[0:1], off
	s_movk_i32 s18, 0xff
	v_mov_b32_e32 v4, 0x7f800001
	v_mov_b32_e32 v5, 0x400000
	;; [unrolled: 1-line block ×3, first 2 shown]
	s_mov_b64 s[0:1], -1
	s_waitcnt vmcnt(0)
	v_lshlrev_b32_e32 v7, 23, v3
	v_cmp_ne_u32_e32 vcc, s18, v3
	v_cndmask_b32_e32 v4, v4, v7, vcc
	v_cmp_ne_u32_e32 vcc, 0, v3
	v_cndmask_b32_e32 v3, v5, v4, vcc
	v_add_u32_e32 v4, 0x7fff, v3
	v_cmp_o_f32_e32 vcc, v3, v3
	v_cndmask_b32_sdwa v3, v6, v4, vcc dst_sel:DWORD dst_unused:UNUSED_PAD src0_sel:DWORD src1_sel:WORD_1
	s_mov_b64 s[18:19], 0
	s_branch .LBB63_402
.LBB63_289:
	s_mov_b64 s[24:25], -1
	s_mov_b64 s[20:21], 0
	s_mov_b64 s[0:1], s[6:7]
.LBB63_290:
	s_and_b64 vcc, exec, s[24:25]
	s_cbranch_vccz .LBB63_295
; %bb.291:
	s_cmp_eq_u32 s29, 44
	s_mov_b64 s[0:1], -1
	s_cbranch_scc0 .LBB63_295
; %bb.292:
	v_and_b32_e32 v5, 0xffff, v3
	v_bfe_u32 v4, v5, 7, 8
	s_movk_i32 s0, 0xff
	v_cmp_ne_u32_e32 vcc, s0, v4
	v_mov_b32_e32 v6, 0xff
	s_and_saveexec_b64 s[20:21], vcc
	s_cbranch_execz .LBB63_294
; %bb.293:
	v_lshlrev_b32_e32 v7, 16, v5
	s_mov_b32 s0, 0x3f0000
	v_lshrrev_b32_e32 v6, 7, v5
	v_and_b32_e32 v5, 64, v5
	v_and_or_b32 v4, v7, s0, v4
	v_cmp_ne_u32_e32 vcc, 0, v5
	v_cmp_ne_u32_e64 s[0:1], 0, v4
	s_and_b64 s[0:1], vcc, s[0:1]
	v_cndmask_b32_e64 v4, 0, 1, s[0:1]
	v_add_u32_e32 v6, v6, v4
.LBB63_294:
	s_or_b64 exec, exec, s[20:21]
	s_mov_b64 s[20:21], -1
	s_mov_b64 s[0:1], 0
	global_store_byte v[0:1], v6, off
.LBB63_295:
	s_mov_b64 s[24:25], 0
.LBB63_296:
	s_and_b64 vcc, exec, s[24:25]
	s_cbranch_vccz .LBB63_299
; %bb.297:
	s_cmp_eq_u32 s29, 29
	s_mov_b64 s[0:1], -1
	s_cbranch_scc0 .LBB63_299
; %bb.298:
	v_lshlrev_b32_e32 v4, 16, v3
	v_trunc_f32_e32 v4, v4
	v_mul_f32_e32 v5, 0x2f800000, v4
	v_floor_f32_e32 v6, v5
	v_fmac_f32_e32 v4, 0xcf800000, v6
	v_cvt_u32_f32_e32 v5, v6
	v_cvt_u32_f32_e32 v4, v4
	s_mov_b64 s[20:21], -1
	s_mov_b64 s[0:1], 0
	s_mov_b64 s[24:25], 0
	global_store_dwordx2 v[0:1], v[4:5], off
	s_branch .LBB63_300
.LBB63_299:
	s_mov_b64 s[24:25], 0
.LBB63_300:
	s_and_b64 vcc, exec, s[24:25]
	s_cbranch_vccz .LBB63_316
; %bb.301:
	s_cmp_lt_i32 s29, 27
	s_mov_b64 s[20:21], -1
	s_cbranch_scc1 .LBB63_307
; %bb.302:
	s_cmp_gt_i32 s29, 27
	s_cbranch_scc0 .LBB63_304
; %bb.303:
	v_lshlrev_b32_e32 v4, 16, v3
	v_cvt_u32_f32_e32 v4, v4
	s_mov_b64 s[20:21], 0
	global_store_dword v[0:1], v4, off
.LBB63_304:
	s_andn2_b64 vcc, exec, s[20:21]
	s_cbranch_vccnz .LBB63_306
; %bb.305:
	v_lshlrev_b32_e32 v4, 16, v3
	v_cvt_u32_f32_e32 v4, v4
	global_store_short v[0:1], v4, off
.LBB63_306:
	s_mov_b64 s[20:21], 0
.LBB63_307:
	s_andn2_b64 vcc, exec, s[20:21]
	s_cbranch_vccnz .LBB63_315
; %bb.308:
	v_lshlrev_b32_e32 v6, 16, v3
	v_and_b32_e32 v5, 0x7fffffff, v6
	s_mov_b32 s20, 0x43800000
	v_cmp_gt_u32_e32 vcc, s20, v5
	v_mov_b32_e32 v7, 0x80
	s_and_saveexec_b64 s[20:21], vcc
	s_cbranch_execz .LBB63_314
; %bb.309:
	s_mov_b32 s24, 0x3bffffff
	v_and_b32_e32 v4, 0xffff, v3
	v_cmp_lt_u32_e32 vcc, s24, v5
	s_mov_b64 s[24:25], 0
                                        ; implicit-def: $vgpr5
	s_and_saveexec_b64 s[26:27], vcc
	s_xor_b64 s[26:27], exec, s[26:27]
	s_cbranch_execz .LBB63_527
; %bb.310:
	v_bfe_u32 v5, v4, 4, 1
	s_mov_b32 s30, 0x487ffff
	v_add3_u32 v5, v6, v5, s30
	s_mov_b64 s[24:25], exec
	v_lshrrev_b32_e32 v5, 20, v5
                                        ; implicit-def: $vgpr6
	s_andn2_saveexec_b64 s[26:27], s[26:27]
	s_cbranch_execnz .LBB63_528
.LBB63_311:
	s_or_b64 exec, exec, s[26:27]
	v_mov_b32_e32 v7, 0
	s_and_saveexec_b64 s[26:27], s[24:25]
.LBB63_312:
	v_lshrrev_b32_e32 v4, 8, v4
	s_movk_i32 s24, 0x80
	v_and_or_b32 v7, v4, s24, v5
.LBB63_313:
	s_or_b64 exec, exec, s[26:27]
.LBB63_314:
	s_or_b64 exec, exec, s[20:21]
	global_store_byte v[0:1], v7, off
.LBB63_315:
	s_mov_b64 s[20:21], -1
.LBB63_316:
	s_mov_b64 s[24:25], 0
.LBB63_317:
	s_and_b64 vcc, exec, s[24:25]
	s_cbranch_vccz .LBB63_358
; %bb.318:
	s_cmp_gt_i32 s29, 22
	s_mov_b64 s[24:25], -1
	s_cbranch_scc0 .LBB63_350
; %bb.319:
	s_cmp_lt_i32 s29, 24
	s_mov_b64 s[20:21], -1
	s_cbranch_scc1 .LBB63_339
; %bb.320:
	s_cmp_gt_i32 s29, 24
	s_cbranch_scc0 .LBB63_328
; %bb.321:
	v_lshlrev_b32_e32 v6, 16, v3
	v_and_b32_e32 v5, 0x7fffffff, v6
	s_mov_b32 s20, 0x47800000
	v_cmp_gt_u32_e32 vcc, s20, v5
	v_mov_b32_e32 v7, 0x80
	s_and_saveexec_b64 s[20:21], vcc
	s_cbranch_execz .LBB63_327
; %bb.322:
	s_mov_b32 s24, 0x37ffffff
	v_and_b32_e32 v4, 0xffff, v3
	v_cmp_lt_u32_e32 vcc, s24, v5
	s_mov_b64 s[24:25], 0
                                        ; implicit-def: $vgpr5
	s_and_saveexec_b64 s[26:27], vcc
	s_xor_b64 s[26:27], exec, s[26:27]
	s_cbranch_execz .LBB63_530
; %bb.323:
	v_bfe_u32 v5, v4, 5, 1
	s_mov_b32 s30, 0x88fffff
	v_add3_u32 v5, v6, v5, s30
	s_mov_b64 s[24:25], exec
	v_lshrrev_b32_e32 v5, 21, v5
                                        ; implicit-def: $vgpr6
	s_andn2_saveexec_b64 s[26:27], s[26:27]
	s_cbranch_execnz .LBB63_531
.LBB63_324:
	s_or_b64 exec, exec, s[26:27]
	v_mov_b32_e32 v7, 0
	s_and_saveexec_b64 s[26:27], s[24:25]
.LBB63_325:
	v_lshrrev_b32_e32 v4, 8, v4
	s_movk_i32 s24, 0x80
	v_and_or_b32 v7, v4, s24, v5
.LBB63_326:
	s_or_b64 exec, exec, s[26:27]
.LBB63_327:
	s_or_b64 exec, exec, s[20:21]
	s_mov_b64 s[20:21], 0
	global_store_byte v[0:1], v7, off
.LBB63_328:
	s_and_b64 vcc, exec, s[20:21]
	s_cbranch_vccz .LBB63_338
; %bb.329:
	v_lshlrev_b32_e32 v6, 16, v3
	v_and_b32_e32 v7, 0x7fffffff, v6
	s_mov_b32 s20, 0x43f00000
	v_and_b32_e32 v4, 0xffff, v3
	v_cmp_gt_u32_e32 vcc, s20, v7
                                        ; implicit-def: $vgpr5
	s_and_saveexec_b64 s[20:21], vcc
	s_xor_b64 s[20:21], exec, s[20:21]
	s_cbranch_execz .LBB63_335
; %bb.330:
	s_mov_b32 s24, 0x3c7fffff
	v_cmp_lt_u32_e32 vcc, s24, v7
                                        ; implicit-def: $vgpr5
	s_and_saveexec_b64 s[24:25], vcc
	s_xor_b64 s[24:25], exec, s[24:25]
; %bb.331:
	v_bfe_u32 v5, v4, 4, 1
	s_mov_b32 s26, 0x407ffff
	v_add3_u32 v5, v6, v5, s26
	v_lshrrev_b32_e32 v6, 20, v5
	v_and_b32_e32 v5, 0xff00000, v5
	s_mov_b32 s26, 0x7f00000
	v_mov_b32_e32 v7, 0x7e
	v_cmp_ne_u32_e32 vcc, s26, v5
	v_cndmask_b32_e32 v5, v7, v6, vcc
                                        ; implicit-def: $vgpr6
; %bb.332:
	s_andn2_saveexec_b64 s[24:25], s[24:25]
; %bb.333:
	s_mov_b32 s26, 0x46800000
	v_add_f32_e64 v5, |v6|, s26
; %bb.334:
	s_or_b64 exec, exec, s[24:25]
                                        ; implicit-def: $vgpr7
.LBB63_335:
	s_andn2_saveexec_b64 s[20:21], s[20:21]
; %bb.336:
	s_mov_b32 s24, 0x7f800000
	v_mov_b32_e32 v5, 0x7e
	v_mov_b32_e32 v6, 0x7f
	v_cmp_lt_u32_e32 vcc, s24, v7
	v_cndmask_b32_e32 v5, v5, v6, vcc
; %bb.337:
	s_or_b64 exec, exec, s[20:21]
	v_lshrrev_b32_e32 v4, 8, v4
	s_movk_i32 s20, 0x80
	v_and_or_b32 v4, v4, s20, v5
	global_store_byte v[0:1], v4, off
.LBB63_338:
	s_mov_b64 s[20:21], 0
.LBB63_339:
	s_andn2_b64 vcc, exec, s[20:21]
	s_cbranch_vccnz .LBB63_349
; %bb.340:
	v_lshlrev_b32_e32 v6, 16, v3
	v_and_b32_e32 v7, 0x7fffffff, v6
	s_mov_b32 s20, 0x47800000
	v_and_b32_e32 v4, 0xffff, v3
	v_cmp_gt_u32_e32 vcc, s20, v7
                                        ; implicit-def: $vgpr5
	s_and_saveexec_b64 s[20:21], vcc
	s_xor_b64 s[20:21], exec, s[20:21]
	s_cbranch_execz .LBB63_346
; %bb.341:
	s_mov_b32 s24, 0x387fffff
	v_cmp_lt_u32_e32 vcc, s24, v7
                                        ; implicit-def: $vgpr5
	s_and_saveexec_b64 s[24:25], vcc
	s_xor_b64 s[24:25], exec, s[24:25]
; %bb.342:
	v_bfe_u32 v5, v4, 5, 1
	s_mov_b32 s26, 0x80fffff
	v_add3_u32 v5, v6, v5, s26
	v_lshrrev_b32_e32 v5, 21, v5
                                        ; implicit-def: $vgpr6
; %bb.343:
	s_andn2_saveexec_b64 s[24:25], s[24:25]
; %bb.344:
	s_mov_b32 s26, 0x43000000
	v_add_f32_e64 v5, |v6|, s26
; %bb.345:
	s_or_b64 exec, exec, s[24:25]
                                        ; implicit-def: $vgpr7
.LBB63_346:
	s_andn2_saveexec_b64 s[20:21], s[20:21]
; %bb.347:
	s_mov_b32 s24, 0x7f800000
	v_mov_b32_e32 v5, 0x7c
	v_mov_b32_e32 v6, 0x7f
	v_cmp_lt_u32_e32 vcc, s24, v7
	v_cndmask_b32_e32 v5, v5, v6, vcc
; %bb.348:
	s_or_b64 exec, exec, s[20:21]
	v_lshrrev_b32_e32 v4, 8, v4
	s_movk_i32 s20, 0x80
	v_and_or_b32 v4, v4, s20, v5
	global_store_byte v[0:1], v4, off
.LBB63_349:
	s_mov_b64 s[24:25], 0
	s_mov_b64 s[20:21], -1
.LBB63_350:
	s_andn2_b64 vcc, exec, s[24:25]
	s_cbranch_vccnz .LBB63_358
; %bb.351:
	s_cmp_gt_i32 s29, 14
	s_mov_b64 s[24:25], -1
	s_cbranch_scc0 .LBB63_355
; %bb.352:
	s_cmp_eq_u32 s29, 15
	s_mov_b64 s[0:1], -1
	s_cbranch_scc0 .LBB63_354
; %bb.353:
	global_store_short v[0:1], v3, off
	s_mov_b64 s[20:21], -1
	s_mov_b64 s[0:1], 0
.LBB63_354:
	s_mov_b64 s[24:25], 0
.LBB63_355:
	s_and_b64 vcc, exec, s[24:25]
	s_cbranch_vccz .LBB63_358
; %bb.356:
	s_cmp_eq_u32 s29, 11
	s_mov_b64 s[0:1], -1
	s_cbranch_scc0 .LBB63_358
; %bb.357:
	v_and_b32_e32 v4, 0x7fff, v3
	v_cmp_ne_u16_e32 vcc, 0, v4
	v_cndmask_b32_e64 v4, 0, 1, vcc
	s_mov_b64 s[20:21], -1
	s_mov_b64 s[0:1], 0
	global_store_byte v[0:1], v4, off
.LBB63_358:
	s_mov_b64 s[24:25], 0
.LBB63_359:
	s_and_b64 vcc, exec, s[24:25]
	s_cbranch_vccz .LBB63_398
; %bb.360:
	s_and_b32 s24, 0xffff, s28
	s_cmp_lt_i32 s24, 5
	s_mov_b64 s[20:21], -1
	s_cbranch_scc1 .LBB63_381
; %bb.361:
	s_cmp_lt_i32 s24, 8
	s_cbranch_scc1 .LBB63_371
; %bb.362:
	s_cmp_lt_i32 s24, 9
	s_cbranch_scc1 .LBB63_368
; %bb.363:
	s_cmp_gt_i32 s24, 9
	s_cbranch_scc0 .LBB63_365
; %bb.364:
	v_lshlrev_b32_e32 v4, 16, v3
	v_cvt_f64_f32_e32 v[4:5], v4
	v_mov_b32_e32 v6, 0
	v_mov_b32_e32 v7, v6
	s_mov_b64 s[20:21], 0
	global_store_dwordx4 v[0:1], v[4:7], off
.LBB63_365:
	s_andn2_b64 vcc, exec, s[20:21]
	s_cbranch_vccnz .LBB63_367
; %bb.366:
	v_lshlrev_b32_e32 v4, 16, v3
	v_mov_b32_e32 v5, 0
	global_store_dwordx2 v[0:1], v[4:5], off
.LBB63_367:
	s_mov_b64 s[20:21], 0
.LBB63_368:
	s_andn2_b64 vcc, exec, s[20:21]
	s_cbranch_vccnz .LBB63_370
; %bb.369:
	v_lshlrev_b32_e32 v4, 16, v3
	v_cvt_f16_f32_e32 v4, v4
	global_store_dword v[0:1], v4, off
.LBB63_370:
	s_mov_b64 s[20:21], 0
.LBB63_371:
	s_andn2_b64 vcc, exec, s[20:21]
	s_cbranch_vccnz .LBB63_380
; %bb.372:
	s_cmp_lt_i32 s24, 6
	s_mov_b64 s[20:21], -1
	s_cbranch_scc1 .LBB63_378
; %bb.373:
	s_cmp_gt_i32 s24, 6
	s_cbranch_scc0 .LBB63_375
; %bb.374:
	v_lshlrev_b32_e32 v4, 16, v3
	v_cvt_f64_f32_e32 v[4:5], v4
	s_mov_b64 s[20:21], 0
	global_store_dwordx2 v[0:1], v[4:5], off
.LBB63_375:
	s_andn2_b64 vcc, exec, s[20:21]
	s_cbranch_vccnz .LBB63_377
; %bb.376:
	v_lshlrev_b32_e32 v4, 16, v3
	global_store_dword v[0:1], v4, off
.LBB63_377:
	s_mov_b64 s[20:21], 0
.LBB63_378:
	s_andn2_b64 vcc, exec, s[20:21]
	s_cbranch_vccnz .LBB63_380
; %bb.379:
	v_lshlrev_b32_e32 v4, 16, v3
	v_cvt_f16_f32_e32 v4, v4
	global_store_short v[0:1], v4, off
.LBB63_380:
	s_mov_b64 s[20:21], 0
.LBB63_381:
	s_andn2_b64 vcc, exec, s[20:21]
	s_cbranch_vccnz .LBB63_397
; %bb.382:
	s_cmp_lt_i32 s24, 2
	s_mov_b64 s[20:21], -1
	s_cbranch_scc1 .LBB63_392
; %bb.383:
	s_cmp_lt_i32 s24, 3
	s_cbranch_scc1 .LBB63_389
; %bb.384:
	s_cmp_gt_i32 s24, 3
	s_cbranch_scc0 .LBB63_386
; %bb.385:
	v_lshlrev_b32_e32 v4, 16, v3
	v_trunc_f32_e32 v4, v4
	s_mov_b32 s20, 0x2f800000
	v_mul_f32_e64 v5, |v4|, s20
	v_floor_f32_e32 v5, v5
	s_mov_b32 s20, 0xcf800000
	v_cvt_u32_f32_e32 v6, v5
	v_fma_f32 v5, v5, s20, |v4|
	v_cvt_u32_f32_e32 v5, v5
	v_ashrrev_i32_e32 v7, 31, v4
	v_xor_b32_e32 v6, v6, v7
	s_mov_b64 s[20:21], 0
	v_xor_b32_e32 v4, v5, v7
	v_sub_co_u32_e32 v4, vcc, v4, v7
	v_subb_co_u32_e32 v5, vcc, v6, v7, vcc
	global_store_dwordx2 v[0:1], v[4:5], off
.LBB63_386:
	s_andn2_b64 vcc, exec, s[20:21]
	s_cbranch_vccnz .LBB63_388
; %bb.387:
	v_lshlrev_b32_e32 v4, 16, v3
	v_cvt_i32_f32_e32 v4, v4
	global_store_dword v[0:1], v4, off
.LBB63_388:
	s_mov_b64 s[20:21], 0
.LBB63_389:
	s_andn2_b64 vcc, exec, s[20:21]
	s_cbranch_vccnz .LBB63_391
; %bb.390:
	v_lshlrev_b32_e32 v4, 16, v3
	v_cvt_i32_f32_e32 v4, v4
	global_store_short v[0:1], v4, off
.LBB63_391:
	s_mov_b64 s[20:21], 0
.LBB63_392:
	s_andn2_b64 vcc, exec, s[20:21]
	s_cbranch_vccnz .LBB63_397
; %bb.393:
	s_mov_b64 s[20:21], -1
	s_cmp_gt_i32 s24, 0
	v_lshlrev_b32_e32 v3, 16, v3
	s_cbranch_scc0 .LBB63_395
; %bb.394:
	v_cvt_i32_f32_e32 v4, v3
	s_mov_b64 s[20:21], 0
	global_store_byte v[0:1], v4, off
.LBB63_395:
	s_andn2_b64 vcc, exec, s[20:21]
	s_cbranch_vccnz .LBB63_397
; %bb.396:
	v_trunc_f32_e32 v3, v3
	s_mov_b32 s20, 0x2f800000
	v_mul_f32_e64 v4, |v3|, s20
	v_floor_f32_e32 v4, v4
	s_mov_b32 s20, 0xcf800000
	v_fma_f32 v4, v4, s20, |v3|
	v_cvt_u32_f32_e32 v4, v4
	v_ashrrev_i32_e32 v3, 31, v3
	v_xor_b32_e32 v4, v4, v3
	v_sub_u32_e32 v3, v4, v3
	global_store_byte v[0:1], v3, off
.LBB63_397:
	s_mov_b64 s[20:21], -1
.LBB63_398:
	s_andn2_b64 vcc, exec, s[20:21]
	s_cbranch_vccnz .LBB63_400
; %bb.399:
	v_add_u32_e32 v2, 0x80, v2
	s_mov_b64 s[24:25], -1
	s_branch .LBB63_513
.LBB63_400:
	s_mov_b64 s[24:25], 0
	s_branch .LBB63_512
.LBB63_401:
	s_mov_b64 s[18:19], -1
                                        ; implicit-def: $vgpr3
.LBB63_402:
	s_mov_b64 s[20:21], 0
.LBB63_403:
	s_and_b64 vcc, exec, s[20:21]
	s_cbranch_vccz .LBB63_407
; %bb.404:
	s_cmp_eq_u32 s26, 29
	s_cbranch_scc0 .LBB63_406
; %bb.405:
	global_load_dwordx2 v[3:4], v[0:1], off
	s_movk_i32 s18, 0x7fff
	s_mov_b64 s[0:1], -1
	s_mov_b64 s[20:21], 0
	s_waitcnt vmcnt(0)
	v_ffbh_u32_e32 v5, v4
	v_min_u32_e32 v5, 32, v5
	v_lshlrev_b64 v[3:4], v5, v[3:4]
	v_min_u32_e32 v3, 1, v3
	v_or_b32_e32 v3, v4, v3
	v_cvt_f32_u32_e32 v3, v3
	v_sub_u32_e32 v4, 32, v5
	v_ldexp_f32 v3, v3, v4
	v_bfe_u32 v4, v3, 16, 1
	v_add3_u32 v3, v3, v4, s18
	v_lshrrev_b32_e32 v3, 16, v3
	s_mov_b64 s[18:19], 0
	s_branch .LBB63_408
.LBB63_406:
	s_mov_b64 s[18:19], -1
                                        ; implicit-def: $vgpr3
.LBB63_407:
	s_mov_b64 s[20:21], 0
.LBB63_408:
	s_and_b64 vcc, exec, s[20:21]
	s_cbranch_vccz .LBB63_426
; %bb.409:
	s_cmp_lt_i32 s26, 27
	s_cbranch_scc1 .LBB63_412
; %bb.410:
	s_cmp_gt_i32 s26, 27
	s_cbranch_scc0 .LBB63_413
; %bb.411:
	global_load_dword v3, v[0:1], off
	s_movk_i32 s0, 0x7fff
	s_waitcnt vmcnt(0)
	v_cvt_f32_u32_e32 v3, v3
	v_bfe_u32 v4, v3, 16, 1
	v_add3_u32 v3, v3, v4, s0
	v_lshrrev_b32_e32 v3, 16, v3
	s_mov_b64 s[0:1], 0
	s_branch .LBB63_414
.LBB63_412:
	s_mov_b64 s[0:1], -1
                                        ; implicit-def: $vgpr3
	s_branch .LBB63_417
.LBB63_413:
	s_mov_b64 s[0:1], -1
                                        ; implicit-def: $vgpr3
.LBB63_414:
	s_andn2_b64 vcc, exec, s[0:1]
	s_cbranch_vccnz .LBB63_416
; %bb.415:
	global_load_ushort v3, v[0:1], off
	s_movk_i32 s0, 0x7fff
	s_waitcnt vmcnt(0)
	v_cvt_f32_u32_e32 v3, v3
	v_bfe_u32 v4, v3, 16, 1
	v_add3_u32 v3, v3, v4, s0
	v_lshrrev_b32_e32 v3, 16, v3
.LBB63_416:
	s_mov_b64 s[0:1], 0
.LBB63_417:
	s_andn2_b64 vcc, exec, s[0:1]
	s_cbranch_vccnz .LBB63_425
; %bb.418:
	global_load_ubyte v3, v[0:1], off
	s_movk_i32 s0, 0x7f
	s_waitcnt vmcnt(0)
	v_cmp_lt_i16_e32 vcc, s0, v3
	s_mov_b64 s[0:1], 0
	s_and_saveexec_b64 s[20:21], vcc
	s_xor_b64 s[20:21], exec, s[20:21]
	s_cbranch_execz .LBB63_439
; %bb.419:
	s_movk_i32 s0, 0x80
	v_cmp_eq_u16_e32 vcc, s0, v3
	s_mov_b64 s[0:1], -1
	s_and_saveexec_b64 s[24:25], vcc
; %bb.420:
	s_xor_b64 s[0:1], exec, -1
; %bb.421:
	s_or_b64 exec, exec, s[24:25]
	s_and_b64 s[0:1], s[0:1], exec
	s_or_saveexec_b64 s[20:21], s[20:21]
	v_mov_b32_e32 v4, 0x7f800001
	s_xor_b64 exec, exec, s[20:21]
	s_cbranch_execnz .LBB63_440
.LBB63_422:
	s_or_b64 exec, exec, s[20:21]
	s_and_saveexec_b64 s[20:21], s[0:1]
	s_cbranch_execz .LBB63_424
.LBB63_423:
	v_lshlrev_b32_e32 v4, 24, v3
	v_and_b32_e32 v3, 0xffff, v3
	v_and_b32_e32 v5, 7, v3
	v_ffbh_u32_e32 v7, v5
	v_min_u32_e32 v7, 32, v7
	v_subrev_u32_e32 v8, 28, v7
	v_bfe_u32 v6, v3, 3, 4
	v_lshlrev_b32_e32 v3, v8, v3
	v_sub_u32_e32 v7, 29, v7
	v_and_b32_e32 v3, 7, v3
	v_cmp_eq_u32_e32 vcc, 0, v6
	v_cndmask_b32_e32 v6, v6, v7, vcc
	v_cndmask_b32_e32 v3, v5, v3, vcc
	v_mov_b32_e32 v5, 0x3b800000
	v_lshlrev_b32_e32 v3, 20, v3
	v_and_b32_e32 v4, 0x80000000, v4
	v_lshl_add_u32 v5, v6, 23, v5
	v_or3_b32 v4, v4, v5, v3
.LBB63_424:
	s_or_b64 exec, exec, s[20:21]
	v_bfe_u32 v3, v4, 16, 1
	s_movk_i32 s0, 0x7fff
	v_add3_u32 v3, v4, v3, s0
	v_cmp_o_f32_e32 vcc, v4, v4
	v_mov_b32_e32 v4, 0x7fc0
	v_cndmask_b32_sdwa v3, v4, v3, vcc dst_sel:DWORD dst_unused:UNUSED_PAD src0_sel:DWORD src1_sel:WORD_1
.LBB63_425:
	s_mov_b64 s[0:1], -1
.LBB63_426:
	s_mov_b64 s[20:21], 0
.LBB63_427:
	s_and_b64 vcc, exec, s[20:21]
	s_cbranch_vccz .LBB63_462
; %bb.428:
	s_cmp_gt_i32 s26, 22
	s_cbranch_scc0 .LBB63_438
; %bb.429:
	s_cmp_lt_i32 s26, 24
	s_cbranch_scc1 .LBB63_441
; %bb.430:
	s_cmp_gt_i32 s26, 24
	s_cbranch_scc0 .LBB63_442
; %bb.431:
	global_load_ubyte v3, v[0:1], off
	s_movk_i32 s0, 0x7f
	s_waitcnt vmcnt(0)
	v_cmp_lt_i16_e32 vcc, s0, v3
	s_mov_b64 s[0:1], 0
	s_and_saveexec_b64 s[20:21], vcc
	s_xor_b64 s[20:21], exec, s[20:21]
	s_cbranch_execz .LBB63_454
; %bb.432:
	s_movk_i32 s0, 0x80
	v_cmp_eq_u16_e32 vcc, s0, v3
	s_mov_b64 s[0:1], -1
	s_and_saveexec_b64 s[24:25], vcc
; %bb.433:
	s_xor_b64 s[0:1], exec, -1
; %bb.434:
	s_or_b64 exec, exec, s[24:25]
	s_and_b64 s[0:1], s[0:1], exec
	s_or_saveexec_b64 s[20:21], s[20:21]
	v_mov_b32_e32 v4, 0x7f800001
	s_xor_b64 exec, exec, s[20:21]
	s_cbranch_execnz .LBB63_455
.LBB63_435:
	s_or_b64 exec, exec, s[20:21]
	s_and_saveexec_b64 s[20:21], s[0:1]
	s_cbranch_execz .LBB63_437
.LBB63_436:
	v_lshlrev_b32_e32 v4, 24, v3
	v_and_b32_e32 v3, 0xffff, v3
	v_and_b32_e32 v5, 3, v3
	v_ffbh_u32_e32 v7, v5
	v_min_u32_e32 v7, 32, v7
	v_subrev_u32_e32 v8, 29, v7
	v_bfe_u32 v6, v3, 2, 5
	v_lshlrev_b32_e32 v3, v8, v3
	v_sub_u32_e32 v7, 30, v7
	v_and_b32_e32 v3, 3, v3
	v_cmp_eq_u32_e32 vcc, 0, v6
	v_cndmask_b32_e32 v6, v6, v7, vcc
	v_cndmask_b32_e32 v3, v5, v3, vcc
	v_mov_b32_e32 v5, 0x37800000
	v_lshlrev_b32_e32 v3, 21, v3
	v_and_b32_e32 v4, 0x80000000, v4
	v_lshl_add_u32 v5, v6, 23, v5
	v_or3_b32 v4, v4, v5, v3
.LBB63_437:
	s_or_b64 exec, exec, s[20:21]
	v_bfe_u32 v3, v4, 16, 1
	s_movk_i32 s0, 0x7fff
	v_add3_u32 v3, v4, v3, s0
	v_cmp_o_f32_e32 vcc, v4, v4
	v_mov_b32_e32 v4, 0x7fc0
	v_cndmask_b32_sdwa v3, v4, v3, vcc dst_sel:DWORD dst_unused:UNUSED_PAD src0_sel:DWORD src1_sel:WORD_1
	s_mov_b64 s[0:1], 0
	s_branch .LBB63_443
.LBB63_438:
	s_mov_b64 s[20:21], -1
                                        ; implicit-def: $vgpr3
	s_branch .LBB63_449
.LBB63_439:
	s_or_saveexec_b64 s[20:21], s[20:21]
	v_mov_b32_e32 v4, 0x7f800001
	s_xor_b64 exec, exec, s[20:21]
	s_cbranch_execz .LBB63_422
.LBB63_440:
	v_cmp_ne_u16_e32 vcc, 0, v3
	s_andn2_b64 s[0:1], s[0:1], exec
	s_and_b64 s[24:25], vcc, exec
	v_mov_b32_e32 v4, 0
	s_or_b64 s[0:1], s[0:1], s[24:25]
	s_or_b64 exec, exec, s[20:21]
	s_and_saveexec_b64 s[20:21], s[0:1]
	s_cbranch_execnz .LBB63_423
	s_branch .LBB63_424
.LBB63_441:
	s_mov_b64 s[0:1], -1
                                        ; implicit-def: $vgpr3
	s_branch .LBB63_446
.LBB63_442:
	s_mov_b64 s[0:1], -1
                                        ; implicit-def: $vgpr3
.LBB63_443:
	s_and_b64 vcc, exec, s[0:1]
	s_cbranch_vccz .LBB63_445
; %bb.444:
	global_load_ubyte v3, v[0:1], off
	s_mov_b32 s0, 0x7f800000
	s_brev_b32 s1, 1
	s_movk_i32 s20, 0x7fff
	s_waitcnt vmcnt(0)
	v_lshlrev_b32_e32 v3, 24, v3
	v_and_b32_e32 v4, 0x7f000000, v3
	v_ffbh_u32_e32 v5, v4
	v_min_u32_e32 v5, 32, v5
	v_sub_u32_e64 v5, v5, 4 clamp
	v_lshlrev_b32_e32 v7, v5, v4
	v_lshlrev_b32_e32 v5, 23, v5
	v_lshrrev_b32_e32 v7, 4, v7
	v_add_u32_e32 v6, 0x1000000, v4
	v_sub_u32_e32 v5, v7, v5
	v_ashrrev_i32_e32 v6, 8, v6
	v_add_u32_e32 v5, 0x3c000000, v5
	v_and_or_b32 v5, v6, s0, v5
	v_cmp_ne_u32_e32 vcc, 0, v4
	v_cndmask_b32_e32 v4, 0, v5, vcc
	v_and_or_b32 v3, v3, s1, v4
	v_bfe_u32 v4, v4, 16, 1
	v_add3_u32 v4, v3, v4, s20
	v_cmp_o_f32_e32 vcc, v3, v3
	v_mov_b32_e32 v3, 0x7fc0
	v_cndmask_b32_sdwa v3, v3, v4, vcc dst_sel:DWORD dst_unused:UNUSED_PAD src0_sel:DWORD src1_sel:WORD_1
.LBB63_445:
	s_mov_b64 s[0:1], 0
.LBB63_446:
	s_andn2_b64 vcc, exec, s[0:1]
	s_cbranch_vccnz .LBB63_448
; %bb.447:
	global_load_ubyte v3, v[0:1], off
	s_movk_i32 s0, 0x7f00
	s_brev_b32 s1, 16
	s_brev_b32 s20, 1
	s_movk_i32 s21, 0x7fff
	s_waitcnt vmcnt(0)
	v_lshlrev_b16_e32 v4, 8, v3
	v_lshlrev_b32_e32 v3, 25, v3
	v_lshrrev_b32_e32 v5, 4, v3
	v_and_or_b32 v6, v4, s0, 0.5
	v_or_b32_e32 v5, 0x70000000, v5
	v_add_f32_e32 v6, -0.5, v6
	v_mul_f32_e32 v5, 0x7800000, v5
	v_cmp_gt_u32_e32 vcc, s1, v3
	v_bfe_i32 v4, v4, 0, 16
	v_cndmask_b32_e32 v3, v5, v6, vcc
	v_and_or_b32 v4, v4, s20, v3
	v_bfe_u32 v3, v3, 16, 1
	v_add3_u32 v3, v4, v3, s21
	v_cmp_o_f32_e32 vcc, v4, v4
	v_mov_b32_e32 v4, 0x7fc0
	v_cndmask_b32_sdwa v3, v4, v3, vcc dst_sel:DWORD dst_unused:UNUSED_PAD src0_sel:DWORD src1_sel:WORD_1
.LBB63_448:
	s_mov_b64 s[20:21], 0
	s_mov_b64 s[0:1], -1
.LBB63_449:
	s_andn2_b64 vcc, exec, s[20:21]
	s_cbranch_vccnz .LBB63_462
; %bb.450:
	s_cmp_gt_i32 s26, 14
	s_cbranch_scc0 .LBB63_453
; %bb.451:
	s_cmp_eq_u32 s26, 15
	s_cbranch_scc0 .LBB63_456
; %bb.452:
	global_load_ushort v3, v[0:1], off
	s_mov_b64 s[0:1], -1
	s_mov_b64 s[18:19], 0
	s_branch .LBB63_457
.LBB63_453:
	s_mov_b64 s[20:21], -1
                                        ; implicit-def: $vgpr3
	s_branch .LBB63_458
.LBB63_454:
	s_or_saveexec_b64 s[20:21], s[20:21]
	v_mov_b32_e32 v4, 0x7f800001
	s_xor_b64 exec, exec, s[20:21]
	s_cbranch_execz .LBB63_435
.LBB63_455:
	v_cmp_ne_u16_e32 vcc, 0, v3
	s_andn2_b64 s[0:1], s[0:1], exec
	s_and_b64 s[24:25], vcc, exec
	v_mov_b32_e32 v4, 0
	s_or_b64 s[0:1], s[0:1], s[24:25]
	s_or_b64 exec, exec, s[20:21]
	s_and_saveexec_b64 s[20:21], s[0:1]
	s_cbranch_execnz .LBB63_436
	s_branch .LBB63_437
.LBB63_456:
	s_mov_b64 s[18:19], -1
                                        ; implicit-def: $vgpr3
.LBB63_457:
	s_mov_b64 s[20:21], 0
.LBB63_458:
	s_and_b64 vcc, exec, s[20:21]
	s_cbranch_vccz .LBB63_462
; %bb.459:
	s_cmp_eq_u32 s26, 11
	s_cbranch_scc0 .LBB63_461
; %bb.460:
	global_load_ubyte v3, v[0:1], off
	s_mov_b64 s[0:1], -1
	s_mov_b64 s[18:19], 0
	s_waitcnt vmcnt(0)
	v_cmp_ne_u16_e32 vcc, 0, v3
	v_cndmask_b32_e64 v3, 0, 1.0, vcc
	v_lshrrev_b32_e32 v3, 16, v3
	s_branch .LBB63_462
.LBB63_461:
	s_mov_b64 s[18:19], -1
                                        ; implicit-def: $vgpr3
.LBB63_462:
	s_branch .LBB63_265
.LBB63_463:
	s_cmp_lt_i32 s26, 5
	s_cbranch_scc1 .LBB63_468
; %bb.464:
	s_cmp_lt_i32 s26, 8
	s_cbranch_scc1 .LBB63_469
; %bb.465:
	;; [unrolled: 3-line block ×3, first 2 shown]
	s_cmp_gt_i32 s26, 9
	s_cbranch_scc0 .LBB63_471
; %bb.467:
	global_load_dwordx2 v[3:4], v[0:1], off
	s_movk_i32 s0, 0x7fff
	s_waitcnt vmcnt(0)
	v_cvt_f32_f64_e32 v3, v[3:4]
	v_mov_b32_e32 v4, 0x7fc0
	v_bfe_u32 v5, v3, 16, 1
	v_cmp_o_f32_e32 vcc, v3, v3
	v_add3_u32 v3, v3, v5, s0
	v_cndmask_b32_sdwa v3, v4, v3, vcc dst_sel:DWORD dst_unused:UNUSED_PAD src0_sel:DWORD src1_sel:WORD_1
	s_mov_b64 s[0:1], 0
	s_branch .LBB63_472
.LBB63_468:
	s_mov_b64 s[0:1], -1
                                        ; implicit-def: $vgpr3
	s_branch .LBB63_490
.LBB63_469:
	s_mov_b64 s[0:1], -1
                                        ; implicit-def: $vgpr3
	s_branch .LBB63_478
.LBB63_470:
	s_mov_b64 s[0:1], -1
                                        ; implicit-def: $vgpr3
	s_branch .LBB63_475
.LBB63_471:
	s_mov_b64 s[0:1], -1
                                        ; implicit-def: $vgpr3
.LBB63_472:
	s_andn2_b64 vcc, exec, s[0:1]
	s_cbranch_vccnz .LBB63_474
; %bb.473:
	global_load_dword v3, v[0:1], off
	s_movk_i32 s0, 0x7fff
	v_mov_b32_e32 v4, 0x7fc0
	s_waitcnt vmcnt(0)
	v_bfe_u32 v5, v3, 16, 1
	v_cmp_o_f32_e32 vcc, v3, v3
	v_add3_u32 v3, v3, v5, s0
	v_cndmask_b32_sdwa v3, v4, v3, vcc dst_sel:DWORD dst_unused:UNUSED_PAD src0_sel:DWORD src1_sel:WORD_1
.LBB63_474:
	s_mov_b64 s[0:1], 0
.LBB63_475:
	s_andn2_b64 vcc, exec, s[0:1]
	s_cbranch_vccnz .LBB63_477
; %bb.476:
	global_load_dword v3, v[0:1], off
	s_movk_i32 s0, 0x7fff
	v_mov_b32_e32 v5, 0x7fc0
	s_waitcnt vmcnt(0)
	v_cvt_f32_f16_e32 v4, v3
	v_cmp_o_f16_e32 vcc, v3, v3
	v_bfe_u32 v3, v4, 16, 1
	v_add3_u32 v3, v4, v3, s0
	v_cndmask_b32_sdwa v3, v5, v3, vcc dst_sel:DWORD dst_unused:UNUSED_PAD src0_sel:DWORD src1_sel:WORD_1
.LBB63_477:
	s_mov_b64 s[0:1], 0
.LBB63_478:
	s_andn2_b64 vcc, exec, s[0:1]
	s_cbranch_vccnz .LBB63_489
; %bb.479:
	s_cmp_lt_i32 s26, 6
	s_cbranch_scc1 .LBB63_482
; %bb.480:
	s_cmp_gt_i32 s26, 6
	s_cbranch_scc0 .LBB63_483
; %bb.481:
	global_load_dwordx2 v[3:4], v[0:1], off
	s_movk_i32 s0, 0x7fff
	s_waitcnt vmcnt(0)
	v_cvt_f32_f64_e32 v3, v[3:4]
	v_mov_b32_e32 v4, 0x7fc0
	v_bfe_u32 v5, v3, 16, 1
	v_cmp_o_f32_e32 vcc, v3, v3
	v_add3_u32 v3, v3, v5, s0
	v_cndmask_b32_sdwa v3, v4, v3, vcc dst_sel:DWORD dst_unused:UNUSED_PAD src0_sel:DWORD src1_sel:WORD_1
	s_mov_b64 s[0:1], 0
	s_branch .LBB63_484
.LBB63_482:
	s_mov_b64 s[0:1], -1
                                        ; implicit-def: $vgpr3
	s_branch .LBB63_487
.LBB63_483:
	s_mov_b64 s[0:1], -1
                                        ; implicit-def: $vgpr3
.LBB63_484:
	s_andn2_b64 vcc, exec, s[0:1]
	s_cbranch_vccnz .LBB63_486
; %bb.485:
	global_load_dword v3, v[0:1], off
	s_movk_i32 s0, 0x7fff
	v_mov_b32_e32 v4, 0x7fc0
	s_waitcnt vmcnt(0)
	v_bfe_u32 v5, v3, 16, 1
	v_cmp_o_f32_e32 vcc, v3, v3
	v_add3_u32 v3, v3, v5, s0
	v_cndmask_b32_sdwa v3, v4, v3, vcc dst_sel:DWORD dst_unused:UNUSED_PAD src0_sel:DWORD src1_sel:WORD_1
.LBB63_486:
	s_mov_b64 s[0:1], 0
.LBB63_487:
	s_andn2_b64 vcc, exec, s[0:1]
	s_cbranch_vccnz .LBB63_489
; %bb.488:
	global_load_ushort v3, v[0:1], off
	s_movk_i32 s0, 0x7fff
	v_mov_b32_e32 v5, 0x7fc0
	s_waitcnt vmcnt(0)
	v_cvt_f32_f16_e32 v4, v3
	v_cmp_o_f16_e32 vcc, v3, v3
	v_bfe_u32 v3, v4, 16, 1
	v_add3_u32 v3, v4, v3, s0
	v_cndmask_b32_sdwa v3, v5, v3, vcc dst_sel:DWORD dst_unused:UNUSED_PAD src0_sel:DWORD src1_sel:WORD_1
.LBB63_489:
	s_mov_b64 s[0:1], 0
.LBB63_490:
	s_andn2_b64 vcc, exec, s[0:1]
	s_cbranch_vccnz .LBB63_510
; %bb.491:
	s_cmp_lt_i32 s26, 2
	s_cbranch_scc1 .LBB63_495
; %bb.492:
	s_cmp_lt_i32 s26, 3
	s_cbranch_scc1 .LBB63_496
; %bb.493:
	s_cmp_gt_i32 s26, 3
	s_cbranch_scc0 .LBB63_497
; %bb.494:
	global_load_dwordx2 v[3:4], v[0:1], off
	s_movk_i32 s0, 0x7fff
	s_waitcnt vmcnt(0)
	v_xor_b32_e32 v6, v3, v4
	v_ffbh_i32_e32 v5, v4
	v_ashrrev_i32_e32 v6, 31, v6
	v_add_u32_e32 v5, -1, v5
	v_add_u32_e32 v6, 32, v6
	v_min_u32_e32 v5, v5, v6
	v_lshlrev_b64 v[3:4], v5, v[3:4]
	v_min_u32_e32 v3, 1, v3
	v_or_b32_e32 v3, v4, v3
	v_cvt_f32_i32_e32 v3, v3
	v_sub_u32_e32 v4, 32, v5
	v_ldexp_f32 v3, v3, v4
	v_bfe_u32 v4, v3, 16, 1
	v_add3_u32 v3, v3, v4, s0
	v_lshrrev_b32_e32 v3, 16, v3
	s_mov_b64 s[0:1], 0
	s_branch .LBB63_498
.LBB63_495:
	s_mov_b64 s[0:1], -1
                                        ; implicit-def: $vgpr3
	s_branch .LBB63_504
.LBB63_496:
	s_mov_b64 s[0:1], -1
                                        ; implicit-def: $vgpr3
	s_branch .LBB63_501
.LBB63_497:
	s_mov_b64 s[0:1], -1
                                        ; implicit-def: $vgpr3
.LBB63_498:
	s_andn2_b64 vcc, exec, s[0:1]
	s_cbranch_vccnz .LBB63_500
; %bb.499:
	global_load_dword v3, v[0:1], off
	s_movk_i32 s0, 0x7fff
	s_waitcnt vmcnt(0)
	v_cvt_f32_i32_e32 v3, v3
	v_bfe_u32 v4, v3, 16, 1
	v_add3_u32 v3, v3, v4, s0
	v_lshrrev_b32_e32 v3, 16, v3
.LBB63_500:
	s_mov_b64 s[0:1], 0
.LBB63_501:
	s_andn2_b64 vcc, exec, s[0:1]
	s_cbranch_vccnz .LBB63_503
; %bb.502:
	global_load_sshort v3, v[0:1], off
	s_movk_i32 s0, 0x7fff
	s_waitcnt vmcnt(0)
	v_cvt_f32_i32_e32 v3, v3
	v_bfe_u32 v4, v3, 16, 1
	v_add3_u32 v3, v3, v4, s0
	v_lshrrev_b32_e32 v3, 16, v3
.LBB63_503:
	s_mov_b64 s[0:1], 0
.LBB63_504:
	s_andn2_b64 vcc, exec, s[0:1]
	s_cbranch_vccnz .LBB63_510
; %bb.505:
	s_cmp_gt_i32 s26, 0
	s_cbranch_scc0 .LBB63_507
; %bb.506:
	global_load_sbyte v3, v[0:1], off
	s_movk_i32 s0, 0x7fff
	s_waitcnt vmcnt(0)
	v_cvt_f32_i32_e32 v3, v3
	v_bfe_u32 v4, v3, 16, 1
	v_add3_u32 v3, v3, v4, s0
	v_lshrrev_b32_e32 v3, 16, v3
	s_mov_b64 s[0:1], 0
	s_branch .LBB63_508
.LBB63_507:
	s_mov_b64 s[0:1], -1
                                        ; implicit-def: $vgpr3
.LBB63_508:
	s_andn2_b64 vcc, exec, s[0:1]
	s_cbranch_vccnz .LBB63_510
; %bb.509:
	global_load_ubyte v0, v[0:1], off
	s_movk_i32 s0, 0x7fff
	s_waitcnt vmcnt(0)
	v_cvt_f32_ubyte0_e32 v0, v0
	v_bfe_u32 v1, v0, 16, 1
	v_add3_u32 v0, v0, v1, s0
	v_lshrrev_b32_e32 v3, 16, v0
.LBB63_510:
	s_branch .LBB63_266
.LBB63_511:
	s_mov_b64 s[24:25], 0
	s_mov_b64 s[0:1], s[6:7]
.LBB63_512:
                                        ; implicit-def: $vgpr2
.LBB63_513:
	s_andn2_b64 s[20:21], s[6:7], exec
	s_and_b64 s[0:1], s[0:1], exec
	s_or_b64 s[20:21], s[20:21], s[0:1]
	s_andn2_b64 s[0:1], s[14:15], exec
	s_and_b64 s[18:19], s[18:19], exec
	s_or_b64 s[18:19], s[0:1], s[18:19]
	s_orn2_b64 s[0:1], s[24:25], exec
.LBB63_514:
	s_or_b64 exec, exec, s[22:23]
	s_mov_b64 s[24:25], 0
	s_mov_b64 s[26:27], 0
	;; [unrolled: 1-line block ×3, first 2 shown]
                                        ; implicit-def: $vgpr0_vgpr1
                                        ; implicit-def: $vgpr4
	s_and_saveexec_b64 s[22:23], s[0:1]
	s_cbranch_execz .LBB63_860
; %bb.515:
	v_cmp_gt_i32_e32 vcc, s38, v2
	s_mov_b64 s[34:35], -1
	s_mov_b64 s[0:1], s[18:19]
	s_mov_b64 s[28:29], s[20:21]
	s_and_saveexec_b64 s[24:25], vcc
	s_cbranch_execz .LBB63_774
; %bb.516:
	v_mul_lo_u32 v0, v2, s3
	v_mov_b32_e32 v1, s11
	s_and_b32 s34, 0xffff, s42
	s_cmp_lt_i32 s34, 11
	s_waitcnt vmcnt(0)
	v_ashrrev_i32_e32 v3, 31, v0
	v_add_co_u32_e32 v0, vcc, s10, v0
	v_addc_co_u32_e32 v1, vcc, v1, v3, vcc
	s_cbranch_scc1 .LBB63_523
; %bb.517:
	s_cmp_gt_i32 s34, 25
	s_cbranch_scc0 .LBB63_524
; %bb.518:
	s_cmp_gt_i32 s34, 28
	s_cbranch_scc0 .LBB63_525
	;; [unrolled: 3-line block ×4, first 2 shown]
; %bb.521:
	s_cmp_eq_u32 s34, 46
	s_mov_b64 s[28:29], 0
	s_cbranch_scc0 .LBB63_532
; %bb.522:
	global_load_dword v3, v[0:1], off
	s_mov_b64 s[0:1], -1
	s_branch .LBB63_533
.LBB63_523:
	s_mov_b64 s[28:29], -1
	s_mov_b64 s[0:1], 0
                                        ; implicit-def: $vgpr3
	s_mov_b64 s[26:27], s[18:19]
	s_branch .LBB63_598
.LBB63_524:
	s_mov_b64 s[28:29], -1
	s_mov_b64 s[0:1], 0
	s_mov_b64 s[26:27], s[18:19]
                                        ; implicit-def: $vgpr3
	s_branch .LBB63_562
.LBB63_525:
	s_mov_b64 s[28:29], -1
	s_mov_b64 s[0:1], 0
	s_mov_b64 s[26:27], s[18:19]
                                        ; implicit-def: $vgpr3
	s_branch .LBB63_543
.LBB63_526:
	s_mov_b64 s[28:29], -1
	s_mov_b64 s[0:1], 0
	s_mov_b64 s[26:27], s[18:19]
                                        ; implicit-def: $vgpr3
	s_branch .LBB63_538
.LBB63_527:
	s_andn2_saveexec_b64 s[26:27], s[26:27]
	s_cbranch_execz .LBB63_311
.LBB63_528:
	s_mov_b32 s30, 0x46000000
	v_add_f32_e64 v5, |v6|, s30
	v_and_b32_e32 v5, 0xff, v5
	v_cmp_ne_u32_e32 vcc, 0, v5
	s_andn2_b64 s[24:25], s[24:25], exec
	s_and_b64 s[30:31], vcc, exec
	s_or_b64 s[24:25], s[24:25], s[30:31]
	s_or_b64 exec, exec, s[26:27]
	v_mov_b32_e32 v7, 0
	s_and_saveexec_b64 s[26:27], s[24:25]
	s_cbranch_execnz .LBB63_312
	s_branch .LBB63_313
.LBB63_529:
	s_mov_b64 s[28:29], -1
	s_mov_b64 s[0:1], 0
	s_mov_b64 s[26:27], s[18:19]
                                        ; implicit-def: $vgpr3
	s_branch .LBB63_533
.LBB63_530:
	s_andn2_saveexec_b64 s[26:27], s[26:27]
	s_cbranch_execz .LBB63_324
.LBB63_531:
	s_mov_b32 s30, 0x42800000
	v_add_f32_e64 v5, |v6|, s30
	v_and_b32_e32 v5, 0xff, v5
	v_cmp_ne_u32_e32 vcc, 0, v5
	s_andn2_b64 s[24:25], s[24:25], exec
	s_and_b64 s[30:31], vcc, exec
	s_or_b64 s[24:25], s[24:25], s[30:31]
	s_or_b64 exec, exec, s[26:27]
	v_mov_b32_e32 v7, 0
	s_and_saveexec_b64 s[26:27], s[24:25]
	s_cbranch_execnz .LBB63_325
	s_branch .LBB63_326
.LBB63_532:
	s_mov_b64 s[26:27], -1
                                        ; implicit-def: $vgpr3
	s_mov_b64 s[0:1], 0
.LBB63_533:
	s_and_b64 vcc, exec, s[28:29]
	s_cbranch_vccz .LBB63_537
; %bb.534:
	s_cmp_eq_u32 s34, 44
	s_cbranch_scc0 .LBB63_536
; %bb.535:
	global_load_ubyte v3, v[0:1], off
	s_movk_i32 s26, 0xff
	v_mov_b32_e32 v4, 0x7f800001
	v_mov_b32_e32 v5, 0x400000
	;; [unrolled: 1-line block ×3, first 2 shown]
	s_mov_b64 s[0:1], -1
	s_waitcnt vmcnt(0)
	v_lshlrev_b32_e32 v7, 23, v3
	v_cmp_ne_u32_e32 vcc, s26, v3
	v_cndmask_b32_e32 v4, v4, v7, vcc
	v_cmp_ne_u32_e32 vcc, 0, v3
	v_cndmask_b32_e32 v3, v5, v4, vcc
	v_add_u32_e32 v4, 0x7fff, v3
	v_cmp_o_f32_e32 vcc, v3, v3
	v_cndmask_b32_sdwa v3, v6, v4, vcc dst_sel:DWORD dst_unused:UNUSED_PAD src0_sel:DWORD src1_sel:WORD_1
	s_mov_b64 s[26:27], 0
	s_branch .LBB63_537
.LBB63_536:
	s_mov_b64 s[26:27], -1
                                        ; implicit-def: $vgpr3
.LBB63_537:
	s_mov_b64 s[28:29], 0
.LBB63_538:
	s_and_b64 vcc, exec, s[28:29]
	s_cbranch_vccz .LBB63_542
; %bb.539:
	s_cmp_eq_u32 s34, 29
	s_cbranch_scc0 .LBB63_541
; %bb.540:
	global_load_dwordx2 v[3:4], v[0:1], off
	s_movk_i32 s26, 0x7fff
	s_mov_b64 s[0:1], -1
	s_mov_b64 s[28:29], 0
	s_waitcnt vmcnt(0)
	v_ffbh_u32_e32 v5, v4
	v_min_u32_e32 v5, 32, v5
	v_lshlrev_b64 v[3:4], v5, v[3:4]
	v_min_u32_e32 v3, 1, v3
	v_or_b32_e32 v3, v4, v3
	v_cvt_f32_u32_e32 v3, v3
	v_sub_u32_e32 v4, 32, v5
	v_ldexp_f32 v3, v3, v4
	v_bfe_u32 v4, v3, 16, 1
	v_add3_u32 v3, v3, v4, s26
	v_lshrrev_b32_e32 v3, 16, v3
	s_mov_b64 s[26:27], 0
	s_branch .LBB63_543
.LBB63_541:
	s_mov_b64 s[26:27], -1
                                        ; implicit-def: $vgpr3
.LBB63_542:
	s_mov_b64 s[28:29], 0
.LBB63_543:
	s_and_b64 vcc, exec, s[28:29]
	s_cbranch_vccz .LBB63_561
; %bb.544:
	s_cmp_lt_i32 s34, 27
	s_cbranch_scc1 .LBB63_547
; %bb.545:
	s_cmp_gt_i32 s34, 27
	s_cbranch_scc0 .LBB63_548
; %bb.546:
	global_load_dword v3, v[0:1], off
	s_movk_i32 s0, 0x7fff
	s_waitcnt vmcnt(0)
	v_cvt_f32_u32_e32 v3, v3
	v_bfe_u32 v4, v3, 16, 1
	v_add3_u32 v3, v3, v4, s0
	v_lshrrev_b32_e32 v3, 16, v3
	s_mov_b64 s[0:1], 0
	s_branch .LBB63_549
.LBB63_547:
	s_mov_b64 s[0:1], -1
                                        ; implicit-def: $vgpr3
	s_branch .LBB63_552
.LBB63_548:
	s_mov_b64 s[0:1], -1
                                        ; implicit-def: $vgpr3
.LBB63_549:
	s_andn2_b64 vcc, exec, s[0:1]
	s_cbranch_vccnz .LBB63_551
; %bb.550:
	global_load_ushort v3, v[0:1], off
	s_movk_i32 s0, 0x7fff
	s_waitcnt vmcnt(0)
	v_cvt_f32_u32_e32 v3, v3
	v_bfe_u32 v4, v3, 16, 1
	v_add3_u32 v3, v3, v4, s0
	v_lshrrev_b32_e32 v3, 16, v3
.LBB63_551:
	s_mov_b64 s[0:1], 0
.LBB63_552:
	s_andn2_b64 vcc, exec, s[0:1]
	s_cbranch_vccnz .LBB63_560
; %bb.553:
	global_load_ubyte v3, v[0:1], off
	s_movk_i32 s0, 0x7f
	s_waitcnt vmcnt(0)
	v_cmp_lt_i16_e32 vcc, s0, v3
	s_mov_b64 s[0:1], 0
	s_and_saveexec_b64 s[28:29], vcc
	s_xor_b64 s[28:29], exec, s[28:29]
	s_cbranch_execz .LBB63_574
; %bb.554:
	s_movk_i32 s0, 0x80
	v_cmp_eq_u16_e32 vcc, s0, v3
	s_mov_b64 s[0:1], -1
	s_and_saveexec_b64 s[30:31], vcc
; %bb.555:
	s_xor_b64 s[0:1], exec, -1
; %bb.556:
	s_or_b64 exec, exec, s[30:31]
	s_and_b64 s[0:1], s[0:1], exec
	s_or_saveexec_b64 s[28:29], s[28:29]
	v_mov_b32_e32 v4, 0x7f800001
	s_xor_b64 exec, exec, s[28:29]
	s_cbranch_execnz .LBB63_575
.LBB63_557:
	s_or_b64 exec, exec, s[28:29]
	s_and_saveexec_b64 s[28:29], s[0:1]
	s_cbranch_execz .LBB63_559
.LBB63_558:
	v_lshlrev_b32_e32 v4, 24, v3
	v_and_b32_e32 v3, 0xffff, v3
	v_and_b32_e32 v5, 7, v3
	v_ffbh_u32_e32 v7, v5
	v_min_u32_e32 v7, 32, v7
	v_subrev_u32_e32 v8, 28, v7
	v_bfe_u32 v6, v3, 3, 4
	v_lshlrev_b32_e32 v3, v8, v3
	v_sub_u32_e32 v7, 29, v7
	v_and_b32_e32 v3, 7, v3
	v_cmp_eq_u32_e32 vcc, 0, v6
	v_cndmask_b32_e32 v6, v6, v7, vcc
	v_cndmask_b32_e32 v3, v5, v3, vcc
	v_mov_b32_e32 v5, 0x3b800000
	v_lshlrev_b32_e32 v3, 20, v3
	v_and_b32_e32 v4, 0x80000000, v4
	v_lshl_add_u32 v5, v6, 23, v5
	v_or3_b32 v4, v4, v5, v3
.LBB63_559:
	s_or_b64 exec, exec, s[28:29]
	v_bfe_u32 v3, v4, 16, 1
	s_movk_i32 s0, 0x7fff
	v_add3_u32 v3, v4, v3, s0
	v_cmp_o_f32_e32 vcc, v4, v4
	v_mov_b32_e32 v4, 0x7fc0
	v_cndmask_b32_sdwa v3, v4, v3, vcc dst_sel:DWORD dst_unused:UNUSED_PAD src0_sel:DWORD src1_sel:WORD_1
.LBB63_560:
	s_mov_b64 s[0:1], -1
.LBB63_561:
	s_mov_b64 s[28:29], 0
.LBB63_562:
	s_and_b64 vcc, exec, s[28:29]
	s_cbranch_vccz .LBB63_597
; %bb.563:
	s_cmp_gt_i32 s34, 22
	s_cbranch_scc0 .LBB63_573
; %bb.564:
	s_cmp_lt_i32 s34, 24
	s_cbranch_scc1 .LBB63_576
; %bb.565:
	s_cmp_gt_i32 s34, 24
	s_cbranch_scc0 .LBB63_577
; %bb.566:
	global_load_ubyte v3, v[0:1], off
	s_movk_i32 s0, 0x7f
	s_waitcnt vmcnt(0)
	v_cmp_lt_i16_e32 vcc, s0, v3
	s_mov_b64 s[0:1], 0
	s_and_saveexec_b64 s[28:29], vcc
	s_xor_b64 s[28:29], exec, s[28:29]
	s_cbranch_execz .LBB63_589
; %bb.567:
	s_movk_i32 s0, 0x80
	v_cmp_eq_u16_e32 vcc, s0, v3
	s_mov_b64 s[0:1], -1
	s_and_saveexec_b64 s[30:31], vcc
; %bb.568:
	s_xor_b64 s[0:1], exec, -1
; %bb.569:
	s_or_b64 exec, exec, s[30:31]
	s_and_b64 s[0:1], s[0:1], exec
	s_or_saveexec_b64 s[28:29], s[28:29]
	v_mov_b32_e32 v4, 0x7f800001
	s_xor_b64 exec, exec, s[28:29]
	s_cbranch_execnz .LBB63_590
.LBB63_570:
	s_or_b64 exec, exec, s[28:29]
	s_and_saveexec_b64 s[28:29], s[0:1]
	s_cbranch_execz .LBB63_572
.LBB63_571:
	v_lshlrev_b32_e32 v4, 24, v3
	v_and_b32_e32 v3, 0xffff, v3
	v_and_b32_e32 v5, 3, v3
	v_ffbh_u32_e32 v7, v5
	v_min_u32_e32 v7, 32, v7
	v_subrev_u32_e32 v8, 29, v7
	v_bfe_u32 v6, v3, 2, 5
	v_lshlrev_b32_e32 v3, v8, v3
	v_sub_u32_e32 v7, 30, v7
	v_and_b32_e32 v3, 3, v3
	v_cmp_eq_u32_e32 vcc, 0, v6
	v_cndmask_b32_e32 v6, v6, v7, vcc
	v_cndmask_b32_e32 v3, v5, v3, vcc
	v_mov_b32_e32 v5, 0x37800000
	v_lshlrev_b32_e32 v3, 21, v3
	v_and_b32_e32 v4, 0x80000000, v4
	v_lshl_add_u32 v5, v6, 23, v5
	v_or3_b32 v4, v4, v5, v3
.LBB63_572:
	s_or_b64 exec, exec, s[28:29]
	v_bfe_u32 v3, v4, 16, 1
	s_movk_i32 s0, 0x7fff
	v_add3_u32 v3, v4, v3, s0
	v_cmp_o_f32_e32 vcc, v4, v4
	v_mov_b32_e32 v4, 0x7fc0
	v_cndmask_b32_sdwa v3, v4, v3, vcc dst_sel:DWORD dst_unused:UNUSED_PAD src0_sel:DWORD src1_sel:WORD_1
	s_mov_b64 s[0:1], 0
	s_branch .LBB63_578
.LBB63_573:
	s_mov_b64 s[28:29], -1
                                        ; implicit-def: $vgpr3
	s_branch .LBB63_584
.LBB63_574:
	s_or_saveexec_b64 s[28:29], s[28:29]
	v_mov_b32_e32 v4, 0x7f800001
	s_xor_b64 exec, exec, s[28:29]
	s_cbranch_execz .LBB63_557
.LBB63_575:
	v_cmp_ne_u16_e32 vcc, 0, v3
	s_andn2_b64 s[0:1], s[0:1], exec
	s_and_b64 s[30:31], vcc, exec
	v_mov_b32_e32 v4, 0
	s_or_b64 s[0:1], s[0:1], s[30:31]
	s_or_b64 exec, exec, s[28:29]
	s_and_saveexec_b64 s[28:29], s[0:1]
	s_cbranch_execnz .LBB63_558
	s_branch .LBB63_559
.LBB63_576:
	s_mov_b64 s[0:1], -1
                                        ; implicit-def: $vgpr3
	s_branch .LBB63_581
.LBB63_577:
	s_mov_b64 s[0:1], -1
                                        ; implicit-def: $vgpr3
.LBB63_578:
	s_and_b64 vcc, exec, s[0:1]
	s_cbranch_vccz .LBB63_580
; %bb.579:
	global_load_ubyte v3, v[0:1], off
	s_mov_b32 s0, 0x7f800000
	s_brev_b32 s1, 1
	s_movk_i32 s28, 0x7fff
	s_waitcnt vmcnt(0)
	v_lshlrev_b32_e32 v3, 24, v3
	v_and_b32_e32 v4, 0x7f000000, v3
	v_ffbh_u32_e32 v5, v4
	v_min_u32_e32 v5, 32, v5
	v_sub_u32_e64 v5, v5, 4 clamp
	v_lshlrev_b32_e32 v7, v5, v4
	v_lshlrev_b32_e32 v5, 23, v5
	v_lshrrev_b32_e32 v7, 4, v7
	v_add_u32_e32 v6, 0x1000000, v4
	v_sub_u32_e32 v5, v7, v5
	v_ashrrev_i32_e32 v6, 8, v6
	v_add_u32_e32 v5, 0x3c000000, v5
	v_and_or_b32 v5, v6, s0, v5
	v_cmp_ne_u32_e32 vcc, 0, v4
	v_cndmask_b32_e32 v4, 0, v5, vcc
	v_and_or_b32 v3, v3, s1, v4
	v_bfe_u32 v4, v4, 16, 1
	v_add3_u32 v4, v3, v4, s28
	v_cmp_o_f32_e32 vcc, v3, v3
	v_mov_b32_e32 v3, 0x7fc0
	v_cndmask_b32_sdwa v3, v3, v4, vcc dst_sel:DWORD dst_unused:UNUSED_PAD src0_sel:DWORD src1_sel:WORD_1
.LBB63_580:
	s_mov_b64 s[0:1], 0
.LBB63_581:
	s_andn2_b64 vcc, exec, s[0:1]
	s_cbranch_vccnz .LBB63_583
; %bb.582:
	global_load_ubyte v3, v[0:1], off
	s_movk_i32 s0, 0x7f00
	s_brev_b32 s1, 16
	s_brev_b32 s28, 1
	s_movk_i32 s29, 0x7fff
	s_waitcnt vmcnt(0)
	v_lshlrev_b16_e32 v4, 8, v3
	v_lshlrev_b32_e32 v3, 25, v3
	v_lshrrev_b32_e32 v5, 4, v3
	v_and_or_b32 v6, v4, s0, 0.5
	v_or_b32_e32 v5, 0x70000000, v5
	v_add_f32_e32 v6, -0.5, v6
	v_mul_f32_e32 v5, 0x7800000, v5
	v_cmp_gt_u32_e32 vcc, s1, v3
	v_bfe_i32 v4, v4, 0, 16
	v_cndmask_b32_e32 v3, v5, v6, vcc
	v_and_or_b32 v4, v4, s28, v3
	v_bfe_u32 v3, v3, 16, 1
	v_add3_u32 v3, v4, v3, s29
	v_cmp_o_f32_e32 vcc, v4, v4
	v_mov_b32_e32 v4, 0x7fc0
	v_cndmask_b32_sdwa v3, v4, v3, vcc dst_sel:DWORD dst_unused:UNUSED_PAD src0_sel:DWORD src1_sel:WORD_1
.LBB63_583:
	s_mov_b64 s[28:29], 0
	s_mov_b64 s[0:1], -1
.LBB63_584:
	s_andn2_b64 vcc, exec, s[28:29]
	s_cbranch_vccnz .LBB63_597
; %bb.585:
	s_cmp_gt_i32 s34, 14
	s_cbranch_scc0 .LBB63_588
; %bb.586:
	s_cmp_eq_u32 s34, 15
	s_cbranch_scc0 .LBB63_591
; %bb.587:
	global_load_ushort v3, v[0:1], off
	s_mov_b64 s[0:1], -1
	s_mov_b64 s[26:27], 0
	s_branch .LBB63_592
.LBB63_588:
	s_mov_b64 s[28:29], -1
                                        ; implicit-def: $vgpr3
	s_branch .LBB63_593
.LBB63_589:
	s_or_saveexec_b64 s[28:29], s[28:29]
	v_mov_b32_e32 v4, 0x7f800001
	s_xor_b64 exec, exec, s[28:29]
	s_cbranch_execz .LBB63_570
.LBB63_590:
	v_cmp_ne_u16_e32 vcc, 0, v3
	s_andn2_b64 s[0:1], s[0:1], exec
	s_and_b64 s[30:31], vcc, exec
	v_mov_b32_e32 v4, 0
	s_or_b64 s[0:1], s[0:1], s[30:31]
	s_or_b64 exec, exec, s[28:29]
	s_and_saveexec_b64 s[28:29], s[0:1]
	s_cbranch_execnz .LBB63_571
	s_branch .LBB63_572
.LBB63_591:
	s_mov_b64 s[26:27], -1
                                        ; implicit-def: $vgpr3
.LBB63_592:
	s_mov_b64 s[28:29], 0
.LBB63_593:
	s_and_b64 vcc, exec, s[28:29]
	s_cbranch_vccz .LBB63_597
; %bb.594:
	s_cmp_eq_u32 s34, 11
	s_cbranch_scc0 .LBB63_596
; %bb.595:
	global_load_ubyte v3, v[0:1], off
	s_mov_b64 s[0:1], -1
	s_mov_b64 s[26:27], 0
	s_waitcnt vmcnt(0)
	v_cmp_ne_u16_e32 vcc, 0, v3
	v_cndmask_b32_e64 v3, 0, 1.0, vcc
	v_lshrrev_b32_e32 v3, 16, v3
	s_branch .LBB63_597
.LBB63_596:
	s_mov_b64 s[26:27], -1
                                        ; implicit-def: $vgpr3
.LBB63_597:
	s_mov_b64 s[28:29], 0
.LBB63_598:
	s_and_b64 vcc, exec, s[28:29]
	s_cbranch_vccz .LBB63_647
; %bb.599:
	s_cmp_lt_i32 s34, 5
	s_cbranch_scc1 .LBB63_604
; %bb.600:
	s_cmp_lt_i32 s34, 8
	s_cbranch_scc1 .LBB63_605
	;; [unrolled: 3-line block ×3, first 2 shown]
; %bb.602:
	s_cmp_gt_i32 s34, 9
	s_cbranch_scc0 .LBB63_607
; %bb.603:
	global_load_dwordx2 v[3:4], v[0:1], off
	s_movk_i32 s0, 0x7fff
	s_waitcnt vmcnt(0)
	v_cvt_f32_f64_e32 v3, v[3:4]
	v_mov_b32_e32 v4, 0x7fc0
	v_bfe_u32 v5, v3, 16, 1
	v_cmp_o_f32_e32 vcc, v3, v3
	v_add3_u32 v3, v3, v5, s0
	v_cndmask_b32_sdwa v3, v4, v3, vcc dst_sel:DWORD dst_unused:UNUSED_PAD src0_sel:DWORD src1_sel:WORD_1
	s_mov_b64 s[0:1], 0
	s_branch .LBB63_608
.LBB63_604:
	s_mov_b64 s[0:1], -1
                                        ; implicit-def: $vgpr3
	s_branch .LBB63_626
.LBB63_605:
	s_mov_b64 s[0:1], -1
                                        ; implicit-def: $vgpr3
	s_branch .LBB63_614
.LBB63_606:
	s_mov_b64 s[0:1], -1
                                        ; implicit-def: $vgpr3
	s_branch .LBB63_611
.LBB63_607:
	s_mov_b64 s[0:1], -1
                                        ; implicit-def: $vgpr3
.LBB63_608:
	s_andn2_b64 vcc, exec, s[0:1]
	s_cbranch_vccnz .LBB63_610
; %bb.609:
	global_load_dword v3, v[0:1], off
	s_movk_i32 s0, 0x7fff
	v_mov_b32_e32 v4, 0x7fc0
	s_waitcnt vmcnt(0)
	v_bfe_u32 v5, v3, 16, 1
	v_cmp_o_f32_e32 vcc, v3, v3
	v_add3_u32 v3, v3, v5, s0
	v_cndmask_b32_sdwa v3, v4, v3, vcc dst_sel:DWORD dst_unused:UNUSED_PAD src0_sel:DWORD src1_sel:WORD_1
.LBB63_610:
	s_mov_b64 s[0:1], 0
.LBB63_611:
	s_andn2_b64 vcc, exec, s[0:1]
	s_cbranch_vccnz .LBB63_613
; %bb.612:
	global_load_dword v3, v[0:1], off
	s_movk_i32 s0, 0x7fff
	v_mov_b32_e32 v5, 0x7fc0
	s_waitcnt vmcnt(0)
	v_cvt_f32_f16_e32 v4, v3
	v_cmp_o_f16_e32 vcc, v3, v3
	v_bfe_u32 v3, v4, 16, 1
	v_add3_u32 v3, v4, v3, s0
	v_cndmask_b32_sdwa v3, v5, v3, vcc dst_sel:DWORD dst_unused:UNUSED_PAD src0_sel:DWORD src1_sel:WORD_1
.LBB63_613:
	s_mov_b64 s[0:1], 0
.LBB63_614:
	s_andn2_b64 vcc, exec, s[0:1]
	s_cbranch_vccnz .LBB63_625
; %bb.615:
	s_cmp_lt_i32 s34, 6
	s_cbranch_scc1 .LBB63_618
; %bb.616:
	s_cmp_gt_i32 s34, 6
	s_cbranch_scc0 .LBB63_619
; %bb.617:
	global_load_dwordx2 v[3:4], v[0:1], off
	s_movk_i32 s0, 0x7fff
	s_waitcnt vmcnt(0)
	v_cvt_f32_f64_e32 v3, v[3:4]
	v_mov_b32_e32 v4, 0x7fc0
	v_bfe_u32 v5, v3, 16, 1
	v_cmp_o_f32_e32 vcc, v3, v3
	v_add3_u32 v3, v3, v5, s0
	v_cndmask_b32_sdwa v3, v4, v3, vcc dst_sel:DWORD dst_unused:UNUSED_PAD src0_sel:DWORD src1_sel:WORD_1
	s_mov_b64 s[0:1], 0
	s_branch .LBB63_620
.LBB63_618:
	s_mov_b64 s[0:1], -1
                                        ; implicit-def: $vgpr3
	s_branch .LBB63_623
.LBB63_619:
	s_mov_b64 s[0:1], -1
                                        ; implicit-def: $vgpr3
.LBB63_620:
	s_andn2_b64 vcc, exec, s[0:1]
	s_cbranch_vccnz .LBB63_622
; %bb.621:
	global_load_dword v3, v[0:1], off
	s_movk_i32 s0, 0x7fff
	v_mov_b32_e32 v4, 0x7fc0
	s_waitcnt vmcnt(0)
	v_bfe_u32 v5, v3, 16, 1
	v_cmp_o_f32_e32 vcc, v3, v3
	v_add3_u32 v3, v3, v5, s0
	v_cndmask_b32_sdwa v3, v4, v3, vcc dst_sel:DWORD dst_unused:UNUSED_PAD src0_sel:DWORD src1_sel:WORD_1
.LBB63_622:
	s_mov_b64 s[0:1], 0
.LBB63_623:
	s_andn2_b64 vcc, exec, s[0:1]
	s_cbranch_vccnz .LBB63_625
; %bb.624:
	global_load_ushort v3, v[0:1], off
	s_movk_i32 s0, 0x7fff
	v_mov_b32_e32 v5, 0x7fc0
	s_waitcnt vmcnt(0)
	v_cvt_f32_f16_e32 v4, v3
	v_cmp_o_f16_e32 vcc, v3, v3
	v_bfe_u32 v3, v4, 16, 1
	v_add3_u32 v3, v4, v3, s0
	v_cndmask_b32_sdwa v3, v5, v3, vcc dst_sel:DWORD dst_unused:UNUSED_PAD src0_sel:DWORD src1_sel:WORD_1
.LBB63_625:
	s_mov_b64 s[0:1], 0
.LBB63_626:
	s_andn2_b64 vcc, exec, s[0:1]
	s_cbranch_vccnz .LBB63_646
; %bb.627:
	s_cmp_lt_i32 s34, 2
	s_cbranch_scc1 .LBB63_631
; %bb.628:
	s_cmp_lt_i32 s34, 3
	s_cbranch_scc1 .LBB63_632
; %bb.629:
	s_cmp_gt_i32 s34, 3
	s_cbranch_scc0 .LBB63_633
; %bb.630:
	global_load_dwordx2 v[3:4], v[0:1], off
	s_movk_i32 s0, 0x7fff
	s_waitcnt vmcnt(0)
	v_xor_b32_e32 v6, v3, v4
	v_ffbh_i32_e32 v5, v4
	v_ashrrev_i32_e32 v6, 31, v6
	v_add_u32_e32 v5, -1, v5
	v_add_u32_e32 v6, 32, v6
	v_min_u32_e32 v5, v5, v6
	v_lshlrev_b64 v[3:4], v5, v[3:4]
	v_min_u32_e32 v3, 1, v3
	v_or_b32_e32 v3, v4, v3
	v_cvt_f32_i32_e32 v3, v3
	v_sub_u32_e32 v4, 32, v5
	v_ldexp_f32 v3, v3, v4
	v_bfe_u32 v4, v3, 16, 1
	v_add3_u32 v3, v3, v4, s0
	v_lshrrev_b32_e32 v3, 16, v3
	s_mov_b64 s[0:1], 0
	s_branch .LBB63_634
.LBB63_631:
	s_mov_b64 s[0:1], -1
                                        ; implicit-def: $vgpr3
	s_branch .LBB63_640
.LBB63_632:
	s_mov_b64 s[0:1], -1
                                        ; implicit-def: $vgpr3
	s_branch .LBB63_637
.LBB63_633:
	s_mov_b64 s[0:1], -1
                                        ; implicit-def: $vgpr3
.LBB63_634:
	s_andn2_b64 vcc, exec, s[0:1]
	s_cbranch_vccnz .LBB63_636
; %bb.635:
	global_load_dword v3, v[0:1], off
	s_movk_i32 s0, 0x7fff
	s_waitcnt vmcnt(0)
	v_cvt_f32_i32_e32 v3, v3
	v_bfe_u32 v4, v3, 16, 1
	v_add3_u32 v3, v3, v4, s0
	v_lshrrev_b32_e32 v3, 16, v3
.LBB63_636:
	s_mov_b64 s[0:1], 0
.LBB63_637:
	s_andn2_b64 vcc, exec, s[0:1]
	s_cbranch_vccnz .LBB63_639
; %bb.638:
	global_load_sshort v3, v[0:1], off
	s_movk_i32 s0, 0x7fff
	s_waitcnt vmcnt(0)
	v_cvt_f32_i32_e32 v3, v3
	v_bfe_u32 v4, v3, 16, 1
	v_add3_u32 v3, v3, v4, s0
	v_lshrrev_b32_e32 v3, 16, v3
.LBB63_639:
	s_mov_b64 s[0:1], 0
.LBB63_640:
	s_andn2_b64 vcc, exec, s[0:1]
	s_cbranch_vccnz .LBB63_646
; %bb.641:
	s_cmp_gt_i32 s34, 0
	s_cbranch_scc0 .LBB63_643
; %bb.642:
	global_load_sbyte v3, v[0:1], off
	s_movk_i32 s0, 0x7fff
	s_waitcnt vmcnt(0)
	v_cvt_f32_i32_e32 v3, v3
	v_bfe_u32 v4, v3, 16, 1
	v_add3_u32 v3, v3, v4, s0
	v_lshrrev_b32_e32 v3, 16, v3
	s_mov_b64 s[0:1], 0
	s_branch .LBB63_644
.LBB63_643:
	s_mov_b64 s[0:1], -1
                                        ; implicit-def: $vgpr3
.LBB63_644:
	s_andn2_b64 vcc, exec, s[0:1]
	s_cbranch_vccnz .LBB63_646
; %bb.645:
	global_load_ubyte v0, v[0:1], off
	s_movk_i32 s0, 0x7fff
	s_waitcnt vmcnt(0)
	v_cvt_f32_ubyte0_e32 v0, v0
	v_bfe_u32 v1, v0, 16, 1
	v_add3_u32 v0, v0, v1, s0
	v_lshrrev_b32_e32 v3, 16, v0
.LBB63_646:
	s_mov_b64 s[0:1], -1
.LBB63_647:
	s_andn2_b64 vcc, exec, s[0:1]
	s_cbranch_vccnz .LBB63_655
; %bb.648:
	s_waitcnt vmcnt(0)
	v_lshlrev_b32_e32 v0, 16, v3
	v_fma_f32 v1, |v0|, -0.5, 0.5
	v_mul_f32_e32 v3, v0, v0
	v_cmp_ge_f32_e64 vcc, |v0|, 0.5
	v_cndmask_b32_e32 v1, v3, v1, vcc
	v_mov_b32_e32 v3, 0x3c5fc5da
	v_fmac_f32_e32 v3, 0x3d1c21a7, v1
	v_mov_b32_e32 v4, 0x3d034c3c
	v_fmac_f32_e32 v4, v1, v3
	;; [unrolled: 2-line block ×4, first 2 shown]
	v_sqrt_f32_e32 v3, v1
	v_mov_b32_e32 v5, 0x3e2aaaac
	v_fmac_f32_e32 v5, v1, v4
	v_mul_f32_e32 v1, v1, v5
	v_fmac_f32_e32 v3, v3, v1
	v_add_f32_e32 v3, v3, v3
	v_sub_f32_e32 v3, 0x3fc90fdb, v3
	v_fma_f32 v1, |v0|, v1, |v0|
	v_cmp_lt_f32_e64 vcc, |v0|, 0.5
	v_cndmask_b32_e32 v1, v3, v1, vcc
	s_brev_b32 s0, -2
	v_bfi_b32 v0, s0, v1, v0
	v_bfe_u32 v1, v0, 16, 1
	s_movk_i32 s0, 0x7fff
	v_add3_u32 v1, v0, v1, s0
	v_cmp_o_f32_e32 vcc, v0, v0
	v_mul_lo_u32 v0, v2, s2
	v_mov_b32_e32 v3, 0x7fc0
	v_cndmask_b32_sdwa v3, v3, v1, vcc dst_sel:DWORD dst_unused:UNUSED_PAD src0_sel:DWORD src1_sel:WORD_1
	v_mov_b32_e32 v4, s9
	v_ashrrev_i32_e32 v1, 31, v0
	s_and_b32 s36, s33, 0xff
	v_add_co_u32_e32 v0, vcc, s8, v0
	s_cmp_lt_i32 s36, 11
	v_addc_co_u32_e32 v1, vcc, v4, v1, vcc
	s_cbranch_scc1 .LBB63_656
; %bb.649:
	s_and_b32 s37, 0xffff, s36
	s_cmp_gt_i32 s37, 25
	s_cbranch_scc0 .LBB63_657
; %bb.650:
	s_cmp_gt_i32 s37, 28
	s_cbranch_scc0 .LBB63_658
; %bb.651:
	;; [unrolled: 3-line block ×4, first 2 shown]
	s_mov_b64 s[30:31], 0
	s_mov_b64 s[0:1], -1
	s_cmp_eq_u32 s37, 46
	s_mov_b64 s[28:29], 0
	s_cbranch_scc0 .LBB63_661
; %bb.654:
	v_and_b32_e32 v4, 0xffff, v3
	global_store_dword v[0:1], v4, off
	s_mov_b64 s[28:29], -1
	s_mov_b64 s[0:1], 0
	s_branch .LBB63_661
.LBB63_655:
	s_mov_b64 s[30:31], 0
	s_mov_b64 s[0:1], s[20:21]
	s_branch .LBB63_772
.LBB63_656:
	s_mov_b64 s[30:31], -1
	s_mov_b64 s[28:29], 0
	s_mov_b64 s[0:1], s[20:21]
	s_branch .LBB63_730
.LBB63_657:
	s_mov_b64 s[30:31], -1
	s_mov_b64 s[28:29], 0
	s_mov_b64 s[0:1], s[20:21]
	s_branch .LBB63_688
.LBB63_658:
	s_mov_b64 s[30:31], -1
	s_mov_b64 s[28:29], 0
	s_mov_b64 s[0:1], s[20:21]
	s_branch .LBB63_671
.LBB63_659:
	s_mov_b64 s[30:31], -1
	s_mov_b64 s[28:29], 0
	s_mov_b64 s[0:1], s[20:21]
	s_branch .LBB63_667
.LBB63_660:
	s_mov_b64 s[30:31], -1
	s_mov_b64 s[28:29], 0
	s_mov_b64 s[0:1], s[20:21]
.LBB63_661:
	s_and_b64 vcc, exec, s[30:31]
	s_cbranch_vccz .LBB63_666
; %bb.662:
	s_cmp_eq_u32 s37, 44
	s_mov_b64 s[0:1], -1
	s_cbranch_scc0 .LBB63_666
; %bb.663:
	v_and_b32_e32 v5, 0xffff, v3
	v_bfe_u32 v4, v5, 7, 8
	s_movk_i32 s0, 0xff
	v_cmp_ne_u32_e32 vcc, s0, v4
	v_mov_b32_e32 v6, 0xff
	s_and_saveexec_b64 s[28:29], vcc
	s_cbranch_execz .LBB63_665
; %bb.664:
	v_lshlrev_b32_e32 v7, 16, v5
	s_mov_b32 s0, 0x3f0000
	v_lshrrev_b32_e32 v6, 7, v5
	v_and_b32_e32 v5, 64, v5
	v_and_or_b32 v4, v7, s0, v4
	v_cmp_ne_u32_e32 vcc, 0, v5
	v_cmp_ne_u32_e64 s[0:1], 0, v4
	s_and_b64 s[0:1], vcc, s[0:1]
	v_cndmask_b32_e64 v4, 0, 1, s[0:1]
	v_add_u32_e32 v6, v6, v4
.LBB63_665:
	s_or_b64 exec, exec, s[28:29]
	s_mov_b64 s[28:29], -1
	s_mov_b64 s[0:1], 0
	global_store_byte v[0:1], v6, off
.LBB63_666:
	s_mov_b64 s[30:31], 0
.LBB63_667:
	s_and_b64 vcc, exec, s[30:31]
	s_cbranch_vccz .LBB63_670
; %bb.668:
	s_cmp_eq_u32 s37, 29
	s_mov_b64 s[0:1], -1
	s_cbranch_scc0 .LBB63_670
; %bb.669:
	v_lshlrev_b32_e32 v4, 16, v3
	v_trunc_f32_e32 v4, v4
	v_mul_f32_e32 v5, 0x2f800000, v4
	v_floor_f32_e32 v6, v5
	v_fmac_f32_e32 v4, 0xcf800000, v6
	v_cvt_u32_f32_e32 v5, v6
	v_cvt_u32_f32_e32 v4, v4
	s_mov_b64 s[28:29], -1
	s_mov_b64 s[0:1], 0
	s_mov_b64 s[30:31], 0
	global_store_dwordx2 v[0:1], v[4:5], off
	s_branch .LBB63_671
.LBB63_670:
	s_mov_b64 s[30:31], 0
.LBB63_671:
	s_and_b64 vcc, exec, s[30:31]
	s_cbranch_vccz .LBB63_687
; %bb.672:
	s_cmp_lt_i32 s37, 27
	s_mov_b64 s[28:29], -1
	s_cbranch_scc1 .LBB63_678
; %bb.673:
	s_cmp_gt_i32 s37, 27
	s_cbranch_scc0 .LBB63_675
; %bb.674:
	v_lshlrev_b32_e32 v4, 16, v3
	v_cvt_u32_f32_e32 v4, v4
	s_mov_b64 s[28:29], 0
	global_store_dword v[0:1], v4, off
.LBB63_675:
	s_andn2_b64 vcc, exec, s[28:29]
	s_cbranch_vccnz .LBB63_677
; %bb.676:
	v_lshlrev_b32_e32 v4, 16, v3
	v_cvt_u32_f32_e32 v4, v4
	global_store_short v[0:1], v4, off
.LBB63_677:
	s_mov_b64 s[28:29], 0
.LBB63_678:
	s_andn2_b64 vcc, exec, s[28:29]
	s_cbranch_vccnz .LBB63_686
; %bb.679:
	v_lshlrev_b32_e32 v6, 16, v3
	v_and_b32_e32 v5, 0x7fffffff, v6
	s_mov_b32 s28, 0x43800000
	v_cmp_gt_u32_e32 vcc, s28, v5
	v_mov_b32_e32 v7, 0x80
	s_and_saveexec_b64 s[28:29], vcc
	s_cbranch_execz .LBB63_685
; %bb.680:
	s_mov_b32 s30, 0x3bffffff
	v_and_b32_e32 v4, 0xffff, v3
	v_cmp_lt_u32_e32 vcc, s30, v5
	s_mov_b64 s[30:31], 0
                                        ; implicit-def: $vgpr5
	s_and_saveexec_b64 s[34:35], vcc
	s_xor_b64 s[34:35], exec, s[34:35]
	s_cbranch_execz .LBB63_787
; %bb.681:
	v_bfe_u32 v5, v4, 4, 1
	s_mov_b32 s39, 0x487ffff
	v_add3_u32 v5, v6, v5, s39
	s_mov_b64 s[30:31], exec
	v_lshrrev_b32_e32 v5, 20, v5
                                        ; implicit-def: $vgpr6
	s_andn2_saveexec_b64 s[34:35], s[34:35]
	s_cbranch_execnz .LBB63_788
.LBB63_682:
	s_or_b64 exec, exec, s[34:35]
	v_mov_b32_e32 v7, 0
	s_and_saveexec_b64 s[34:35], s[30:31]
.LBB63_683:
	v_lshrrev_b32_e32 v4, 8, v4
	s_movk_i32 s30, 0x80
	v_and_or_b32 v7, v4, s30, v5
.LBB63_684:
	s_or_b64 exec, exec, s[34:35]
.LBB63_685:
	s_or_b64 exec, exec, s[28:29]
	global_store_byte v[0:1], v7, off
.LBB63_686:
	s_mov_b64 s[28:29], -1
.LBB63_687:
	s_mov_b64 s[30:31], 0
.LBB63_688:
	s_and_b64 vcc, exec, s[30:31]
	s_cbranch_vccz .LBB63_729
; %bb.689:
	s_cmp_gt_i32 s37, 22
	s_mov_b64 s[30:31], -1
	s_cbranch_scc0 .LBB63_721
; %bb.690:
	s_cmp_lt_i32 s37, 24
	s_mov_b64 s[28:29], -1
	s_cbranch_scc1 .LBB63_710
; %bb.691:
	s_cmp_gt_i32 s37, 24
	s_cbranch_scc0 .LBB63_699
; %bb.692:
	v_lshlrev_b32_e32 v6, 16, v3
	v_and_b32_e32 v5, 0x7fffffff, v6
	s_mov_b32 s28, 0x47800000
	v_cmp_gt_u32_e32 vcc, s28, v5
	v_mov_b32_e32 v7, 0x80
	s_and_saveexec_b64 s[28:29], vcc
	s_cbranch_execz .LBB63_698
; %bb.693:
	s_mov_b32 s30, 0x37ffffff
	v_and_b32_e32 v4, 0xffff, v3
	v_cmp_lt_u32_e32 vcc, s30, v5
	s_mov_b64 s[30:31], 0
                                        ; implicit-def: $vgpr5
	s_and_saveexec_b64 s[34:35], vcc
	s_xor_b64 s[34:35], exec, s[34:35]
	s_cbranch_execz .LBB63_790
; %bb.694:
	v_bfe_u32 v5, v4, 5, 1
	s_mov_b32 s39, 0x88fffff
	v_add3_u32 v5, v6, v5, s39
	s_mov_b64 s[30:31], exec
	v_lshrrev_b32_e32 v5, 21, v5
                                        ; implicit-def: $vgpr6
	s_andn2_saveexec_b64 s[34:35], s[34:35]
	s_cbranch_execnz .LBB63_791
.LBB63_695:
	s_or_b64 exec, exec, s[34:35]
	v_mov_b32_e32 v7, 0
	s_and_saveexec_b64 s[34:35], s[30:31]
.LBB63_696:
	v_lshrrev_b32_e32 v4, 8, v4
	s_movk_i32 s30, 0x80
	v_and_or_b32 v7, v4, s30, v5
.LBB63_697:
	s_or_b64 exec, exec, s[34:35]
.LBB63_698:
	s_or_b64 exec, exec, s[28:29]
	s_mov_b64 s[28:29], 0
	global_store_byte v[0:1], v7, off
.LBB63_699:
	s_and_b64 vcc, exec, s[28:29]
	s_cbranch_vccz .LBB63_709
; %bb.700:
	v_lshlrev_b32_e32 v6, 16, v3
	v_and_b32_e32 v7, 0x7fffffff, v6
	s_mov_b32 s28, 0x43f00000
	v_and_b32_e32 v4, 0xffff, v3
	v_cmp_gt_u32_e32 vcc, s28, v7
                                        ; implicit-def: $vgpr5
	s_and_saveexec_b64 s[28:29], vcc
	s_xor_b64 s[28:29], exec, s[28:29]
	s_cbranch_execz .LBB63_706
; %bb.701:
	s_mov_b32 s30, 0x3c7fffff
	v_cmp_lt_u32_e32 vcc, s30, v7
                                        ; implicit-def: $vgpr5
	s_and_saveexec_b64 s[30:31], vcc
	s_xor_b64 s[30:31], exec, s[30:31]
; %bb.702:
	v_bfe_u32 v5, v4, 4, 1
	s_mov_b32 s34, 0x407ffff
	v_add3_u32 v5, v6, v5, s34
	v_lshrrev_b32_e32 v6, 20, v5
	v_and_b32_e32 v5, 0xff00000, v5
	s_mov_b32 s34, 0x7f00000
	v_mov_b32_e32 v7, 0x7e
	v_cmp_ne_u32_e32 vcc, s34, v5
	v_cndmask_b32_e32 v5, v7, v6, vcc
                                        ; implicit-def: $vgpr6
; %bb.703:
	s_andn2_saveexec_b64 s[30:31], s[30:31]
; %bb.704:
	s_mov_b32 s34, 0x46800000
	v_add_f32_e64 v5, |v6|, s34
; %bb.705:
	s_or_b64 exec, exec, s[30:31]
                                        ; implicit-def: $vgpr7
.LBB63_706:
	s_andn2_saveexec_b64 s[28:29], s[28:29]
; %bb.707:
	s_mov_b32 s30, 0x7f800000
	v_mov_b32_e32 v5, 0x7e
	v_mov_b32_e32 v6, 0x7f
	v_cmp_lt_u32_e32 vcc, s30, v7
	v_cndmask_b32_e32 v5, v5, v6, vcc
; %bb.708:
	s_or_b64 exec, exec, s[28:29]
	v_lshrrev_b32_e32 v4, 8, v4
	s_movk_i32 s28, 0x80
	v_and_or_b32 v4, v4, s28, v5
	global_store_byte v[0:1], v4, off
.LBB63_709:
	s_mov_b64 s[28:29], 0
.LBB63_710:
	s_andn2_b64 vcc, exec, s[28:29]
	s_cbranch_vccnz .LBB63_720
; %bb.711:
	v_lshlrev_b32_e32 v6, 16, v3
	v_and_b32_e32 v7, 0x7fffffff, v6
	s_mov_b32 s28, 0x47800000
	v_and_b32_e32 v4, 0xffff, v3
	v_cmp_gt_u32_e32 vcc, s28, v7
                                        ; implicit-def: $vgpr5
	s_and_saveexec_b64 s[28:29], vcc
	s_xor_b64 s[28:29], exec, s[28:29]
	s_cbranch_execz .LBB63_717
; %bb.712:
	s_mov_b32 s30, 0x387fffff
	v_cmp_lt_u32_e32 vcc, s30, v7
                                        ; implicit-def: $vgpr5
	s_and_saveexec_b64 s[30:31], vcc
	s_xor_b64 s[30:31], exec, s[30:31]
; %bb.713:
	v_bfe_u32 v5, v4, 5, 1
	s_mov_b32 s34, 0x80fffff
	v_add3_u32 v5, v6, v5, s34
	v_lshrrev_b32_e32 v5, 21, v5
                                        ; implicit-def: $vgpr6
; %bb.714:
	s_andn2_saveexec_b64 s[30:31], s[30:31]
; %bb.715:
	s_mov_b32 s34, 0x43000000
	v_add_f32_e64 v5, |v6|, s34
; %bb.716:
	s_or_b64 exec, exec, s[30:31]
                                        ; implicit-def: $vgpr7
.LBB63_717:
	s_andn2_saveexec_b64 s[28:29], s[28:29]
; %bb.718:
	s_mov_b32 s30, 0x7f800000
	v_mov_b32_e32 v5, 0x7c
	v_mov_b32_e32 v6, 0x7f
	v_cmp_lt_u32_e32 vcc, s30, v7
	v_cndmask_b32_e32 v5, v5, v6, vcc
; %bb.719:
	s_or_b64 exec, exec, s[28:29]
	v_lshrrev_b32_e32 v4, 8, v4
	s_movk_i32 s28, 0x80
	v_and_or_b32 v4, v4, s28, v5
	global_store_byte v[0:1], v4, off
.LBB63_720:
	s_mov_b64 s[30:31], 0
	s_mov_b64 s[28:29], -1
.LBB63_721:
	s_andn2_b64 vcc, exec, s[30:31]
	s_cbranch_vccnz .LBB63_729
; %bb.722:
	s_cmp_gt_i32 s37, 14
	s_mov_b64 s[30:31], -1
	s_cbranch_scc0 .LBB63_726
; %bb.723:
	s_cmp_eq_u32 s37, 15
	s_mov_b64 s[0:1], -1
	s_cbranch_scc0 .LBB63_725
; %bb.724:
	global_store_short v[0:1], v3, off
	s_mov_b64 s[28:29], -1
	s_mov_b64 s[0:1], 0
.LBB63_725:
	s_mov_b64 s[30:31], 0
.LBB63_726:
	s_and_b64 vcc, exec, s[30:31]
	s_cbranch_vccz .LBB63_729
; %bb.727:
	s_cmp_eq_u32 s37, 11
	s_mov_b64 s[0:1], -1
	s_cbranch_scc0 .LBB63_729
; %bb.728:
	v_and_b32_e32 v4, 0x7fff, v3
	v_cmp_ne_u16_e32 vcc, 0, v4
	v_cndmask_b32_e64 v4, 0, 1, vcc
	s_mov_b64 s[28:29], -1
	s_mov_b64 s[0:1], 0
	global_store_byte v[0:1], v4, off
.LBB63_729:
	s_mov_b64 s[30:31], 0
.LBB63_730:
	s_and_b64 vcc, exec, s[30:31]
	s_cbranch_vccz .LBB63_769
; %bb.731:
	s_and_b32 s30, 0xffff, s36
	s_cmp_lt_i32 s30, 5
	s_mov_b64 s[28:29], -1
	s_cbranch_scc1 .LBB63_752
; %bb.732:
	s_cmp_lt_i32 s30, 8
	s_cbranch_scc1 .LBB63_742
; %bb.733:
	s_cmp_lt_i32 s30, 9
	s_cbranch_scc1 .LBB63_739
; %bb.734:
	s_cmp_gt_i32 s30, 9
	s_cbranch_scc0 .LBB63_736
; %bb.735:
	v_lshlrev_b32_e32 v4, 16, v3
	v_cvt_f64_f32_e32 v[4:5], v4
	v_mov_b32_e32 v6, 0
	v_mov_b32_e32 v7, v6
	s_mov_b64 s[28:29], 0
	global_store_dwordx4 v[0:1], v[4:7], off
.LBB63_736:
	s_andn2_b64 vcc, exec, s[28:29]
	s_cbranch_vccnz .LBB63_738
; %bb.737:
	v_lshlrev_b32_e32 v4, 16, v3
	v_mov_b32_e32 v5, 0
	global_store_dwordx2 v[0:1], v[4:5], off
.LBB63_738:
	s_mov_b64 s[28:29], 0
.LBB63_739:
	s_andn2_b64 vcc, exec, s[28:29]
	s_cbranch_vccnz .LBB63_741
; %bb.740:
	v_lshlrev_b32_e32 v4, 16, v3
	v_cvt_f16_f32_e32 v4, v4
	global_store_dword v[0:1], v4, off
.LBB63_741:
	s_mov_b64 s[28:29], 0
.LBB63_742:
	s_andn2_b64 vcc, exec, s[28:29]
	s_cbranch_vccnz .LBB63_751
; %bb.743:
	s_cmp_lt_i32 s30, 6
	s_mov_b64 s[28:29], -1
	s_cbranch_scc1 .LBB63_749
; %bb.744:
	s_cmp_gt_i32 s30, 6
	s_cbranch_scc0 .LBB63_746
; %bb.745:
	v_lshlrev_b32_e32 v4, 16, v3
	v_cvt_f64_f32_e32 v[4:5], v4
	s_mov_b64 s[28:29], 0
	global_store_dwordx2 v[0:1], v[4:5], off
.LBB63_746:
	s_andn2_b64 vcc, exec, s[28:29]
	s_cbranch_vccnz .LBB63_748
; %bb.747:
	v_lshlrev_b32_e32 v4, 16, v3
	global_store_dword v[0:1], v4, off
.LBB63_748:
	s_mov_b64 s[28:29], 0
.LBB63_749:
	s_andn2_b64 vcc, exec, s[28:29]
	s_cbranch_vccnz .LBB63_751
; %bb.750:
	v_lshlrev_b32_e32 v4, 16, v3
	v_cvt_f16_f32_e32 v4, v4
	global_store_short v[0:1], v4, off
.LBB63_751:
	s_mov_b64 s[28:29], 0
.LBB63_752:
	s_andn2_b64 vcc, exec, s[28:29]
	s_cbranch_vccnz .LBB63_768
; %bb.753:
	s_cmp_lt_i32 s30, 2
	s_mov_b64 s[28:29], -1
	s_cbranch_scc1 .LBB63_763
; %bb.754:
	s_cmp_lt_i32 s30, 3
	s_cbranch_scc1 .LBB63_760
; %bb.755:
	s_cmp_gt_i32 s30, 3
	s_cbranch_scc0 .LBB63_757
; %bb.756:
	v_lshlrev_b32_e32 v4, 16, v3
	v_trunc_f32_e32 v4, v4
	s_mov_b32 s28, 0x2f800000
	v_mul_f32_e64 v5, |v4|, s28
	v_floor_f32_e32 v5, v5
	s_mov_b32 s28, 0xcf800000
	v_cvt_u32_f32_e32 v6, v5
	v_fma_f32 v5, v5, s28, |v4|
	v_cvt_u32_f32_e32 v5, v5
	v_ashrrev_i32_e32 v7, 31, v4
	v_xor_b32_e32 v6, v6, v7
	s_mov_b64 s[28:29], 0
	v_xor_b32_e32 v4, v5, v7
	v_sub_co_u32_e32 v4, vcc, v4, v7
	v_subb_co_u32_e32 v5, vcc, v6, v7, vcc
	global_store_dwordx2 v[0:1], v[4:5], off
.LBB63_757:
	s_andn2_b64 vcc, exec, s[28:29]
	s_cbranch_vccnz .LBB63_759
; %bb.758:
	v_lshlrev_b32_e32 v4, 16, v3
	v_cvt_i32_f32_e32 v4, v4
	global_store_dword v[0:1], v4, off
.LBB63_759:
	s_mov_b64 s[28:29], 0
.LBB63_760:
	s_andn2_b64 vcc, exec, s[28:29]
	s_cbranch_vccnz .LBB63_762
; %bb.761:
	v_lshlrev_b32_e32 v4, 16, v3
	v_cvt_i32_f32_e32 v4, v4
	global_store_short v[0:1], v4, off
.LBB63_762:
	s_mov_b64 s[28:29], 0
.LBB63_763:
	s_andn2_b64 vcc, exec, s[28:29]
	s_cbranch_vccnz .LBB63_768
; %bb.764:
	s_mov_b64 s[28:29], -1
	s_cmp_gt_i32 s30, 0
	v_lshlrev_b32_e32 v3, 16, v3
	s_cbranch_scc0 .LBB63_766
; %bb.765:
	v_cvt_i32_f32_e32 v4, v3
	s_mov_b64 s[28:29], 0
	global_store_byte v[0:1], v4, off
.LBB63_766:
	s_andn2_b64 vcc, exec, s[28:29]
	s_cbranch_vccnz .LBB63_768
; %bb.767:
	v_trunc_f32_e32 v3, v3
	s_mov_b32 s28, 0x2f800000
	v_mul_f32_e64 v4, |v3|, s28
	v_floor_f32_e32 v4, v4
	s_mov_b32 s28, 0xcf800000
	v_fma_f32 v4, v4, s28, |v3|
	v_cvt_u32_f32_e32 v4, v4
	v_ashrrev_i32_e32 v3, 31, v3
	v_xor_b32_e32 v4, v4, v3
	v_sub_u32_e32 v3, v4, v3
	global_store_byte v[0:1], v3, off
.LBB63_768:
	s_mov_b64 s[28:29], -1
.LBB63_769:
	s_andn2_b64 vcc, exec, s[28:29]
	s_cbranch_vccnz .LBB63_771
; %bb.770:
	v_add_u32_e32 v2, 0x80, v2
	s_mov_b64 s[30:31], -1
	s_branch .LBB63_773
.LBB63_771:
	s_mov_b64 s[30:31], 0
.LBB63_772:
                                        ; implicit-def: $vgpr2
.LBB63_773:
	s_andn2_b64 s[28:29], s[20:21], exec
	s_and_b64 s[0:1], s[0:1], exec
	s_or_b64 s[28:29], s[28:29], s[0:1]
	s_andn2_b64 s[0:1], s[18:19], exec
	s_and_b64 s[26:27], s[26:27], exec
	s_or_b64 s[0:1], s[0:1], s[26:27]
	s_orn2_b64 s[34:35], s[30:31], exec
.LBB63_774:
	s_or_b64 exec, exec, s[24:25]
	s_mov_b64 s[30:31], 0
	s_mov_b64 s[26:27], 0
	;; [unrolled: 1-line block ×3, first 2 shown]
                                        ; implicit-def: $vgpr0_vgpr1
                                        ; implicit-def: $vgpr4
	s_and_saveexec_b64 s[24:25], s[34:35]
	s_cbranch_execz .LBB63_859
; %bb.775:
	v_cmp_gt_i32_e32 vcc, s38, v2
	s_mov_b64 s[34:35], 0
	s_mov_b64 s[38:39], s[0:1]
	;; [unrolled: 1-line block ×3, first 2 shown]
                                        ; implicit-def: $vgpr0_vgpr1
                                        ; implicit-def: $vgpr4
	s_and_saveexec_b64 s[26:27], vcc
	s_cbranch_execz .LBB63_858
; %bb.776:
	v_mul_lo_u32 v0, v2, s3
	v_mov_b32_e32 v1, s11
	s_and_b32 s43, 0xffff, s42
	s_cmp_lt_i32 s43, 11
	s_waitcnt vmcnt(0)
	v_ashrrev_i32_e32 v3, 31, v0
	v_add_co_u32_e32 v0, vcc, s10, v0
	v_addc_co_u32_e32 v1, vcc, v1, v3, vcc
	s_cbranch_scc1 .LBB63_783
; %bb.777:
	s_cmp_gt_i32 s43, 25
	s_cbranch_scc0 .LBB63_784
; %bb.778:
	s_cmp_gt_i32 s43, 28
	s_cbranch_scc0 .LBB63_785
	;; [unrolled: 3-line block ×4, first 2 shown]
; %bb.781:
	s_cmp_eq_u32 s43, 46
	s_mov_b64 s[38:39], 0
	s_cbranch_scc0 .LBB63_792
; %bb.782:
	global_load_dword v4, v[0:1], off
	s_mov_b64 s[36:37], -1
	s_branch .LBB63_794
.LBB63_783:
	s_mov_b64 s[38:39], -1
                                        ; implicit-def: $vgpr4
	s_mov_b64 s[30:31], s[0:1]
	s_branch .LBB63_857
.LBB63_784:
	s_mov_b64 s[38:39], -1
	s_mov_b64 s[30:31], s[0:1]
                                        ; implicit-def: $vgpr4
	s_branch .LBB63_823
.LBB63_785:
	s_mov_b64 s[38:39], -1
	s_mov_b64 s[30:31], s[0:1]
                                        ; implicit-def: $vgpr4
	s_branch .LBB63_804
.LBB63_786:
	s_mov_b64 s[38:39], -1
	s_mov_b64 s[30:31], s[0:1]
                                        ; implicit-def: $vgpr4
	s_branch .LBB63_799
.LBB63_787:
	s_andn2_saveexec_b64 s[34:35], s[34:35]
	s_cbranch_execz .LBB63_682
.LBB63_788:
	s_mov_b32 s39, 0x46000000
	v_add_f32_e64 v5, |v6|, s39
	v_and_b32_e32 v5, 0xff, v5
	v_cmp_ne_u32_e32 vcc, 0, v5
	s_andn2_b64 s[30:31], s[30:31], exec
	s_and_b64 s[40:41], vcc, exec
	s_or_b64 s[30:31], s[30:31], s[40:41]
	s_or_b64 exec, exec, s[34:35]
	v_mov_b32_e32 v7, 0
	s_and_saveexec_b64 s[34:35], s[30:31]
	s_cbranch_execnz .LBB63_683
	s_branch .LBB63_684
.LBB63_789:
	s_mov_b64 s[38:39], -1
	s_mov_b64 s[30:31], s[0:1]
	s_branch .LBB63_793
.LBB63_790:
	s_andn2_saveexec_b64 s[34:35], s[34:35]
	s_cbranch_execz .LBB63_695
.LBB63_791:
	s_mov_b32 s39, 0x42800000
	v_add_f32_e64 v5, |v6|, s39
	v_and_b32_e32 v5, 0xff, v5
	v_cmp_ne_u32_e32 vcc, 0, v5
	s_andn2_b64 s[30:31], s[30:31], exec
	s_and_b64 s[40:41], vcc, exec
	s_or_b64 s[30:31], s[30:31], s[40:41]
	s_or_b64 exec, exec, s[34:35]
	v_mov_b32_e32 v7, 0
	s_and_saveexec_b64 s[34:35], s[30:31]
	s_cbranch_execnz .LBB63_696
	s_branch .LBB63_697
.LBB63_792:
	s_mov_b64 s[30:31], -1
.LBB63_793:
                                        ; implicit-def: $vgpr4
.LBB63_794:
	s_and_b64 vcc, exec, s[38:39]
	s_cbranch_vccz .LBB63_798
; %bb.795:
	s_cmp_eq_u32 s43, 44
	s_cbranch_scc0 .LBB63_797
; %bb.796:
	global_load_ubyte v3, v[0:1], off
	s_movk_i32 s36, 0xff
	s_waitcnt vmcnt(1)
	v_mov_b32_e32 v4, 0x7f800001
	v_mov_b32_e32 v5, 0x400000
	;; [unrolled: 1-line block ×3, first 2 shown]
	s_mov_b64 s[30:31], 0
	s_waitcnt vmcnt(0)
	v_lshlrev_b32_e32 v7, 23, v3
	v_cmp_ne_u32_e32 vcc, s36, v3
	v_cndmask_b32_e32 v4, v4, v7, vcc
	v_cmp_ne_u32_e32 vcc, 0, v3
	v_cndmask_b32_e32 v3, v5, v4, vcc
	v_add_u32_e32 v4, 0x7fff, v3
	v_cmp_o_f32_e32 vcc, v3, v3
	v_cndmask_b32_sdwa v4, v6, v4, vcc dst_sel:DWORD dst_unused:UNUSED_PAD src0_sel:DWORD src1_sel:WORD_1
	s_mov_b64 s[36:37], -1
	s_branch .LBB63_798
.LBB63_797:
	s_mov_b64 s[30:31], -1
                                        ; implicit-def: $vgpr4
.LBB63_798:
	s_mov_b64 s[38:39], 0
.LBB63_799:
	s_and_b64 vcc, exec, s[38:39]
	s_cbranch_vccz .LBB63_803
; %bb.800:
	s_cmp_eq_u32 s43, 29
	s_cbranch_scc0 .LBB63_802
; %bb.801:
	global_load_dwordx2 v[3:4], v[0:1], off
	s_movk_i32 s36, 0x7fff
	s_mov_b64 s[30:31], 0
	s_mov_b64 s[38:39], 0
	s_waitcnt vmcnt(0)
	v_ffbh_u32_e32 v5, v4
	v_min_u32_e32 v5, 32, v5
	v_lshlrev_b64 v[3:4], v5, v[3:4]
	v_min_u32_e32 v3, 1, v3
	v_or_b32_e32 v3, v4, v3
	v_cvt_f32_u32_e32 v3, v3
	v_sub_u32_e32 v4, 32, v5
	v_ldexp_f32 v3, v3, v4
	v_bfe_u32 v4, v3, 16, 1
	v_add3_u32 v3, v3, v4, s36
	v_lshrrev_b32_e32 v4, 16, v3
	s_mov_b64 s[36:37], -1
	s_branch .LBB63_804
.LBB63_802:
	s_mov_b64 s[30:31], -1
                                        ; implicit-def: $vgpr4
.LBB63_803:
	s_mov_b64 s[38:39], 0
.LBB63_804:
	s_and_b64 vcc, exec, s[38:39]
	s_cbranch_vccz .LBB63_822
; %bb.805:
	s_cmp_lt_i32 s43, 27
	s_cbranch_scc1 .LBB63_808
; %bb.806:
	s_cmp_gt_i32 s43, 27
	s_cbranch_scc0 .LBB63_809
; %bb.807:
	global_load_dword v3, v[0:1], off
	s_movk_i32 s36, 0x7fff
	s_waitcnt vmcnt(0)
	v_cvt_f32_u32_e32 v3, v3
	v_bfe_u32 v4, v3, 16, 1
	v_add3_u32 v3, v3, v4, s36
	v_lshrrev_b32_e32 v4, 16, v3
	s_mov_b64 s[36:37], 0
	s_branch .LBB63_810
.LBB63_808:
	s_mov_b64 s[36:37], -1
                                        ; implicit-def: $vgpr4
	s_branch .LBB63_813
.LBB63_809:
	s_mov_b64 s[36:37], -1
                                        ; implicit-def: $vgpr4
.LBB63_810:
	s_andn2_b64 vcc, exec, s[36:37]
	s_cbranch_vccnz .LBB63_812
; %bb.811:
	global_load_ushort v3, v[0:1], off
	s_movk_i32 s36, 0x7fff
	s_waitcnt vmcnt(0)
	v_cvt_f32_u32_e32 v3, v3
	v_bfe_u32 v4, v3, 16, 1
	v_add3_u32 v3, v3, v4, s36
	v_lshrrev_b32_e32 v4, 16, v3
.LBB63_812:
	s_mov_b64 s[36:37], 0
.LBB63_813:
	s_andn2_b64 vcc, exec, s[36:37]
	s_cbranch_vccnz .LBB63_821
; %bb.814:
	global_load_ubyte v3, v[0:1], off
	s_movk_i32 s36, 0x7f
	s_waitcnt vmcnt(0)
	v_cmp_lt_i16_e32 vcc, s36, v3
	s_mov_b64 s[36:37], 0
	s_and_saveexec_b64 s[38:39], vcc
	s_xor_b64 s[38:39], exec, s[38:39]
	s_cbranch_execz .LBB63_835
; %bb.815:
	s_movk_i32 s36, 0x80
	v_cmp_eq_u16_e32 vcc, s36, v3
	s_mov_b64 s[36:37], -1
	s_and_saveexec_b64 s[40:41], vcc
; %bb.816:
	s_xor_b64 s[36:37], exec, -1
; %bb.817:
	s_or_b64 exec, exec, s[40:41]
	s_and_b64 s[36:37], s[36:37], exec
	s_or_saveexec_b64 s[38:39], s[38:39]
	v_mov_b32_e32 v4, 0x7f800001
	s_xor_b64 exec, exec, s[38:39]
	s_cbranch_execnz .LBB63_836
.LBB63_818:
	s_or_b64 exec, exec, s[38:39]
	s_and_saveexec_b64 s[38:39], s[36:37]
	s_cbranch_execz .LBB63_820
.LBB63_819:
	v_lshlrev_b32_e32 v4, 24, v3
	v_and_b32_e32 v3, 0xffff, v3
	v_and_b32_e32 v5, 7, v3
	v_ffbh_u32_e32 v7, v5
	v_min_u32_e32 v7, 32, v7
	v_subrev_u32_e32 v8, 28, v7
	v_bfe_u32 v6, v3, 3, 4
	v_lshlrev_b32_e32 v3, v8, v3
	v_sub_u32_e32 v7, 29, v7
	v_and_b32_e32 v3, 7, v3
	v_cmp_eq_u32_e32 vcc, 0, v6
	v_cndmask_b32_e32 v6, v6, v7, vcc
	v_cndmask_b32_e32 v3, v5, v3, vcc
	v_mov_b32_e32 v5, 0x3b800000
	v_lshlrev_b32_e32 v3, 20, v3
	v_and_b32_e32 v4, 0x80000000, v4
	v_lshl_add_u32 v5, v6, 23, v5
	v_or3_b32 v4, v4, v5, v3
.LBB63_820:
	s_or_b64 exec, exec, s[38:39]
	v_bfe_u32 v3, v4, 16, 1
	s_movk_i32 s36, 0x7fff
	v_add3_u32 v3, v4, v3, s36
	v_cmp_o_f32_e32 vcc, v4, v4
	v_mov_b32_e32 v4, 0x7fc0
	v_cndmask_b32_sdwa v4, v4, v3, vcc dst_sel:DWORD dst_unused:UNUSED_PAD src0_sel:DWORD src1_sel:WORD_1
.LBB63_821:
	s_mov_b64 s[36:37], -1
.LBB63_822:
	s_mov_b64 s[38:39], 0
.LBB63_823:
	s_and_b64 vcc, exec, s[38:39]
	s_cbranch_vccz .LBB63_856
; %bb.824:
	s_cmp_gt_i32 s43, 22
	s_cbranch_scc0 .LBB63_834
; %bb.825:
	s_cmp_lt_i32 s43, 24
	s_cbranch_scc1 .LBB63_837
; %bb.826:
	s_cmp_gt_i32 s43, 24
	s_cbranch_scc0 .LBB63_838
; %bb.827:
	global_load_ubyte v3, v[0:1], off
	s_movk_i32 s34, 0x7f
	s_waitcnt vmcnt(0)
	v_cmp_lt_i16_e32 vcc, s34, v3
	s_mov_b64 s[34:35], 0
	s_and_saveexec_b64 s[36:37], vcc
	s_xor_b64 s[36:37], exec, s[36:37]
	s_cbranch_execz .LBB63_850
; %bb.828:
	s_movk_i32 s34, 0x80
	v_cmp_eq_u16_e32 vcc, s34, v3
	s_mov_b64 s[34:35], -1
	s_and_saveexec_b64 s[38:39], vcc
; %bb.829:
	s_xor_b64 s[34:35], exec, -1
; %bb.830:
	s_or_b64 exec, exec, s[38:39]
	s_and_b64 s[34:35], s[34:35], exec
	s_or_saveexec_b64 s[36:37], s[36:37]
	v_mov_b32_e32 v4, 0x7f800001
	s_xor_b64 exec, exec, s[36:37]
	s_cbranch_execnz .LBB63_851
.LBB63_831:
	s_or_b64 exec, exec, s[36:37]
	s_and_saveexec_b64 s[36:37], s[34:35]
	s_cbranch_execz .LBB63_833
.LBB63_832:
	v_lshlrev_b32_e32 v4, 24, v3
	v_and_b32_e32 v3, 0xffff, v3
	v_and_b32_e32 v5, 3, v3
	v_ffbh_u32_e32 v7, v5
	v_min_u32_e32 v7, 32, v7
	v_subrev_u32_e32 v8, 29, v7
	v_bfe_u32 v6, v3, 2, 5
	v_lshlrev_b32_e32 v3, v8, v3
	v_sub_u32_e32 v7, 30, v7
	v_and_b32_e32 v3, 3, v3
	v_cmp_eq_u32_e32 vcc, 0, v6
	v_cndmask_b32_e32 v6, v6, v7, vcc
	v_cndmask_b32_e32 v3, v5, v3, vcc
	v_mov_b32_e32 v5, 0x37800000
	v_lshlrev_b32_e32 v3, 21, v3
	v_and_b32_e32 v4, 0x80000000, v4
	v_lshl_add_u32 v5, v6, 23, v5
	v_or3_b32 v4, v4, v5, v3
.LBB63_833:
	s_or_b64 exec, exec, s[36:37]
	v_bfe_u32 v3, v4, 16, 1
	s_movk_i32 s34, 0x7fff
	v_add3_u32 v3, v4, v3, s34
	v_cmp_o_f32_e32 vcc, v4, v4
	v_mov_b32_e32 v4, 0x7fc0
	v_cndmask_b32_sdwa v4, v4, v3, vcc dst_sel:DWORD dst_unused:UNUSED_PAD src0_sel:DWORD src1_sel:WORD_1
	s_mov_b64 s[34:35], 0
	s_branch .LBB63_839
.LBB63_834:
	s_mov_b64 s[34:35], -1
                                        ; implicit-def: $vgpr4
	s_branch .LBB63_845
.LBB63_835:
	s_or_saveexec_b64 s[38:39], s[38:39]
	v_mov_b32_e32 v4, 0x7f800001
	s_xor_b64 exec, exec, s[38:39]
	s_cbranch_execz .LBB63_818
.LBB63_836:
	v_cmp_ne_u16_e32 vcc, 0, v3
	s_andn2_b64 s[36:37], s[36:37], exec
	s_and_b64 s[40:41], vcc, exec
	v_mov_b32_e32 v4, 0
	s_or_b64 s[36:37], s[36:37], s[40:41]
	s_or_b64 exec, exec, s[38:39]
	s_and_saveexec_b64 s[38:39], s[36:37]
	s_cbranch_execnz .LBB63_819
	s_branch .LBB63_820
.LBB63_837:
	s_mov_b64 s[34:35], -1
                                        ; implicit-def: $vgpr4
	s_branch .LBB63_842
.LBB63_838:
	s_mov_b64 s[34:35], -1
                                        ; implicit-def: $vgpr4
.LBB63_839:
	s_and_b64 vcc, exec, s[34:35]
	s_cbranch_vccz .LBB63_841
; %bb.840:
	global_load_ubyte v3, v[0:1], off
	s_mov_b32 s34, 0x7f800000
	s_brev_b32 s35, 1
	s_movk_i32 s36, 0x7fff
	s_waitcnt vmcnt(0)
	v_lshlrev_b32_e32 v3, 24, v3
	v_and_b32_e32 v4, 0x7f000000, v3
	v_ffbh_u32_e32 v5, v4
	v_min_u32_e32 v5, 32, v5
	v_sub_u32_e64 v5, v5, 4 clamp
	v_lshlrev_b32_e32 v7, v5, v4
	v_lshlrev_b32_e32 v5, 23, v5
	v_lshrrev_b32_e32 v7, 4, v7
	v_add_u32_e32 v6, 0x1000000, v4
	v_sub_u32_e32 v5, v7, v5
	v_ashrrev_i32_e32 v6, 8, v6
	v_add_u32_e32 v5, 0x3c000000, v5
	v_and_or_b32 v5, v6, s34, v5
	v_cmp_ne_u32_e32 vcc, 0, v4
	v_cndmask_b32_e32 v4, 0, v5, vcc
	v_and_or_b32 v3, v3, s35, v4
	v_bfe_u32 v4, v4, 16, 1
	v_add3_u32 v4, v3, v4, s36
	v_cmp_o_f32_e32 vcc, v3, v3
	v_mov_b32_e32 v3, 0x7fc0
	v_cndmask_b32_sdwa v4, v3, v4, vcc dst_sel:DWORD dst_unused:UNUSED_PAD src0_sel:DWORD src1_sel:WORD_1
.LBB63_841:
	s_mov_b64 s[34:35], 0
.LBB63_842:
	s_andn2_b64 vcc, exec, s[34:35]
	s_cbranch_vccnz .LBB63_844
; %bb.843:
	global_load_ubyte v3, v[0:1], off
	s_movk_i32 s34, 0x7f00
	s_brev_b32 s35, 16
	s_brev_b32 s36, 1
	s_movk_i32 s37, 0x7fff
	s_waitcnt vmcnt(0)
	v_lshlrev_b16_e32 v4, 8, v3
	v_lshlrev_b32_e32 v3, 25, v3
	v_lshrrev_b32_e32 v5, 4, v3
	v_and_or_b32 v6, v4, s34, 0.5
	v_or_b32_e32 v5, 0x70000000, v5
	v_add_f32_e32 v6, -0.5, v6
	v_mul_f32_e32 v5, 0x7800000, v5
	v_cmp_gt_u32_e32 vcc, s35, v3
	v_bfe_i32 v4, v4, 0, 16
	v_cndmask_b32_e32 v3, v5, v6, vcc
	v_and_or_b32 v4, v4, s36, v3
	v_bfe_u32 v3, v3, 16, 1
	v_add3_u32 v3, v4, v3, s37
	v_cmp_o_f32_e32 vcc, v4, v4
	v_mov_b32_e32 v4, 0x7fc0
	v_cndmask_b32_sdwa v4, v4, v3, vcc dst_sel:DWORD dst_unused:UNUSED_PAD src0_sel:DWORD src1_sel:WORD_1
.LBB63_844:
	s_mov_b64 s[34:35], 0
	s_mov_b64 s[36:37], -1
.LBB63_845:
	s_andn2_b64 vcc, exec, s[34:35]
	s_mov_b64 s[34:35], 0
	s_cbranch_vccnz .LBB63_856
; %bb.846:
	s_cmp_gt_i32 s43, 14
	s_cbranch_scc0 .LBB63_849
; %bb.847:
	s_cmp_eq_u32 s43, 15
	s_cbranch_scc0 .LBB63_852
; %bb.848:
	global_load_ushort v4, v[0:1], off
	s_mov_b64 s[30:31], 0
	s_mov_b64 s[36:37], -1
	s_branch .LBB63_853
.LBB63_849:
	s_mov_b64 s[38:39], -1
                                        ; implicit-def: $vgpr4
	s_branch .LBB63_854
.LBB63_850:
	s_or_saveexec_b64 s[36:37], s[36:37]
	v_mov_b32_e32 v4, 0x7f800001
	s_xor_b64 exec, exec, s[36:37]
	s_cbranch_execz .LBB63_831
.LBB63_851:
	v_cmp_ne_u16_e32 vcc, 0, v3
	s_andn2_b64 s[34:35], s[34:35], exec
	s_and_b64 s[38:39], vcc, exec
	v_mov_b32_e32 v4, 0
	s_or_b64 s[34:35], s[34:35], s[38:39]
	s_or_b64 exec, exec, s[36:37]
	s_and_saveexec_b64 s[36:37], s[34:35]
	s_cbranch_execnz .LBB63_832
	s_branch .LBB63_833
.LBB63_852:
	s_mov_b64 s[30:31], -1
                                        ; implicit-def: $vgpr4
.LBB63_853:
	s_mov_b64 s[38:39], 0
.LBB63_854:
	s_and_b64 vcc, exec, s[38:39]
	s_cbranch_vccz .LBB63_856
; %bb.855:
	s_cmp_lg_u32 s43, 11
	s_cselect_b64 s[38:39], -1, 0
	s_andn2_b64 s[30:31], s[30:31], exec
	s_and_b64 s[38:39], s[38:39], exec
	s_mov_b64 s[34:35], -1
	s_or_b64 s[30:31], s[30:31], s[38:39]
.LBB63_856:
	s_mov_b64 s[38:39], 0
.LBB63_857:
	s_and_b64 s[40:41], s[38:39], exec
	s_andn2_b64 s[38:39], s[0:1], exec
	s_and_b64 s[30:31], s[30:31], exec
	s_and_b64 s[36:37], s[36:37], exec
	;; [unrolled: 1-line block ×3, first 2 shown]
	s_or_b64 s[38:39], s[38:39], s[30:31]
.LBB63_858:
	s_or_b64 exec, exec, s[26:27]
	s_and_b64 s[30:31], s[34:35], exec
	s_andn2_b64 s[0:1], s[0:1], exec
	s_and_b64 s[34:35], s[38:39], exec
	s_and_b64 s[36:37], s[36:37], exec
	;; [unrolled: 1-line block ×3, first 2 shown]
	s_or_b64 s[0:1], s[0:1], s[34:35]
.LBB63_859:
	s_or_b64 exec, exec, s[24:25]
	s_andn2_b64 s[20:21], s[20:21], exec
	s_and_b64 s[24:25], s[28:29], exec
	s_andn2_b64 s[18:19], s[18:19], exec
	s_and_b64 s[0:1], s[0:1], exec
	s_or_b64 s[20:21], s[20:21], s[24:25]
	s_and_b64 s[28:29], s[36:37], exec
	s_and_b64 s[26:27], s[26:27], exec
	;; [unrolled: 1-line block ×3, first 2 shown]
	s_or_b64 s[18:19], s[18:19], s[0:1]
.LBB63_860:
	s_or_b64 exec, exec, s[22:23]
	s_andn2_b64 s[0:1], s[6:7], exec
	s_and_b64 s[6:7], s[20:21], exec
	s_andn2_b64 s[14:15], s[14:15], exec
	s_and_b64 s[18:19], s[18:19], exec
	s_or_b64 s[6:7], s[0:1], s[6:7]
	s_and_b64 s[0:1], s[28:29], exec
	s_and_b64 s[22:23], s[26:27], exec
	;; [unrolled: 1-line block ×3, first 2 shown]
	s_or_b64 s[14:15], s[14:15], s[18:19]
	s_or_b64 exec, exec, s[16:17]
	s_mov_b64 s[16:17], 0
	s_and_saveexec_b64 s[18:19], s[14:15]
	s_cbranch_execz .LBB63_262
.LBB63_861:
	s_mov_b64 s[16:17], exec
	s_andn2_b64 s[20:21], s[20:21], exec
	s_trap 2
	s_or_b64 exec, exec, s[18:19]
	s_and_saveexec_b64 s[14:15], s[20:21]
	s_xor_b64 s[14:15], exec, s[14:15]
	s_cbranch_execnz .LBB63_263
.LBB63_862:
	s_or_b64 exec, exec, s[14:15]
	s_and_saveexec_b64 s[14:15], s[22:23]
	s_cbranch_execz .LBB63_908
.LBB63_863:
	s_sext_i32_i16 s18, s42
	s_cmp_lt_i32 s18, 5
	s_cbranch_scc1 .LBB63_868
; %bb.864:
	s_cmp_lt_i32 s18, 8
	s_cbranch_scc1 .LBB63_869
; %bb.865:
	;; [unrolled: 3-line block ×3, first 2 shown]
	s_cmp_gt_i32 s18, 9
	s_cbranch_scc0 .LBB63_871
; %bb.867:
	global_load_dwordx2 v[3:4], v[0:1], off
	s_movk_i32 s18, 0x7fff
	s_waitcnt vmcnt(0)
	v_cvt_f32_f64_e32 v3, v[3:4]
	v_mov_b32_e32 v4, 0x7fc0
	v_bfe_u32 v5, v3, 16, 1
	v_cmp_o_f32_e32 vcc, v3, v3
	v_add3_u32 v3, v3, v5, s18
	v_cndmask_b32_sdwa v4, v4, v3, vcc dst_sel:DWORD dst_unused:UNUSED_PAD src0_sel:DWORD src1_sel:WORD_1
	s_mov_b64 s[18:19], 0
	s_branch .LBB63_872
.LBB63_868:
                                        ; implicit-def: $vgpr4
	s_branch .LBB63_889
.LBB63_869:
                                        ; implicit-def: $vgpr4
	s_branch .LBB63_878
.LBB63_870:
	s_mov_b64 s[18:19], -1
                                        ; implicit-def: $vgpr4
	s_branch .LBB63_875
.LBB63_871:
	s_mov_b64 s[18:19], -1
                                        ; implicit-def: $vgpr4
.LBB63_872:
	s_andn2_b64 vcc, exec, s[18:19]
	s_cbranch_vccnz .LBB63_874
; %bb.873:
	global_load_dword v3, v[0:1], off
	s_movk_i32 s18, 0x7fff
	s_waitcnt vmcnt(1)
	v_mov_b32_e32 v4, 0x7fc0
	s_waitcnt vmcnt(0)
	v_bfe_u32 v5, v3, 16, 1
	v_cmp_o_f32_e32 vcc, v3, v3
	v_add3_u32 v3, v3, v5, s18
	v_cndmask_b32_sdwa v4, v4, v3, vcc dst_sel:DWORD dst_unused:UNUSED_PAD src0_sel:DWORD src1_sel:WORD_1
.LBB63_874:
	s_mov_b64 s[18:19], 0
.LBB63_875:
	s_andn2_b64 vcc, exec, s[18:19]
	s_cbranch_vccnz .LBB63_877
; %bb.876:
	global_load_dword v3, v[0:1], off
	s_movk_i32 s18, 0x7fff
	v_mov_b32_e32 v5, 0x7fc0
	s_waitcnt vmcnt(0)
	v_cvt_f32_f16_e32 v4, v3
	v_cmp_o_f16_e32 vcc, v3, v3
	v_bfe_u32 v3, v4, 16, 1
	v_add3_u32 v3, v4, v3, s18
	v_cndmask_b32_sdwa v4, v5, v3, vcc dst_sel:DWORD dst_unused:UNUSED_PAD src0_sel:DWORD src1_sel:WORD_1
.LBB63_877:
	s_cbranch_execnz .LBB63_888
.LBB63_878:
	s_sext_i32_i16 s18, s42
	s_cmp_lt_i32 s18, 6
	s_cbranch_scc1 .LBB63_881
; %bb.879:
	s_cmp_gt_i32 s18, 6
	s_cbranch_scc0 .LBB63_882
; %bb.880:
	global_load_dwordx2 v[3:4], v[0:1], off
	s_movk_i32 s18, 0x7fff
	s_waitcnt vmcnt(0)
	v_cvt_f32_f64_e32 v3, v[3:4]
	v_mov_b32_e32 v4, 0x7fc0
	v_bfe_u32 v5, v3, 16, 1
	v_cmp_o_f32_e32 vcc, v3, v3
	v_add3_u32 v3, v3, v5, s18
	v_cndmask_b32_sdwa v4, v4, v3, vcc dst_sel:DWORD dst_unused:UNUSED_PAD src0_sel:DWORD src1_sel:WORD_1
	s_mov_b64 s[18:19], 0
	s_branch .LBB63_883
.LBB63_881:
	s_mov_b64 s[18:19], -1
                                        ; implicit-def: $vgpr4
	s_branch .LBB63_886
.LBB63_882:
	s_mov_b64 s[18:19], -1
                                        ; implicit-def: $vgpr4
.LBB63_883:
	s_andn2_b64 vcc, exec, s[18:19]
	s_cbranch_vccnz .LBB63_885
; %bb.884:
	global_load_dword v3, v[0:1], off
	s_movk_i32 s18, 0x7fff
	s_waitcnt vmcnt(1)
	v_mov_b32_e32 v4, 0x7fc0
	s_waitcnt vmcnt(0)
	v_bfe_u32 v5, v3, 16, 1
	v_cmp_o_f32_e32 vcc, v3, v3
	v_add3_u32 v3, v3, v5, s18
	v_cndmask_b32_sdwa v4, v4, v3, vcc dst_sel:DWORD dst_unused:UNUSED_PAD src0_sel:DWORD src1_sel:WORD_1
.LBB63_885:
	s_mov_b64 s[18:19], 0
.LBB63_886:
	s_andn2_b64 vcc, exec, s[18:19]
	s_cbranch_vccnz .LBB63_888
; %bb.887:
	global_load_ushort v3, v[0:1], off
	s_movk_i32 s18, 0x7fff
	v_mov_b32_e32 v5, 0x7fc0
	s_waitcnt vmcnt(0)
	v_cvt_f32_f16_e32 v4, v3
	v_cmp_o_f16_e32 vcc, v3, v3
	v_bfe_u32 v3, v4, 16, 1
	v_add3_u32 v3, v4, v3, s18
	v_cndmask_b32_sdwa v4, v5, v3, vcc dst_sel:DWORD dst_unused:UNUSED_PAD src0_sel:DWORD src1_sel:WORD_1
.LBB63_888:
	s_cbranch_execnz .LBB63_907
.LBB63_889:
	s_sext_i32_i16 s18, s42
	s_cmp_lt_i32 s18, 2
	s_cbranch_scc1 .LBB63_893
; %bb.890:
	s_cmp_lt_i32 s18, 3
	s_cbranch_scc1 .LBB63_894
; %bb.891:
	s_cmp_gt_i32 s18, 3
	s_cbranch_scc0 .LBB63_895
; %bb.892:
	global_load_dwordx2 v[3:4], v[0:1], off
	s_movk_i32 s18, 0x7fff
	s_waitcnt vmcnt(0)
	v_xor_b32_e32 v6, v3, v4
	v_ffbh_i32_e32 v5, v4
	v_ashrrev_i32_e32 v6, 31, v6
	v_add_u32_e32 v5, -1, v5
	v_add_u32_e32 v6, 32, v6
	v_min_u32_e32 v5, v5, v6
	v_lshlrev_b64 v[3:4], v5, v[3:4]
	v_min_u32_e32 v3, 1, v3
	v_or_b32_e32 v3, v4, v3
	v_cvt_f32_i32_e32 v3, v3
	v_sub_u32_e32 v4, 32, v5
	v_ldexp_f32 v3, v3, v4
	v_bfe_u32 v4, v3, 16, 1
	v_add3_u32 v3, v3, v4, s18
	v_lshrrev_b32_e32 v4, 16, v3
	s_mov_b64 s[18:19], 0
	s_branch .LBB63_896
.LBB63_893:
                                        ; implicit-def: $vgpr4
	s_branch .LBB63_902
.LBB63_894:
	s_mov_b64 s[18:19], -1
                                        ; implicit-def: $vgpr4
	s_branch .LBB63_899
.LBB63_895:
	s_mov_b64 s[18:19], -1
                                        ; implicit-def: $vgpr4
.LBB63_896:
	s_andn2_b64 vcc, exec, s[18:19]
	s_cbranch_vccnz .LBB63_898
; %bb.897:
	global_load_dword v3, v[0:1], off
	s_movk_i32 s18, 0x7fff
	s_waitcnt vmcnt(0)
	v_cvt_f32_i32_e32 v3, v3
	v_bfe_u32 v4, v3, 16, 1
	v_add3_u32 v3, v3, v4, s18
	v_lshrrev_b32_e32 v4, 16, v3
.LBB63_898:
	s_mov_b64 s[18:19], 0
.LBB63_899:
	s_andn2_b64 vcc, exec, s[18:19]
	s_cbranch_vccnz .LBB63_901
; %bb.900:
	global_load_sshort v3, v[0:1], off
	s_movk_i32 s18, 0x7fff
	s_waitcnt vmcnt(0)
	v_cvt_f32_i32_e32 v3, v3
	v_bfe_u32 v4, v3, 16, 1
	v_add3_u32 v3, v3, v4, s18
	v_lshrrev_b32_e32 v4, 16, v3
.LBB63_901:
	s_cbranch_execnz .LBB63_907
.LBB63_902:
	s_sext_i32_i16 s18, s42
	s_cmp_gt_i32 s18, 0
	s_cbranch_scc0 .LBB63_904
; %bb.903:
	global_load_sbyte v3, v[0:1], off
	s_movk_i32 s18, 0x7fff
	s_waitcnt vmcnt(0)
	v_cvt_f32_i32_e32 v3, v3
	v_bfe_u32 v4, v3, 16, 1
	v_add3_u32 v3, v3, v4, s18
	v_lshrrev_b32_e32 v4, 16, v3
	s_mov_b64 s[18:19], 0
	s_branch .LBB63_905
.LBB63_904:
	s_mov_b64 s[18:19], -1
                                        ; implicit-def: $vgpr4
.LBB63_905:
	s_andn2_b64 vcc, exec, s[18:19]
	s_cbranch_vccnz .LBB63_907
; %bb.906:
	global_load_ubyte v0, v[0:1], off
	s_movk_i32 s18, 0x7fff
	s_waitcnt vmcnt(0)
	v_cvt_f32_ubyte0_e32 v0, v0
	v_bfe_u32 v1, v0, 16, 1
	v_add3_u32 v0, v0, v1, s18
	v_lshrrev_b32_e32 v4, 16, v0
.LBB63_907:
	s_or_b64 s[0:1], s[0:1], exec
.LBB63_908:
	s_or_b64 exec, exec, s[14:15]
	s_mov_b64 s[20:21], 0
	s_mov_b64 s[18:19], 0
                                        ; implicit-def: $sgpr26
                                        ; implicit-def: $vgpr0_vgpr1
                                        ; implicit-def: $vgpr3
	s_and_saveexec_b64 s[14:15], s[0:1]
	s_cbranch_execz .LBB63_926
; %bb.909:
	s_waitcnt vmcnt(0)
	v_lshlrev_b32_e32 v0, 16, v4
	v_fma_f32 v1, |v0|, -0.5, 0.5
	v_mul_f32_e32 v3, v0, v0
	v_cmp_ge_f32_e64 vcc, |v0|, 0.5
	v_cndmask_b32_e32 v1, v3, v1, vcc
	v_mov_b32_e32 v3, 0x3c5fc5da
	v_fmac_f32_e32 v3, 0x3d1c21a7, v1
	v_mov_b32_e32 v4, 0x3d034c3c
	v_fmac_f32_e32 v4, v1, v3
	;; [unrolled: 2-line block ×4, first 2 shown]
	v_sqrt_f32_e32 v3, v1
	v_mov_b32_e32 v5, 0x3e2aaaac
	v_fmac_f32_e32 v5, v1, v4
	v_mul_f32_e32 v1, v1, v5
	v_fmac_f32_e32 v3, v3, v1
	v_add_f32_e32 v3, v3, v3
	v_sub_f32_e32 v3, 0x3fc90fdb, v3
	v_fma_f32 v1, |v0|, v1, |v0|
	v_cmp_lt_f32_e64 vcc, |v0|, 0.5
	v_cndmask_b32_e32 v1, v3, v1, vcc
	s_brev_b32 s0, -2
	v_bfi_b32 v0, s0, v1, v0
	v_bfe_u32 v1, v0, 16, 1
	s_movk_i32 s0, 0x7fff
	v_add3_u32 v1, v0, v1, s0
	v_cmp_o_f32_e32 vcc, v0, v0
	v_mul_lo_u32 v0, v2, s2
	v_mov_b32_e32 v2, 0x7fc0
	v_cndmask_b32_sdwa v3, v2, v1, vcc dst_sel:DWORD dst_unused:UNUSED_PAD src0_sel:DWORD src1_sel:WORD_1
	v_mov_b32_e32 v2, s9
	v_ashrrev_i32_e32 v1, 31, v0
	s_and_b32 s26, s33, 0xff
	v_add_co_u32_e32 v0, vcc, s8, v0
	s_cmp_lt_i32 s26, 11
	v_addc_co_u32_e32 v1, vcc, v2, v1, vcc
	s_cbranch_scc1 .LBB63_929
; %bb.910:
	s_and_b32 s27, 0xffff, s26
	s_mov_b64 s[20:21], -1
	s_cmp_gt_i32 s27, 25
	s_mov_b64 s[0:1], s[6:7]
	s_cbranch_scc0 .LBB63_947
; %bb.911:
	s_mov_b64 s[18:19], -1
	s_cmp_gt_i32 s27, 28
	s_mov_b64 s[0:1], s[6:7]
	s_cbranch_scc0 .LBB63_931
; %bb.912:
	s_cmp_gt_i32 s27, 43
	s_mov_b64 s[0:1], s[6:7]
	s_cbranch_scc0 .LBB63_923
; %bb.913:
	;; [unrolled: 4-line block ×3, first 2 shown]
	s_cmp_eq_u32 s27, 46
	s_mov_b64 s[0:1], -1
	s_cbranch_scc0 .LBB63_916
; %bb.915:
	v_and_b32_e32 v2, 0xffff, v3
	global_store_dword v[0:1], v2, off
	s_mov_b64 s[0:1], 0
.LBB63_916:
	s_mov_b64 s[18:19], 0
.LBB63_917:
	s_and_b64 vcc, exec, s[18:19]
	s_cbranch_vccz .LBB63_922
; %bb.918:
	s_cmp_eq_u32 s27, 44
	s_mov_b64 s[0:1], -1
	s_cbranch_scc0 .LBB63_922
; %bb.919:
	v_and_b32_e32 v4, 0xffff, v3
	v_bfe_u32 v2, v4, 7, 8
	s_movk_i32 s0, 0xff
	v_cmp_ne_u32_e32 vcc, s0, v2
	v_mov_b32_e32 v5, 0xff
	s_and_saveexec_b64 s[18:19], vcc
	s_cbranch_execz .LBB63_921
; %bb.920:
	v_lshlrev_b32_e32 v6, 16, v4
	s_mov_b32 s0, 0x3f0000
	v_lshrrev_b32_e32 v5, 7, v4
	v_and_b32_e32 v4, 64, v4
	v_and_or_b32 v2, v6, s0, v2
	v_cmp_ne_u32_e32 vcc, 0, v4
	v_cmp_ne_u32_e64 s[0:1], 0, v2
	s_and_b64 s[0:1], vcc, s[0:1]
	v_cndmask_b32_e64 v2, 0, 1, s[0:1]
	v_add_u32_e32 v5, v5, v2
.LBB63_921:
	s_or_b64 exec, exec, s[18:19]
	s_mov_b64 s[0:1], 0
	global_store_byte v[0:1], v5, off
.LBB63_922:
	s_mov_b64 s[18:19], 0
.LBB63_923:
	s_and_b64 vcc, exec, s[18:19]
	s_cbranch_vccz .LBB63_930
; %bb.924:
	s_cmp_eq_u32 s27, 29
	s_mov_b64 s[0:1], -1
	s_cbranch_scc0 .LBB63_930
; %bb.925:
	v_lshlrev_b32_e32 v2, 16, v3
	v_trunc_f32_e32 v2, v2
	v_mul_f32_e32 v4, 0x2f800000, v2
	v_floor_f32_e32 v4, v4
	v_fmac_f32_e32 v2, 0xcf800000, v4
	v_cvt_u32_f32_e32 v5, v4
	v_cvt_u32_f32_e32 v4, v2
	s_mov_b64 s[0:1], 0
	s_mov_b64 s[18:19], 0
	global_store_dwordx2 v[0:1], v[4:5], off
	s_branch .LBB63_931
.LBB63_926:
	s_or_b64 exec, exec, s[14:15]
	s_and_saveexec_b64 s[0:1], s[6:7]
	s_cbranch_execnz .LBB63_989
.LBB63_927:
	s_or_b64 exec, exec, s[0:1]
	s_and_saveexec_b64 s[0:1], s[20:21]
	s_xor_b64 s[0:1], exec, s[0:1]
	s_cbranch_execz .LBB63_990
.LBB63_928:
	s_waitcnt vmcnt(0)
	v_and_b32_e32 v2, 0x7fff, v3
	v_cmp_ne_u16_e32 vcc, 0, v2
	v_cndmask_b32_e64 v2, 0, 1, vcc
	global_store_byte v[0:1], v2, off
	s_or_b64 exec, exec, s[0:1]
	s_and_saveexec_b64 s[0:1], s[18:19]
	s_xor_b64 s[0:1], exec, s[0:1]
	s_cbranch_execz .LBB63_1028
	s_branch .LBB63_991
.LBB63_929:
	s_mov_b64 s[18:19], -1
	s_mov_b64 s[0:1], s[6:7]
	s_branch .LBB63_988
.LBB63_930:
	s_mov_b64 s[18:19], 0
.LBB63_931:
	s_and_b64 vcc, exec, s[18:19]
	s_cbranch_vccz .LBB63_946
; %bb.932:
	s_cmp_lt_i32 s27, 27
	s_mov_b64 s[18:19], -1
	s_cbranch_scc1 .LBB63_938
; %bb.933:
	s_cmp_gt_i32 s27, 27
	s_cbranch_scc0 .LBB63_935
; %bb.934:
	v_lshlrev_b32_e32 v2, 16, v3
	v_cvt_u32_f32_e32 v2, v2
	s_mov_b64 s[18:19], 0
	global_store_dword v[0:1], v2, off
.LBB63_935:
	s_andn2_b64 vcc, exec, s[18:19]
	s_cbranch_vccnz .LBB63_937
; %bb.936:
	v_lshlrev_b32_e32 v2, 16, v3
	v_cvt_u32_f32_e32 v2, v2
	global_store_short v[0:1], v2, off
.LBB63_937:
	s_mov_b64 s[18:19], 0
.LBB63_938:
	s_andn2_b64 vcc, exec, s[18:19]
	s_cbranch_vccnz .LBB63_946
; %bb.939:
	v_lshlrev_b32_e32 v5, 16, v3
	v_and_b32_e32 v4, 0x7fffffff, v5
	s_mov_b32 s18, 0x43800000
	v_cmp_gt_u32_e32 vcc, s18, v4
	v_mov_b32_e32 v6, 0x80
	s_and_saveexec_b64 s[18:19], vcc
	s_cbranch_execz .LBB63_945
; %bb.940:
	s_mov_b32 s20, 0x3bffffff
	v_and_b32_e32 v2, 0xffff, v3
	v_cmp_lt_u32_e32 vcc, s20, v4
	s_mov_b64 s[20:21], 0
                                        ; implicit-def: $vgpr4
	s_and_saveexec_b64 s[22:23], vcc
	s_xor_b64 s[22:23], exec, s[22:23]
	s_cbranch_execz .LBB63_1043
; %bb.941:
	v_bfe_u32 v4, v2, 4, 1
	s_mov_b32 s24, 0x487ffff
	v_add3_u32 v4, v5, v4, s24
	s_mov_b64 s[20:21], exec
	v_lshrrev_b32_e32 v4, 20, v4
                                        ; implicit-def: $vgpr5
	s_andn2_saveexec_b64 s[22:23], s[22:23]
	s_cbranch_execnz .LBB63_1044
.LBB63_942:
	s_or_b64 exec, exec, s[22:23]
	v_mov_b32_e32 v6, 0
	s_and_saveexec_b64 s[22:23], s[20:21]
.LBB63_943:
	v_lshrrev_b32_e32 v2, 8, v2
	s_movk_i32 s20, 0x80
	v_and_or_b32 v6, v2, s20, v4
.LBB63_944:
	s_or_b64 exec, exec, s[22:23]
.LBB63_945:
	s_or_b64 exec, exec, s[18:19]
	global_store_byte v[0:1], v6, off
.LBB63_946:
	s_mov_b64 s[20:21], 0
.LBB63_947:
	s_mov_b64 s[18:19], 0
	s_and_b64 vcc, exec, s[20:21]
	s_cbranch_vccz .LBB63_987
; %bb.948:
	s_cmp_gt_i32 s27, 22
	s_mov_b64 s[20:21], -1
	s_cbranch_scc0 .LBB63_980
; %bb.949:
	s_cmp_lt_i32 s27, 24
	s_cbranch_scc1 .LBB63_969
; %bb.950:
	s_cmp_gt_i32 s27, 24
	s_cbranch_scc0 .LBB63_958
; %bb.951:
	v_lshlrev_b32_e32 v5, 16, v3
	v_and_b32_e32 v4, 0x7fffffff, v5
	s_mov_b32 s20, 0x47800000
	v_cmp_gt_u32_e32 vcc, s20, v4
	v_mov_b32_e32 v6, 0x80
	s_and_saveexec_b64 s[20:21], vcc
	s_cbranch_execz .LBB63_957
; %bb.952:
	s_mov_b32 s22, 0x37ffffff
	v_and_b32_e32 v2, 0xffff, v3
	v_cmp_lt_u32_e32 vcc, s22, v4
	s_mov_b64 s[22:23], 0
                                        ; implicit-def: $vgpr4
	s_and_saveexec_b64 s[24:25], vcc
	s_xor_b64 s[24:25], exec, s[24:25]
	s_cbranch_execz .LBB63_1167
; %bb.953:
	v_bfe_u32 v4, v2, 5, 1
	s_mov_b32 s28, 0x88fffff
	v_add3_u32 v4, v5, v4, s28
	s_mov_b64 s[22:23], exec
	v_lshrrev_b32_e32 v4, 21, v4
                                        ; implicit-def: $vgpr5
	s_andn2_saveexec_b64 s[24:25], s[24:25]
	s_cbranch_execnz .LBB63_1168
.LBB63_954:
	s_or_b64 exec, exec, s[24:25]
	v_mov_b32_e32 v6, 0
	s_and_saveexec_b64 s[24:25], s[22:23]
.LBB63_955:
	v_lshrrev_b32_e32 v2, 8, v2
	s_movk_i32 s22, 0x80
	v_and_or_b32 v6, v2, s22, v4
.LBB63_956:
	s_or_b64 exec, exec, s[24:25]
.LBB63_957:
	s_or_b64 exec, exec, s[20:21]
	s_mov_b64 s[20:21], 0
	global_store_byte v[0:1], v6, off
.LBB63_958:
	s_and_b64 vcc, exec, s[20:21]
	s_cbranch_vccz .LBB63_968
; %bb.959:
	v_lshlrev_b32_e32 v5, 16, v3
	v_and_b32_e32 v6, 0x7fffffff, v5
	s_mov_b32 s20, 0x43f00000
	v_and_b32_e32 v2, 0xffff, v3
	v_cmp_gt_u32_e32 vcc, s20, v6
                                        ; implicit-def: $vgpr4
	s_and_saveexec_b64 s[20:21], vcc
	s_xor_b64 s[20:21], exec, s[20:21]
	s_cbranch_execz .LBB63_965
; %bb.960:
	s_mov_b32 s22, 0x3c7fffff
	v_cmp_lt_u32_e32 vcc, s22, v6
                                        ; implicit-def: $vgpr4
	s_and_saveexec_b64 s[22:23], vcc
	s_xor_b64 s[22:23], exec, s[22:23]
; %bb.961:
	v_bfe_u32 v4, v2, 4, 1
	s_mov_b32 s24, 0x407ffff
	v_add3_u32 v4, v5, v4, s24
	v_lshrrev_b32_e32 v5, 20, v4
	v_and_b32_e32 v4, 0xff00000, v4
	s_mov_b32 s24, 0x7f00000
	v_mov_b32_e32 v6, 0x7e
	v_cmp_ne_u32_e32 vcc, s24, v4
	v_cndmask_b32_e32 v4, v6, v5, vcc
                                        ; implicit-def: $vgpr5
; %bb.962:
	s_andn2_saveexec_b64 s[22:23], s[22:23]
; %bb.963:
	s_mov_b32 s24, 0x46800000
	v_add_f32_e64 v4, |v5|, s24
; %bb.964:
	s_or_b64 exec, exec, s[22:23]
                                        ; implicit-def: $vgpr6
.LBB63_965:
	s_andn2_saveexec_b64 s[20:21], s[20:21]
; %bb.966:
	s_mov_b32 s22, 0x7f800000
	v_mov_b32_e32 v4, 0x7e
	v_mov_b32_e32 v5, 0x7f
	v_cmp_lt_u32_e32 vcc, s22, v6
	v_cndmask_b32_e32 v4, v4, v5, vcc
; %bb.967:
	s_or_b64 exec, exec, s[20:21]
	v_lshrrev_b32_e32 v2, 8, v2
	s_movk_i32 s20, 0x80
	v_and_or_b32 v2, v2, s20, v4
	global_store_byte v[0:1], v2, off
.LBB63_968:
	s_mov_b64 s[20:21], 0
.LBB63_969:
	s_andn2_b64 vcc, exec, s[20:21]
	s_cbranch_vccnz .LBB63_979
; %bb.970:
	v_lshlrev_b32_e32 v5, 16, v3
	v_and_b32_e32 v6, 0x7fffffff, v5
	s_mov_b32 s20, 0x47800000
	v_and_b32_e32 v2, 0xffff, v3
	v_cmp_gt_u32_e32 vcc, s20, v6
                                        ; implicit-def: $vgpr4
	s_and_saveexec_b64 s[20:21], vcc
	s_xor_b64 s[20:21], exec, s[20:21]
	s_cbranch_execz .LBB63_976
; %bb.971:
	s_mov_b32 s22, 0x387fffff
	v_cmp_lt_u32_e32 vcc, s22, v6
                                        ; implicit-def: $vgpr4
	s_and_saveexec_b64 s[22:23], vcc
	s_xor_b64 s[22:23], exec, s[22:23]
; %bb.972:
	v_bfe_u32 v4, v2, 5, 1
	s_mov_b32 s24, 0x80fffff
	v_add3_u32 v4, v5, v4, s24
	v_lshrrev_b32_e32 v4, 21, v4
                                        ; implicit-def: $vgpr5
; %bb.973:
	s_andn2_saveexec_b64 s[22:23], s[22:23]
; %bb.974:
	s_mov_b32 s24, 0x43000000
	v_add_f32_e64 v4, |v5|, s24
; %bb.975:
	s_or_b64 exec, exec, s[22:23]
                                        ; implicit-def: $vgpr6
.LBB63_976:
	s_andn2_saveexec_b64 s[20:21], s[20:21]
; %bb.977:
	s_mov_b32 s22, 0x7f800000
	v_mov_b32_e32 v4, 0x7c
	v_mov_b32_e32 v5, 0x7f
	v_cmp_lt_u32_e32 vcc, s22, v6
	v_cndmask_b32_e32 v4, v4, v5, vcc
; %bb.978:
	s_or_b64 exec, exec, s[20:21]
	v_lshrrev_b32_e32 v2, 8, v2
	s_movk_i32 s20, 0x80
	v_and_or_b32 v2, v2, s20, v4
	global_store_byte v[0:1], v2, off
.LBB63_979:
	s_mov_b64 s[20:21], 0
.LBB63_980:
	s_andn2_b64 vcc, exec, s[20:21]
	s_mov_b64 s[20:21], 0
	s_cbranch_vccnz .LBB63_988
; %bb.981:
	s_cmp_gt_i32 s27, 14
	s_mov_b64 s[22:23], -1
	s_cbranch_scc0 .LBB63_985
; %bb.982:
	s_cmp_eq_u32 s27, 15
	s_mov_b64 s[0:1], -1
	s_cbranch_scc0 .LBB63_984
; %bb.983:
	global_store_short v[0:1], v3, off
	s_mov_b64 s[0:1], 0
.LBB63_984:
	s_mov_b64 s[22:23], 0
.LBB63_985:
	s_and_b64 vcc, exec, s[22:23]
	s_cbranch_vccz .LBB63_988
; %bb.986:
	s_cmp_lg_u32 s27, 11
	s_cselect_b64 s[22:23], -1, 0
	s_andn2_b64 s[0:1], s[0:1], exec
	s_and_b64 s[22:23], s[22:23], exec
	s_mov_b64 s[20:21], -1
	s_or_b64 s[0:1], s[0:1], s[22:23]
	s_branch .LBB63_988
.LBB63_987:
	s_mov_b64 s[20:21], 0
.LBB63_988:
	s_andn2_b64 s[6:7], s[6:7], exec
	s_and_b64 s[0:1], s[0:1], exec
	s_and_b64 s[18:19], s[18:19], exec
	;; [unrolled: 1-line block ×3, first 2 shown]
	s_or_b64 s[6:7], s[6:7], s[0:1]
	s_or_b64 exec, exec, s[14:15]
	s_and_saveexec_b64 s[0:1], s[6:7]
	s_cbranch_execz .LBB63_927
.LBB63_989:
	s_or_b64 s[16:17], s[16:17], exec
	s_andn2_b64 s[20:21], s[20:21], exec
	s_trap 2
	s_or_b64 exec, exec, s[0:1]
	s_and_saveexec_b64 s[0:1], s[20:21]
	s_xor_b64 s[0:1], exec, s[0:1]
	s_cbranch_execnz .LBB63_928
.LBB63_990:
	s_or_b64 exec, exec, s[0:1]
	s_and_saveexec_b64 s[0:1], s[18:19]
	s_xor_b64 s[0:1], exec, s[0:1]
	s_cbranch_execz .LBB63_1028
.LBB63_991:
	s_sext_i32_i16 s14, s26
	s_cmp_lt_i32 s14, 5
	s_mov_b64 s[6:7], -1
	s_cbranch_scc1 .LBB63_1012
; %bb.992:
	s_cmp_lt_i32 s14, 8
	s_cbranch_scc1 .LBB63_1002
; %bb.993:
	s_cmp_lt_i32 s14, 9
	s_cbranch_scc1 .LBB63_999
; %bb.994:
	s_cmp_gt_i32 s14, 9
	s_cbranch_scc0 .LBB63_996
; %bb.995:
	s_waitcnt vmcnt(0)
	v_lshlrev_b32_e32 v2, 16, v3
	v_cvt_f64_f32_e32 v[4:5], v2
	v_mov_b32_e32 v6, 0
	v_mov_b32_e32 v7, v6
	s_mov_b64 s[6:7], 0
	global_store_dwordx4 v[0:1], v[4:7], off
.LBB63_996:
	s_andn2_b64 vcc, exec, s[6:7]
	s_cbranch_vccnz .LBB63_998
; %bb.997:
	s_waitcnt vmcnt(0)
	v_lshlrev_b32_e32 v4, 16, v3
	v_mov_b32_e32 v5, 0
	global_store_dwordx2 v[0:1], v[4:5], off
.LBB63_998:
	s_mov_b64 s[6:7], 0
.LBB63_999:
	s_andn2_b64 vcc, exec, s[6:7]
	s_cbranch_vccnz .LBB63_1001
; %bb.1000:
	s_waitcnt vmcnt(0)
	v_lshlrev_b32_e32 v2, 16, v3
	v_cvt_f16_f32_e32 v2, v2
	global_store_dword v[0:1], v2, off
.LBB63_1001:
	s_mov_b64 s[6:7], 0
.LBB63_1002:
	s_andn2_b64 vcc, exec, s[6:7]
	s_cbranch_vccnz .LBB63_1011
; %bb.1003:
	s_sext_i32_i16 s14, s26
	s_cmp_lt_i32 s14, 6
	s_mov_b64 s[6:7], -1
	s_cbranch_scc1 .LBB63_1009
; %bb.1004:
	s_cmp_gt_i32 s14, 6
	s_cbranch_scc0 .LBB63_1006
; %bb.1005:
	s_waitcnt vmcnt(0)
	v_lshlrev_b32_e32 v2, 16, v3
	v_cvt_f64_f32_e32 v[4:5], v2
	s_mov_b64 s[6:7], 0
	global_store_dwordx2 v[0:1], v[4:5], off
.LBB63_1006:
	s_andn2_b64 vcc, exec, s[6:7]
	s_cbranch_vccnz .LBB63_1008
; %bb.1007:
	s_waitcnt vmcnt(0)
	v_lshlrev_b32_e32 v2, 16, v3
	global_store_dword v[0:1], v2, off
.LBB63_1008:
	s_mov_b64 s[6:7], 0
.LBB63_1009:
	s_andn2_b64 vcc, exec, s[6:7]
	s_cbranch_vccnz .LBB63_1011
; %bb.1010:
	s_waitcnt vmcnt(0)
	v_lshlrev_b32_e32 v2, 16, v3
	v_cvt_f16_f32_e32 v2, v2
	global_store_short v[0:1], v2, off
.LBB63_1011:
	s_mov_b64 s[6:7], 0
.LBB63_1012:
	s_andn2_b64 vcc, exec, s[6:7]
	s_cbranch_vccnz .LBB63_1028
; %bb.1013:
	s_sext_i32_i16 s14, s26
	s_cmp_lt_i32 s14, 2
	s_mov_b64 s[6:7], -1
	s_cbranch_scc1 .LBB63_1023
; %bb.1014:
	s_cmp_lt_i32 s14, 3
	s_cbranch_scc1 .LBB63_1020
; %bb.1015:
	s_cmp_gt_i32 s14, 3
	s_cbranch_scc0 .LBB63_1017
; %bb.1016:
	s_waitcnt vmcnt(0)
	v_lshlrev_b32_e32 v2, 16, v3
	v_trunc_f32_e32 v2, v2
	s_mov_b32 s6, 0x2f800000
	v_mul_f32_e64 v4, |v2|, s6
	v_floor_f32_e32 v4, v4
	s_mov_b32 s6, 0xcf800000
	v_cvt_u32_f32_e32 v5, v4
	v_fma_f32 v4, v4, s6, |v2|
	v_cvt_u32_f32_e32 v4, v4
	v_ashrrev_i32_e32 v2, 31, v2
	v_xor_b32_e32 v5, v5, v2
	s_mov_b64 s[6:7], 0
	v_xor_b32_e32 v4, v4, v2
	v_sub_co_u32_e32 v4, vcc, v4, v2
	v_subb_co_u32_e32 v5, vcc, v5, v2, vcc
	global_store_dwordx2 v[0:1], v[4:5], off
.LBB63_1017:
	s_andn2_b64 vcc, exec, s[6:7]
	s_cbranch_vccnz .LBB63_1019
; %bb.1018:
	s_waitcnt vmcnt(0)
	v_lshlrev_b32_e32 v2, 16, v3
	v_cvt_i32_f32_e32 v2, v2
	global_store_dword v[0:1], v2, off
.LBB63_1019:
	s_mov_b64 s[6:7], 0
.LBB63_1020:
	s_andn2_b64 vcc, exec, s[6:7]
	s_cbranch_vccnz .LBB63_1022
; %bb.1021:
	s_waitcnt vmcnt(0)
	v_lshlrev_b32_e32 v2, 16, v3
	v_cvt_i32_f32_e32 v2, v2
	global_store_short v[0:1], v2, off
.LBB63_1022:
	s_mov_b64 s[6:7], 0
.LBB63_1023:
	s_andn2_b64 vcc, exec, s[6:7]
	s_cbranch_vccnz .LBB63_1028
; %bb.1024:
	s_sext_i32_i16 s14, s26
	s_mov_b64 s[6:7], -1
	s_cmp_gt_i32 s14, 0
	s_waitcnt vmcnt(0)
	v_lshlrev_b32_e32 v2, 16, v3
	s_cbranch_scc0 .LBB63_1026
; %bb.1025:
	v_cvt_i32_f32_e32 v3, v2
	s_mov_b64 s[6:7], 0
	global_store_byte v[0:1], v3, off
.LBB63_1026:
	s_andn2_b64 vcc, exec, s[6:7]
	s_cbranch_vccnz .LBB63_1028
; %bb.1027:
	v_trunc_f32_e32 v2, v2
	s_mov_b32 s6, 0x2f800000
	v_mul_f32_e64 v3, |v2|, s6
	v_floor_f32_e32 v3, v3
	s_mov_b32 s6, 0xcf800000
	v_fma_f32 v3, v3, s6, |v2|
	v_cvt_u32_f32_e32 v3, v3
	v_ashrrev_i32_e32 v2, 31, v2
	v_xor_b32_e32 v3, v3, v2
	v_sub_u32_e32 v2, v3, v2
	global_store_byte v[0:1], v2, off
.LBB63_1028:
	s_or_b64 exec, exec, s[0:1]
	s_and_b64 s[6:7], s[16:17], exec
                                        ; implicit-def: $vgpr2
.LBB63_1029:
	s_or_saveexec_b64 s[4:5], s[4:5]
	s_mov_b64 s[0:1], 0
                                        ; implicit-def: $sgpr20
                                        ; implicit-def: $vgpr0_vgpr1
                                        ; implicit-def: $vgpr3
	s_xor_b64 exec, exec, s[4:5]
	s_cbranch_execz .LBB63_1976
; %bb.1030:
	s_waitcnt vmcnt(0)
	v_mul_lo_u32 v4, s3, v2
	v_mov_b32_e32 v1, s11
	s_and_b32 s22, 0xffff, s42
	s_cmp_lt_i32 s22, 11
	v_ashrrev_i32_e32 v3, 31, v4
	v_add_co_u32_e32 v0, vcc, s10, v4
	v_addc_co_u32_e32 v1, vcc, v1, v3, vcc
	s_cbranch_scc1 .LBB63_1037
; %bb.1031:
	s_cmp_gt_i32 s22, 25
	s_cbranch_scc0 .LBB63_1039
; %bb.1032:
	s_cmp_gt_i32 s22, 28
	s_cbranch_scc0 .LBB63_1040
	;; [unrolled: 3-line block ×4, first 2 shown]
; %bb.1035:
	s_cmp_eq_u32 s22, 46
	s_mov_b64 s[14:15], 0
	s_cbranch_scc0 .LBB63_1045
; %bb.1036:
	global_load_dword v3, v[0:1], off
	s_mov_b64 s[16:17], -1
	s_branch .LBB63_1046
.LBB63_1037:
	s_mov_b64 s[16:17], 0
                                        ; implicit-def: $vgpr3
	s_mov_b64 s[14:15], s[6:7]
	s_cbranch_execnz .LBB63_1108
.LBB63_1038:
	s_andn2_b64 vcc, exec, s[16:17]
	s_cbranch_vccz .LBB63_1153
	s_branch .LBB63_1974
.LBB63_1039:
	s_mov_b64 s[16:17], 0
                                        ; implicit-def: $vgpr3
	s_cbranch_execnz .LBB63_1073
	s_branch .LBB63_1104
.LBB63_1040:
	s_mov_b64 s[16:17], 0
                                        ; implicit-def: $vgpr3
	s_cbranch_execz .LBB63_1072
	s_branch .LBB63_1055
.LBB63_1041:
	s_mov_b64 s[16:17], 0
                                        ; implicit-def: $vgpr3
	s_cbranch_execnz .LBB63_1051
	s_branch .LBB63_1054
.LBB63_1042:
	s_mov_b64 s[14:15], -1
	s_mov_b64 s[16:17], 0
                                        ; implicit-def: $vgpr3
	s_branch .LBB63_1046
.LBB63_1043:
	s_andn2_saveexec_b64 s[22:23], s[22:23]
	s_cbranch_execz .LBB63_942
.LBB63_1044:
	s_mov_b32 s24, 0x46000000
	v_add_f32_e64 v4, |v5|, s24
	v_and_b32_e32 v4, 0xff, v4
	v_cmp_ne_u32_e32 vcc, 0, v4
	s_andn2_b64 s[20:21], s[20:21], exec
	s_and_b64 s[24:25], vcc, exec
	s_or_b64 s[20:21], s[20:21], s[24:25]
	s_or_b64 exec, exec, s[22:23]
	v_mov_b32_e32 v6, 0
	s_and_saveexec_b64 s[22:23], s[20:21]
	s_cbranch_execnz .LBB63_943
	s_branch .LBB63_944
.LBB63_1045:
	s_mov_b64 s[0:1], -1
                                        ; implicit-def: $vgpr3
	s_mov_b64 s[16:17], 0
.LBB63_1046:
	s_and_b64 vcc, exec, s[14:15]
	s_cbranch_vccz .LBB63_1049
; %bb.1047:
	s_cmp_eq_u32 s22, 44
	s_cbranch_scc0 .LBB63_1050
; %bb.1048:
	global_load_ubyte v3, v[0:1], off
	s_movk_i32 s14, 0xff
	v_mov_b32_e32 v5, 0x7f800001
	v_mov_b32_e32 v6, 0x400000
	;; [unrolled: 1-line block ×3, first 2 shown]
	s_mov_b64 s[0:1], 0
	s_mov_b64 s[16:17], -1
	s_waitcnt vmcnt(0)
	v_lshlrev_b32_e32 v8, 23, v3
	v_cmp_ne_u32_e32 vcc, s14, v3
	v_cndmask_b32_e32 v5, v5, v8, vcc
	v_cmp_ne_u32_e32 vcc, 0, v3
	v_cndmask_b32_e32 v3, v6, v5, vcc
	v_add_u32_e32 v5, 0x7fff, v3
	v_cmp_o_f32_e32 vcc, v3, v3
	v_cndmask_b32_sdwa v3, v7, v5, vcc dst_sel:DWORD dst_unused:UNUSED_PAD src0_sel:DWORD src1_sel:WORD_1
.LBB63_1049:
	s_branch .LBB63_1054
.LBB63_1050:
	s_mov_b64 s[0:1], -1
                                        ; implicit-def: $vgpr3
	s_branch .LBB63_1054
.LBB63_1051:
	s_cmp_eq_u32 s22, 29
	s_cbranch_scc0 .LBB63_1053
; %bb.1052:
	global_load_dwordx2 v[5:6], v[0:1], off
	s_movk_i32 s14, 0x7fff
	s_mov_b64 s[0:1], 0
	s_mov_b64 s[16:17], -1
	s_waitcnt vmcnt(0)
	v_ffbh_u32_e32 v3, v6
	v_min_u32_e32 v3, 32, v3
	v_lshlrev_b64 v[5:6], v3, v[5:6]
	v_sub_u32_e32 v3, 32, v3
	v_min_u32_e32 v5, 1, v5
	v_or_b32_e32 v5, v6, v5
	v_cvt_f32_u32_e32 v5, v5
	v_ldexp_f32 v3, v5, v3
	v_bfe_u32 v5, v3, 16, 1
	v_add3_u32 v3, v3, v5, s14
	v_lshrrev_b32_e32 v3, 16, v3
	s_branch .LBB63_1054
.LBB63_1053:
	s_mov_b64 s[0:1], -1
                                        ; implicit-def: $vgpr3
.LBB63_1054:
	s_branch .LBB63_1072
.LBB63_1055:
	s_cmp_lt_i32 s22, 27
	s_cbranch_scc1 .LBB63_1058
; %bb.1056:
	s_cmp_gt_i32 s22, 27
	s_cbranch_scc0 .LBB63_1059
; %bb.1057:
	global_load_dword v3, v[0:1], off
	s_movk_i32 s14, 0x7fff
	s_waitcnt vmcnt(0)
	v_cvt_f32_u32_e32 v3, v3
	v_bfe_u32 v5, v3, 16, 1
	v_add3_u32 v3, v3, v5, s14
	v_lshrrev_b32_e32 v3, 16, v3
	s_mov_b64 s[14:15], 0
	s_branch .LBB63_1060
.LBB63_1058:
	s_mov_b64 s[14:15], -1
                                        ; implicit-def: $vgpr3
	s_branch .LBB63_1063
.LBB63_1059:
	s_mov_b64 s[14:15], -1
                                        ; implicit-def: $vgpr3
.LBB63_1060:
	s_andn2_b64 vcc, exec, s[14:15]
	s_cbranch_vccnz .LBB63_1062
; %bb.1061:
	global_load_ushort v3, v[0:1], off
	s_movk_i32 s14, 0x7fff
	s_waitcnt vmcnt(0)
	v_cvt_f32_u32_e32 v3, v3
	v_bfe_u32 v5, v3, 16, 1
	v_add3_u32 v3, v3, v5, s14
	v_lshrrev_b32_e32 v3, 16, v3
.LBB63_1062:
	s_mov_b64 s[14:15], 0
.LBB63_1063:
	s_andn2_b64 vcc, exec, s[14:15]
	s_cbranch_vccnz .LBB63_1071
; %bb.1064:
	global_load_ubyte v3, v[0:1], off
	s_movk_i32 s14, 0x7f
	s_waitcnt vmcnt(0)
	v_cmp_lt_i16_e32 vcc, s14, v3
	s_mov_b64 s[14:15], 0
	s_and_saveexec_b64 s[16:17], vcc
	s_xor_b64 s[16:17], exec, s[16:17]
	s_cbranch_execz .LBB63_1084
; %bb.1065:
	s_movk_i32 s14, 0x80
	v_cmp_eq_u16_e32 vcc, s14, v3
	s_mov_b64 s[14:15], -1
	s_and_saveexec_b64 s[18:19], vcc
; %bb.1066:
	s_xor_b64 s[14:15], exec, -1
; %bb.1067:
	s_or_b64 exec, exec, s[18:19]
	s_and_b64 s[14:15], s[14:15], exec
	s_or_saveexec_b64 s[16:17], s[16:17]
	v_mov_b32_e32 v5, 0x7f800001
	s_xor_b64 exec, exec, s[16:17]
	s_cbranch_execnz .LBB63_1085
.LBB63_1068:
	s_or_b64 exec, exec, s[16:17]
	s_and_saveexec_b64 s[16:17], s[14:15]
	s_cbranch_execz .LBB63_1070
.LBB63_1069:
	v_lshlrev_b32_e32 v5, 24, v3
	v_and_b32_e32 v3, 0xffff, v3
	v_and_b32_e32 v6, 7, v3
	v_ffbh_u32_e32 v8, v6
	v_min_u32_e32 v8, 32, v8
	v_subrev_u32_e32 v9, 28, v8
	v_bfe_u32 v7, v3, 3, 4
	v_lshlrev_b32_e32 v3, v9, v3
	v_sub_u32_e32 v8, 29, v8
	v_and_b32_e32 v3, 7, v3
	v_cmp_eq_u32_e32 vcc, 0, v7
	v_cndmask_b32_e32 v7, v7, v8, vcc
	v_cndmask_b32_e32 v3, v6, v3, vcc
	v_mov_b32_e32 v6, 0x3b800000
	v_lshlrev_b32_e32 v3, 20, v3
	v_and_b32_e32 v5, 0x80000000, v5
	v_lshl_add_u32 v6, v7, 23, v6
	v_or3_b32 v5, v5, v6, v3
.LBB63_1070:
	s_or_b64 exec, exec, s[16:17]
	v_bfe_u32 v3, v5, 16, 1
	s_movk_i32 s14, 0x7fff
	v_add3_u32 v3, v5, v3, s14
	v_cmp_o_f32_e32 vcc, v5, v5
	v_mov_b32_e32 v5, 0x7fc0
	v_cndmask_b32_sdwa v3, v5, v3, vcc dst_sel:DWORD dst_unused:UNUSED_PAD src0_sel:DWORD src1_sel:WORD_1
.LBB63_1071:
	s_mov_b64 s[16:17], -1
.LBB63_1072:
	s_branch .LBB63_1104
.LBB63_1073:
	s_cmp_gt_i32 s22, 22
	s_cbranch_scc0 .LBB63_1083
; %bb.1074:
	s_cmp_lt_i32 s22, 24
	s_cbranch_scc1 .LBB63_1086
; %bb.1075:
	s_cmp_gt_i32 s22, 24
	s_cbranch_scc0 .LBB63_1087
; %bb.1076:
	global_load_ubyte v3, v[0:1], off
	s_movk_i32 s12, 0x7f
	s_waitcnt vmcnt(0)
	v_cmp_lt_i16_e32 vcc, s12, v3
	s_mov_b64 s[12:13], 0
	s_and_saveexec_b64 s[14:15], vcc
	s_xor_b64 s[14:15], exec, s[14:15]
	s_cbranch_execz .LBB63_1098
; %bb.1077:
	s_movk_i32 s12, 0x80
	v_cmp_eq_u16_e32 vcc, s12, v3
	s_mov_b64 s[12:13], -1
	s_and_saveexec_b64 s[16:17], vcc
; %bb.1078:
	s_xor_b64 s[12:13], exec, -1
; %bb.1079:
	s_or_b64 exec, exec, s[16:17]
	s_and_b64 s[12:13], s[12:13], exec
	s_or_saveexec_b64 s[14:15], s[14:15]
	v_mov_b32_e32 v5, 0x7f800001
	s_xor_b64 exec, exec, s[14:15]
	s_cbranch_execnz .LBB63_1099
.LBB63_1080:
	s_or_b64 exec, exec, s[14:15]
	s_and_saveexec_b64 s[14:15], s[12:13]
	s_cbranch_execz .LBB63_1082
.LBB63_1081:
	v_lshlrev_b32_e32 v5, 24, v3
	v_and_b32_e32 v3, 0xffff, v3
	v_and_b32_e32 v6, 3, v3
	v_ffbh_u32_e32 v8, v6
	v_min_u32_e32 v8, 32, v8
	v_subrev_u32_e32 v9, 29, v8
	v_bfe_u32 v7, v3, 2, 5
	v_lshlrev_b32_e32 v3, v9, v3
	v_sub_u32_e32 v8, 30, v8
	v_and_b32_e32 v3, 3, v3
	v_cmp_eq_u32_e32 vcc, 0, v7
	v_cndmask_b32_e32 v7, v7, v8, vcc
	v_cndmask_b32_e32 v3, v6, v3, vcc
	v_mov_b32_e32 v6, 0x37800000
	v_lshlrev_b32_e32 v3, 21, v3
	v_and_b32_e32 v5, 0x80000000, v5
	v_lshl_add_u32 v6, v7, 23, v6
	v_or3_b32 v5, v5, v6, v3
.LBB63_1082:
	s_or_b64 exec, exec, s[14:15]
	v_bfe_u32 v3, v5, 16, 1
	s_movk_i32 s12, 0x7fff
	v_add3_u32 v3, v5, v3, s12
	v_cmp_o_f32_e32 vcc, v5, v5
	v_mov_b32_e32 v5, 0x7fc0
	v_cndmask_b32_sdwa v3, v5, v3, vcc dst_sel:DWORD dst_unused:UNUSED_PAD src0_sel:DWORD src1_sel:WORD_1
	s_mov_b64 s[12:13], 0
	s_branch .LBB63_1088
.LBB63_1083:
                                        ; implicit-def: $vgpr3
	s_mov_b64 s[12:13], 0
	s_branch .LBB63_1094
.LBB63_1084:
	s_or_saveexec_b64 s[16:17], s[16:17]
	v_mov_b32_e32 v5, 0x7f800001
	s_xor_b64 exec, exec, s[16:17]
	s_cbranch_execz .LBB63_1068
.LBB63_1085:
	v_cmp_ne_u16_e32 vcc, 0, v3
	s_andn2_b64 s[14:15], s[14:15], exec
	s_and_b64 s[18:19], vcc, exec
	v_mov_b32_e32 v5, 0
	s_or_b64 s[14:15], s[14:15], s[18:19]
	s_or_b64 exec, exec, s[16:17]
	s_and_saveexec_b64 s[16:17], s[14:15]
	s_cbranch_execnz .LBB63_1069
	s_branch .LBB63_1070
.LBB63_1086:
	s_mov_b64 s[12:13], -1
                                        ; implicit-def: $vgpr3
	s_branch .LBB63_1091
.LBB63_1087:
	s_mov_b64 s[12:13], -1
                                        ; implicit-def: $vgpr3
.LBB63_1088:
	s_and_b64 vcc, exec, s[12:13]
	s_cbranch_vccz .LBB63_1090
; %bb.1089:
	global_load_ubyte v3, v[0:1], off
	s_mov_b32 s12, 0x7f800000
	s_brev_b32 s13, 1
	s_movk_i32 s14, 0x7fff
	s_waitcnt vmcnt(0)
	v_lshlrev_b32_e32 v3, 24, v3
	v_and_b32_e32 v5, 0x7f000000, v3
	v_ffbh_u32_e32 v6, v5
	v_min_u32_e32 v6, 32, v6
	v_sub_u32_e64 v6, v6, 4 clamp
	v_lshlrev_b32_e32 v8, v6, v5
	v_lshlrev_b32_e32 v6, 23, v6
	v_lshrrev_b32_e32 v8, 4, v8
	v_add_u32_e32 v7, 0x1000000, v5
	v_sub_u32_e32 v6, v8, v6
	v_ashrrev_i32_e32 v7, 8, v7
	v_add_u32_e32 v6, 0x3c000000, v6
	v_and_or_b32 v6, v7, s12, v6
	v_cmp_ne_u32_e32 vcc, 0, v5
	v_cndmask_b32_e32 v5, 0, v6, vcc
	v_and_or_b32 v3, v3, s13, v5
	v_bfe_u32 v5, v5, 16, 1
	v_add3_u32 v5, v3, v5, s14
	v_cmp_o_f32_e32 vcc, v3, v3
	v_mov_b32_e32 v3, 0x7fc0
	v_cndmask_b32_sdwa v3, v3, v5, vcc dst_sel:DWORD dst_unused:UNUSED_PAD src0_sel:DWORD src1_sel:WORD_1
.LBB63_1090:
	s_mov_b64 s[12:13], 0
.LBB63_1091:
	s_andn2_b64 vcc, exec, s[12:13]
	s_cbranch_vccnz .LBB63_1093
; %bb.1092:
	global_load_ubyte v3, v[0:1], off
	s_movk_i32 s12, 0x7f00
	s_brev_b32 s13, 16
	s_brev_b32 s14, 1
	s_movk_i32 s15, 0x7fff
	s_waitcnt vmcnt(0)
	v_lshlrev_b16_e32 v5, 8, v3
	v_lshlrev_b32_e32 v3, 25, v3
	v_lshrrev_b32_e32 v6, 4, v3
	v_and_or_b32 v7, v5, s12, 0.5
	v_or_b32_e32 v6, 0x70000000, v6
	v_add_f32_e32 v7, -0.5, v7
	v_mul_f32_e32 v6, 0x7800000, v6
	v_cmp_gt_u32_e32 vcc, s13, v3
	v_bfe_i32 v5, v5, 0, 16
	v_cndmask_b32_e32 v3, v6, v7, vcc
	v_and_or_b32 v5, v5, s14, v3
	v_bfe_u32 v3, v3, 16, 1
	v_add3_u32 v3, v5, v3, s15
	v_cmp_o_f32_e32 vcc, v5, v5
	v_mov_b32_e32 v5, 0x7fc0
	v_cndmask_b32_sdwa v3, v5, v3, vcc dst_sel:DWORD dst_unused:UNUSED_PAD src0_sel:DWORD src1_sel:WORD_1
.LBB63_1093:
	s_mov_b64 s[16:17], -1
	s_mov_b64 s[12:13], 0
	s_cbranch_execnz .LBB63_1104
.LBB63_1094:
	s_cmp_gt_i32 s22, 14
	s_cbranch_scc0 .LBB63_1097
; %bb.1095:
	s_cmp_eq_u32 s22, 15
	s_cbranch_scc0 .LBB63_1100
; %bb.1096:
	global_load_ushort v3, v[0:1], off
	s_mov_b64 s[0:1], 0
	s_mov_b64 s[16:17], -1
	s_branch .LBB63_1101
.LBB63_1097:
	s_mov_b64 s[14:15], -1
                                        ; implicit-def: $vgpr3
	s_branch .LBB63_1102
.LBB63_1098:
	s_or_saveexec_b64 s[14:15], s[14:15]
	v_mov_b32_e32 v5, 0x7f800001
	s_xor_b64 exec, exec, s[14:15]
	s_cbranch_execz .LBB63_1080
.LBB63_1099:
	v_cmp_ne_u16_e32 vcc, 0, v3
	s_andn2_b64 s[12:13], s[12:13], exec
	s_and_b64 s[16:17], vcc, exec
	v_mov_b32_e32 v5, 0
	s_or_b64 s[12:13], s[12:13], s[16:17]
	s_or_b64 exec, exec, s[14:15]
	s_and_saveexec_b64 s[14:15], s[12:13]
	s_cbranch_execnz .LBB63_1081
	s_branch .LBB63_1082
.LBB63_1100:
	s_mov_b64 s[0:1], -1
                                        ; implicit-def: $vgpr3
.LBB63_1101:
	s_mov_b64 s[14:15], 0
.LBB63_1102:
	s_and_b64 vcc, exec, s[14:15]
	s_cbranch_vccz .LBB63_1104
; %bb.1103:
	s_cmp_lg_u32 s22, 11
	s_mov_b64 s[12:13], -1
	s_cselect_b64 s[0:1], -1, 0
.LBB63_1104:
	s_and_b64 vcc, exec, s[0:1]
	s_mov_b64 s[14:15], s[6:7]
	s_cbranch_vccnz .LBB63_1165
; %bb.1105:
	s_andn2_b64 vcc, exec, s[12:13]
	s_cbranch_vccnz .LBB63_1107
.LBB63_1106:
	global_load_ubyte v3, v[0:1], off
	s_mov_b64 s[16:17], -1
	s_waitcnt vmcnt(0)
	v_cmp_ne_u16_e32 vcc, 0, v3
	v_cndmask_b32_e64 v3, 0, 1.0, vcc
	v_lshrrev_b32_e32 v3, 16, v3
.LBB63_1107:
	s_branch .LBB63_1038
.LBB63_1108:
	s_cmp_lt_i32 s22, 5
	s_cbranch_scc1 .LBB63_1113
; %bb.1109:
	s_cmp_lt_i32 s22, 8
	s_cbranch_scc1 .LBB63_1114
; %bb.1110:
	;; [unrolled: 3-line block ×3, first 2 shown]
	s_cmp_gt_i32 s22, 9
	s_cbranch_scc0 .LBB63_1116
; %bb.1112:
	global_load_dwordx2 v[5:6], v[0:1], off
	s_movk_i32 s0, 0x7fff
	s_waitcnt vmcnt(0)
	v_cvt_f32_f64_e32 v3, v[5:6]
	v_mov_b32_e32 v5, 0x7fc0
	v_bfe_u32 v6, v3, 16, 1
	v_cmp_o_f32_e32 vcc, v3, v3
	v_add3_u32 v3, v3, v6, s0
	v_cndmask_b32_sdwa v3, v5, v3, vcc dst_sel:DWORD dst_unused:UNUSED_PAD src0_sel:DWORD src1_sel:WORD_1
	s_mov_b64 s[0:1], 0
	s_branch .LBB63_1117
.LBB63_1113:
                                        ; implicit-def: $vgpr3
	s_branch .LBB63_1134
.LBB63_1114:
                                        ; implicit-def: $vgpr3
	s_branch .LBB63_1123
.LBB63_1115:
	s_mov_b64 s[0:1], -1
                                        ; implicit-def: $vgpr3
	s_branch .LBB63_1120
.LBB63_1116:
	s_mov_b64 s[0:1], -1
                                        ; implicit-def: $vgpr3
.LBB63_1117:
	s_andn2_b64 vcc, exec, s[0:1]
	s_cbranch_vccnz .LBB63_1119
; %bb.1118:
	global_load_dword v3, v[0:1], off
	s_movk_i32 s0, 0x7fff
	v_mov_b32_e32 v5, 0x7fc0
	s_waitcnt vmcnt(0)
	v_bfe_u32 v6, v3, 16, 1
	v_cmp_o_f32_e32 vcc, v3, v3
	v_add3_u32 v3, v3, v6, s0
	v_cndmask_b32_sdwa v3, v5, v3, vcc dst_sel:DWORD dst_unused:UNUSED_PAD src0_sel:DWORD src1_sel:WORD_1
.LBB63_1119:
	s_mov_b64 s[0:1], 0
.LBB63_1120:
	s_andn2_b64 vcc, exec, s[0:1]
	s_cbranch_vccnz .LBB63_1122
; %bb.1121:
	global_load_dword v3, v[0:1], off
	s_movk_i32 s0, 0x7fff
	v_mov_b32_e32 v6, 0x7fc0
	s_waitcnt vmcnt(0)
	v_cvt_f32_f16_e32 v5, v3
	v_cmp_o_f16_e32 vcc, v3, v3
	v_bfe_u32 v3, v5, 16, 1
	v_add3_u32 v3, v5, v3, s0
	v_cndmask_b32_sdwa v3, v6, v3, vcc dst_sel:DWORD dst_unused:UNUSED_PAD src0_sel:DWORD src1_sel:WORD_1
.LBB63_1122:
	s_cbranch_execnz .LBB63_1133
.LBB63_1123:
	s_cmp_lt_i32 s22, 6
	s_cbranch_scc1 .LBB63_1126
; %bb.1124:
	s_cmp_gt_i32 s22, 6
	s_cbranch_scc0 .LBB63_1127
; %bb.1125:
	global_load_dwordx2 v[5:6], v[0:1], off
	s_movk_i32 s0, 0x7fff
	s_waitcnt vmcnt(0)
	v_cvt_f32_f64_e32 v3, v[5:6]
	v_mov_b32_e32 v5, 0x7fc0
	v_bfe_u32 v6, v3, 16, 1
	v_cmp_o_f32_e32 vcc, v3, v3
	v_add3_u32 v3, v3, v6, s0
	v_cndmask_b32_sdwa v3, v5, v3, vcc dst_sel:DWORD dst_unused:UNUSED_PAD src0_sel:DWORD src1_sel:WORD_1
	s_mov_b64 s[0:1], 0
	s_branch .LBB63_1128
.LBB63_1126:
	s_mov_b64 s[0:1], -1
                                        ; implicit-def: $vgpr3
	s_branch .LBB63_1131
.LBB63_1127:
	s_mov_b64 s[0:1], -1
                                        ; implicit-def: $vgpr3
.LBB63_1128:
	s_andn2_b64 vcc, exec, s[0:1]
	s_cbranch_vccnz .LBB63_1130
; %bb.1129:
	global_load_dword v3, v[0:1], off
	s_movk_i32 s0, 0x7fff
	v_mov_b32_e32 v5, 0x7fc0
	s_waitcnt vmcnt(0)
	v_bfe_u32 v6, v3, 16, 1
	v_cmp_o_f32_e32 vcc, v3, v3
	v_add3_u32 v3, v3, v6, s0
	v_cndmask_b32_sdwa v3, v5, v3, vcc dst_sel:DWORD dst_unused:UNUSED_PAD src0_sel:DWORD src1_sel:WORD_1
.LBB63_1130:
	s_mov_b64 s[0:1], 0
.LBB63_1131:
	s_andn2_b64 vcc, exec, s[0:1]
	s_cbranch_vccnz .LBB63_1133
; %bb.1132:
	global_load_ushort v3, v[0:1], off
	s_movk_i32 s0, 0x7fff
	v_mov_b32_e32 v6, 0x7fc0
	s_waitcnt vmcnt(0)
	v_cvt_f32_f16_e32 v5, v3
	v_cmp_o_f16_e32 vcc, v3, v3
	v_bfe_u32 v3, v5, 16, 1
	v_add3_u32 v3, v5, v3, s0
	v_cndmask_b32_sdwa v3, v6, v3, vcc dst_sel:DWORD dst_unused:UNUSED_PAD src0_sel:DWORD src1_sel:WORD_1
.LBB63_1133:
	s_cbranch_execnz .LBB63_1152
.LBB63_1134:
	s_cmp_lt_i32 s22, 2
	s_cbranch_scc1 .LBB63_1138
; %bb.1135:
	s_cmp_lt_i32 s22, 3
	s_cbranch_scc1 .LBB63_1139
; %bb.1136:
	s_cmp_gt_i32 s22, 3
	s_cbranch_scc0 .LBB63_1140
; %bb.1137:
	global_load_dwordx2 v[5:6], v[0:1], off
	s_movk_i32 s0, 0x7fff
	s_waitcnt vmcnt(0)
	v_xor_b32_e32 v7, v5, v6
	v_ffbh_i32_e32 v3, v6
	v_ashrrev_i32_e32 v7, 31, v7
	v_add_u32_e32 v3, -1, v3
	v_add_u32_e32 v7, 32, v7
	v_min_u32_e32 v3, v3, v7
	v_lshlrev_b64 v[5:6], v3, v[5:6]
	v_sub_u32_e32 v3, 32, v3
	v_min_u32_e32 v5, 1, v5
	v_or_b32_e32 v5, v6, v5
	v_cvt_f32_i32_e32 v5, v5
	v_ldexp_f32 v3, v5, v3
	v_bfe_u32 v5, v3, 16, 1
	v_add3_u32 v3, v3, v5, s0
	v_lshrrev_b32_e32 v3, 16, v3
	s_mov_b64 s[0:1], 0
	s_branch .LBB63_1141
.LBB63_1138:
                                        ; implicit-def: $vgpr3
	s_branch .LBB63_1147
.LBB63_1139:
	s_mov_b64 s[0:1], -1
                                        ; implicit-def: $vgpr3
	s_branch .LBB63_1144
.LBB63_1140:
	s_mov_b64 s[0:1], -1
                                        ; implicit-def: $vgpr3
.LBB63_1141:
	s_andn2_b64 vcc, exec, s[0:1]
	s_cbranch_vccnz .LBB63_1143
; %bb.1142:
	global_load_dword v3, v[0:1], off
	s_movk_i32 s0, 0x7fff
	s_waitcnt vmcnt(0)
	v_cvt_f32_i32_e32 v3, v3
	v_bfe_u32 v5, v3, 16, 1
	v_add3_u32 v3, v3, v5, s0
	v_lshrrev_b32_e32 v3, 16, v3
.LBB63_1143:
	s_mov_b64 s[0:1], 0
.LBB63_1144:
	s_andn2_b64 vcc, exec, s[0:1]
	s_cbranch_vccnz .LBB63_1146
; %bb.1145:
	global_load_sshort v3, v[0:1], off
	s_movk_i32 s0, 0x7fff
	s_waitcnt vmcnt(0)
	v_cvt_f32_i32_e32 v3, v3
	v_bfe_u32 v5, v3, 16, 1
	v_add3_u32 v3, v3, v5, s0
	v_lshrrev_b32_e32 v3, 16, v3
.LBB63_1146:
	s_cbranch_execnz .LBB63_1152
.LBB63_1147:
	s_cmp_gt_i32 s22, 0
	s_cbranch_scc0 .LBB63_1149
; %bb.1148:
	global_load_sbyte v3, v[0:1], off
	s_movk_i32 s0, 0x7fff
	s_waitcnt vmcnt(0)
	v_cvt_f32_i32_e32 v3, v3
	v_bfe_u32 v5, v3, 16, 1
	v_add3_u32 v3, v3, v5, s0
	v_lshrrev_b32_e32 v3, 16, v3
	s_mov_b64 s[0:1], 0
	s_branch .LBB63_1150
.LBB63_1149:
	s_mov_b64 s[0:1], -1
                                        ; implicit-def: $vgpr3
.LBB63_1150:
	s_andn2_b64 vcc, exec, s[0:1]
	s_cbranch_vccnz .LBB63_1152
; %bb.1151:
	global_load_ubyte v0, v[0:1], off
	s_movk_i32 s0, 0x7fff
	s_waitcnt vmcnt(0)
	v_cvt_f32_ubyte0_e32 v0, v0
	v_bfe_u32 v1, v0, 16, 1
	v_add3_u32 v0, v0, v1, s0
	v_lshrrev_b32_e32 v3, 16, v0
.LBB63_1152:
.LBB63_1153:
	s_lshl_b32 s3, s3, 7
	v_add_u32_e32 v5, s3, v4
	v_ashrrev_i32_e32 v1, 31, v5
	v_mov_b32_e32 v4, s11
	v_add_co_u32_e32 v0, vcc, s10, v5
	s_cmp_lt_i32 s22, 11
	v_addc_co_u32_e32 v1, vcc, v4, v1, vcc
	s_cbranch_scc1 .LBB63_1160
; %bb.1154:
	s_cmp_gt_i32 s22, 25
	s_mov_b64 s[12:13], 0
	s_cbranch_scc0 .LBB63_1162
; %bb.1155:
	s_cmp_gt_i32 s22, 28
	s_cbranch_scc0 .LBB63_1163
; %bb.1156:
	s_cmp_gt_i32 s22, 43
	;; [unrolled: 3-line block ×3, first 2 shown]
	s_cbranch_scc0 .LBB63_1166
; %bb.1158:
	s_cmp_eq_u32 s22, 46
	s_mov_b64 s[18:19], 0
	s_cbranch_scc0 .LBB63_1169
; %bb.1159:
	global_load_dword v4, v[0:1], off
	s_mov_b64 s[0:1], 0
	s_mov_b64 s[16:17], -1
	s_branch .LBB63_1170
.LBB63_1160:
	s_mov_b64 s[16:17], 0
                                        ; implicit-def: $vgpr4
	s_cbranch_execnz .LBB63_1235
.LBB63_1161:
	s_andn2_b64 vcc, exec, s[16:17]
	s_cbranch_vccnz .LBB63_1974
	s_branch .LBB63_1282
.LBB63_1162:
	s_mov_b64 s[16:17], 0
	s_mov_b64 s[0:1], 0
                                        ; implicit-def: $vgpr4
	s_cbranch_execnz .LBB63_1199
	s_branch .LBB63_1231
.LBB63_1163:
	s_mov_b64 s[18:19], -1
	s_mov_b64 s[16:17], 0
	s_mov_b64 s[0:1], 0
                                        ; implicit-def: $vgpr4
	s_branch .LBB63_1180
.LBB63_1164:
	s_mov_b64 s[18:19], -1
	s_mov_b64 s[16:17], 0
	s_mov_b64 s[0:1], 0
                                        ; implicit-def: $vgpr4
	s_branch .LBB63_1175
.LBB63_1165:
	s_or_b64 s[14:15], s[6:7], exec
	s_trap 2
	s_cbranch_execz .LBB63_1106
	s_branch .LBB63_1107
.LBB63_1166:
	s_mov_b64 s[18:19], -1
	s_mov_b64 s[16:17], 0
	s_mov_b64 s[0:1], 0
                                        ; implicit-def: $vgpr4
	s_branch .LBB63_1170
.LBB63_1167:
	s_andn2_saveexec_b64 s[24:25], s[24:25]
	s_cbranch_execz .LBB63_954
.LBB63_1168:
	s_mov_b32 s28, 0x42800000
	v_add_f32_e64 v4, |v5|, s28
	v_and_b32_e32 v4, 0xff, v4
	v_cmp_ne_u32_e32 vcc, 0, v4
	s_andn2_b64 s[22:23], s[22:23], exec
	s_and_b64 s[28:29], vcc, exec
	s_or_b64 s[22:23], s[22:23], s[28:29]
	s_or_b64 exec, exec, s[24:25]
	v_mov_b32_e32 v6, 0
	s_and_saveexec_b64 s[24:25], s[22:23]
	s_cbranch_execnz .LBB63_955
	s_branch .LBB63_956
.LBB63_1169:
	s_mov_b64 s[0:1], -1
                                        ; implicit-def: $vgpr4
	s_mov_b64 s[16:17], 0
.LBB63_1170:
	s_and_b64 vcc, exec, s[18:19]
	s_cbranch_vccz .LBB63_1174
; %bb.1171:
	s_cmp_eq_u32 s22, 44
	s_cbranch_scc0 .LBB63_1173
; %bb.1172:
	global_load_ubyte v4, v[0:1], off
	s_movk_i32 s16, 0xff
	v_mov_b32_e32 v6, 0x7f800001
	v_mov_b32_e32 v7, 0x400000
	;; [unrolled: 1-line block ×3, first 2 shown]
	s_mov_b64 s[0:1], 0
	s_waitcnt vmcnt(0)
	v_lshlrev_b32_e32 v9, 23, v4
	v_cmp_ne_u32_e32 vcc, s16, v4
	v_cndmask_b32_e32 v6, v6, v9, vcc
	v_cmp_ne_u32_e32 vcc, 0, v4
	v_cndmask_b32_e32 v4, v7, v6, vcc
	v_add_u32_e32 v6, 0x7fff, v4
	v_cmp_o_f32_e32 vcc, v4, v4
	v_cndmask_b32_sdwa v4, v8, v6, vcc dst_sel:DWORD dst_unused:UNUSED_PAD src0_sel:DWORD src1_sel:WORD_1
	s_mov_b64 s[16:17], -1
	s_branch .LBB63_1174
.LBB63_1173:
	s_mov_b64 s[0:1], -1
                                        ; implicit-def: $vgpr4
.LBB63_1174:
	s_mov_b64 s[18:19], 0
.LBB63_1175:
	s_and_b64 vcc, exec, s[18:19]
	s_cbranch_vccz .LBB63_1179
; %bb.1176:
	s_cmp_eq_u32 s22, 29
	s_cbranch_scc0 .LBB63_1178
; %bb.1177:
	global_load_dwordx2 v[6:7], v[0:1], off
	s_movk_i32 s16, 0x7fff
	s_mov_b64 s[0:1], 0
	s_mov_b64 s[18:19], 0
	s_waitcnt vmcnt(0)
	v_ffbh_u32_e32 v4, v7
	v_min_u32_e32 v4, 32, v4
	v_lshlrev_b64 v[6:7], v4, v[6:7]
	v_sub_u32_e32 v4, 32, v4
	v_min_u32_e32 v6, 1, v6
	v_or_b32_e32 v6, v7, v6
	v_cvt_f32_u32_e32 v6, v6
	v_ldexp_f32 v4, v6, v4
	v_bfe_u32 v6, v4, 16, 1
	v_add3_u32 v4, v4, v6, s16
	v_lshrrev_b32_e32 v4, 16, v4
	s_mov_b64 s[16:17], -1
	s_branch .LBB63_1180
.LBB63_1178:
	s_mov_b64 s[0:1], -1
                                        ; implicit-def: $vgpr4
.LBB63_1179:
	s_mov_b64 s[18:19], 0
.LBB63_1180:
	s_and_b64 vcc, exec, s[18:19]
	s_cbranch_vccz .LBB63_1198
; %bb.1181:
	s_cmp_lt_i32 s22, 27
	s_cbranch_scc1 .LBB63_1184
; %bb.1182:
	s_cmp_gt_i32 s22, 27
	s_cbranch_scc0 .LBB63_1185
; %bb.1183:
	global_load_dword v4, v[0:1], off
	s_movk_i32 s16, 0x7fff
	s_waitcnt vmcnt(0)
	v_cvt_f32_u32_e32 v4, v4
	v_bfe_u32 v6, v4, 16, 1
	v_add3_u32 v4, v4, v6, s16
	v_lshrrev_b32_e32 v4, 16, v4
	s_mov_b64 s[16:17], 0
	s_branch .LBB63_1186
.LBB63_1184:
	s_mov_b64 s[16:17], -1
                                        ; implicit-def: $vgpr4
	s_branch .LBB63_1189
.LBB63_1185:
	s_mov_b64 s[16:17], -1
                                        ; implicit-def: $vgpr4
.LBB63_1186:
	s_andn2_b64 vcc, exec, s[16:17]
	s_cbranch_vccnz .LBB63_1188
; %bb.1187:
	global_load_ushort v4, v[0:1], off
	s_movk_i32 s16, 0x7fff
	s_waitcnt vmcnt(0)
	v_cvt_f32_u32_e32 v4, v4
	v_bfe_u32 v6, v4, 16, 1
	v_add3_u32 v4, v4, v6, s16
	v_lshrrev_b32_e32 v4, 16, v4
.LBB63_1188:
	s_mov_b64 s[16:17], 0
.LBB63_1189:
	s_andn2_b64 vcc, exec, s[16:17]
	s_cbranch_vccnz .LBB63_1197
; %bb.1190:
	global_load_ubyte v4, v[0:1], off
	s_movk_i32 s16, 0x7f
	s_waitcnt vmcnt(0)
	v_cmp_lt_i16_e32 vcc, s16, v4
	s_mov_b64 s[16:17], 0
	s_and_saveexec_b64 s[18:19], vcc
	s_xor_b64 s[18:19], exec, s[18:19]
	s_cbranch_execz .LBB63_1210
; %bb.1191:
	s_movk_i32 s16, 0x80
	v_cmp_eq_u16_e32 vcc, s16, v4
	s_mov_b64 s[16:17], -1
	s_and_saveexec_b64 s[20:21], vcc
; %bb.1192:
	s_xor_b64 s[16:17], exec, -1
; %bb.1193:
	s_or_b64 exec, exec, s[20:21]
	s_and_b64 s[16:17], s[16:17], exec
	s_or_saveexec_b64 s[18:19], s[18:19]
	v_mov_b32_e32 v6, 0x7f800001
	s_xor_b64 exec, exec, s[18:19]
	s_cbranch_execnz .LBB63_1211
.LBB63_1194:
	s_or_b64 exec, exec, s[18:19]
	s_and_saveexec_b64 s[18:19], s[16:17]
	s_cbranch_execz .LBB63_1196
.LBB63_1195:
	v_lshlrev_b32_e32 v6, 24, v4
	v_and_b32_e32 v4, 0xffff, v4
	v_and_b32_e32 v7, 7, v4
	v_ffbh_u32_e32 v9, v7
	v_min_u32_e32 v9, 32, v9
	v_subrev_u32_e32 v10, 28, v9
	v_bfe_u32 v8, v4, 3, 4
	v_lshlrev_b32_e32 v4, v10, v4
	v_sub_u32_e32 v9, 29, v9
	v_and_b32_e32 v4, 7, v4
	v_cmp_eq_u32_e32 vcc, 0, v8
	v_cndmask_b32_e32 v8, v8, v9, vcc
	v_cndmask_b32_e32 v4, v7, v4, vcc
	v_mov_b32_e32 v7, 0x3b800000
	v_lshlrev_b32_e32 v4, 20, v4
	v_and_b32_e32 v6, 0x80000000, v6
	v_lshl_add_u32 v7, v8, 23, v7
	v_or3_b32 v6, v6, v7, v4
.LBB63_1196:
	s_or_b64 exec, exec, s[18:19]
	v_bfe_u32 v4, v6, 16, 1
	s_movk_i32 s16, 0x7fff
	v_add3_u32 v4, v6, v4, s16
	v_cmp_o_f32_e32 vcc, v6, v6
	v_mov_b32_e32 v6, 0x7fc0
	v_cndmask_b32_sdwa v4, v6, v4, vcc dst_sel:DWORD dst_unused:UNUSED_PAD src0_sel:DWORD src1_sel:WORD_1
.LBB63_1197:
	s_mov_b64 s[16:17], -1
.LBB63_1198:
	s_branch .LBB63_1231
.LBB63_1199:
	s_cmp_gt_i32 s22, 22
	s_cbranch_scc0 .LBB63_1209
; %bb.1200:
	s_cmp_lt_i32 s22, 24
	s_cbranch_scc1 .LBB63_1212
; %bb.1201:
	s_cmp_gt_i32 s22, 24
	s_cbranch_scc0 .LBB63_1213
; %bb.1202:
	global_load_ubyte v4, v[0:1], off
	s_movk_i32 s12, 0x7f
	s_waitcnt vmcnt(0)
	v_cmp_lt_i16_e32 vcc, s12, v4
	s_mov_b64 s[12:13], 0
	s_and_saveexec_b64 s[16:17], vcc
	s_xor_b64 s[16:17], exec, s[16:17]
	s_cbranch_execz .LBB63_1225
; %bb.1203:
	s_movk_i32 s12, 0x80
	v_cmp_eq_u16_e32 vcc, s12, v4
	s_mov_b64 s[12:13], -1
	s_and_saveexec_b64 s[18:19], vcc
; %bb.1204:
	s_xor_b64 s[12:13], exec, -1
; %bb.1205:
	s_or_b64 exec, exec, s[18:19]
	s_and_b64 s[12:13], s[12:13], exec
	s_or_saveexec_b64 s[16:17], s[16:17]
	v_mov_b32_e32 v6, 0x7f800001
	s_xor_b64 exec, exec, s[16:17]
	s_cbranch_execnz .LBB63_1226
.LBB63_1206:
	s_or_b64 exec, exec, s[16:17]
	s_and_saveexec_b64 s[16:17], s[12:13]
	s_cbranch_execz .LBB63_1208
.LBB63_1207:
	v_lshlrev_b32_e32 v6, 24, v4
	v_and_b32_e32 v4, 0xffff, v4
	v_and_b32_e32 v7, 3, v4
	v_ffbh_u32_e32 v9, v7
	v_min_u32_e32 v9, 32, v9
	v_subrev_u32_e32 v10, 29, v9
	v_bfe_u32 v8, v4, 2, 5
	v_lshlrev_b32_e32 v4, v10, v4
	v_sub_u32_e32 v9, 30, v9
	v_and_b32_e32 v4, 3, v4
	v_cmp_eq_u32_e32 vcc, 0, v8
	v_cndmask_b32_e32 v8, v8, v9, vcc
	v_cndmask_b32_e32 v4, v7, v4, vcc
	v_mov_b32_e32 v7, 0x37800000
	v_lshlrev_b32_e32 v4, 21, v4
	v_and_b32_e32 v6, 0x80000000, v6
	v_lshl_add_u32 v7, v8, 23, v7
	v_or3_b32 v6, v6, v7, v4
.LBB63_1208:
	s_or_b64 exec, exec, s[16:17]
	v_bfe_u32 v4, v6, 16, 1
	s_movk_i32 s12, 0x7fff
	v_add3_u32 v4, v6, v4, s12
	v_cmp_o_f32_e32 vcc, v6, v6
	v_mov_b32_e32 v6, 0x7fc0
	v_cndmask_b32_sdwa v4, v6, v4, vcc dst_sel:DWORD dst_unused:UNUSED_PAD src0_sel:DWORD src1_sel:WORD_1
	s_mov_b64 s[12:13], 0
	s_branch .LBB63_1214
.LBB63_1209:
	s_mov_b64 s[12:13], -1
                                        ; implicit-def: $vgpr4
	s_branch .LBB63_1220
.LBB63_1210:
	s_or_saveexec_b64 s[18:19], s[18:19]
	v_mov_b32_e32 v6, 0x7f800001
	s_xor_b64 exec, exec, s[18:19]
	s_cbranch_execz .LBB63_1194
.LBB63_1211:
	v_cmp_ne_u16_e32 vcc, 0, v4
	s_andn2_b64 s[16:17], s[16:17], exec
	s_and_b64 s[20:21], vcc, exec
	v_mov_b32_e32 v6, 0
	s_or_b64 s[16:17], s[16:17], s[20:21]
	s_or_b64 exec, exec, s[18:19]
	s_and_saveexec_b64 s[18:19], s[16:17]
	s_cbranch_execnz .LBB63_1195
	s_branch .LBB63_1196
.LBB63_1212:
	s_mov_b64 s[12:13], -1
                                        ; implicit-def: $vgpr4
	s_branch .LBB63_1217
.LBB63_1213:
	s_mov_b64 s[12:13], -1
                                        ; implicit-def: $vgpr4
.LBB63_1214:
	s_and_b64 vcc, exec, s[12:13]
	s_cbranch_vccz .LBB63_1216
; %bb.1215:
	global_load_ubyte v4, v[0:1], off
	s_mov_b32 s12, 0x7f800000
	s_brev_b32 s13, 1
	s_movk_i32 s16, 0x7fff
	s_waitcnt vmcnt(0)
	v_lshlrev_b32_e32 v4, 24, v4
	v_and_b32_e32 v6, 0x7f000000, v4
	v_ffbh_u32_e32 v7, v6
	v_min_u32_e32 v7, 32, v7
	v_sub_u32_e64 v7, v7, 4 clamp
	v_lshlrev_b32_e32 v9, v7, v6
	v_lshlrev_b32_e32 v7, 23, v7
	v_lshrrev_b32_e32 v9, 4, v9
	v_add_u32_e32 v8, 0x1000000, v6
	v_sub_u32_e32 v7, v9, v7
	v_ashrrev_i32_e32 v8, 8, v8
	v_add_u32_e32 v7, 0x3c000000, v7
	v_and_or_b32 v7, v8, s12, v7
	v_cmp_ne_u32_e32 vcc, 0, v6
	v_cndmask_b32_e32 v6, 0, v7, vcc
	v_and_or_b32 v4, v4, s13, v6
	v_bfe_u32 v6, v6, 16, 1
	v_add3_u32 v6, v4, v6, s16
	v_cmp_o_f32_e32 vcc, v4, v4
	v_mov_b32_e32 v4, 0x7fc0
	v_cndmask_b32_sdwa v4, v4, v6, vcc dst_sel:DWORD dst_unused:UNUSED_PAD src0_sel:DWORD src1_sel:WORD_1
.LBB63_1216:
	s_mov_b64 s[12:13], 0
.LBB63_1217:
	s_andn2_b64 vcc, exec, s[12:13]
	s_cbranch_vccnz .LBB63_1219
; %bb.1218:
	global_load_ubyte v4, v[0:1], off
	s_movk_i32 s12, 0x7f00
	s_brev_b32 s13, 16
	s_brev_b32 s16, 1
	s_movk_i32 s17, 0x7fff
	s_waitcnt vmcnt(0)
	v_lshlrev_b16_e32 v6, 8, v4
	v_lshlrev_b32_e32 v4, 25, v4
	v_lshrrev_b32_e32 v7, 4, v4
	v_and_or_b32 v8, v6, s12, 0.5
	v_or_b32_e32 v7, 0x70000000, v7
	v_add_f32_e32 v8, -0.5, v8
	v_mul_f32_e32 v7, 0x7800000, v7
	v_cmp_gt_u32_e32 vcc, s13, v4
	v_bfe_i32 v6, v6, 0, 16
	v_cndmask_b32_e32 v4, v7, v8, vcc
	v_and_or_b32 v6, v6, s16, v4
	v_bfe_u32 v4, v4, 16, 1
	v_add3_u32 v4, v6, v4, s17
	v_cmp_o_f32_e32 vcc, v6, v6
	v_mov_b32_e32 v6, 0x7fc0
	v_cndmask_b32_sdwa v4, v6, v4, vcc dst_sel:DWORD dst_unused:UNUSED_PAD src0_sel:DWORD src1_sel:WORD_1
.LBB63_1219:
	s_mov_b64 s[12:13], 0
	s_mov_b64 s[16:17], -1
.LBB63_1220:
	s_andn2_b64 vcc, exec, s[12:13]
	s_mov_b64 s[12:13], 0
	s_cbranch_vccnz .LBB63_1231
; %bb.1221:
	s_cmp_gt_i32 s22, 14
	s_cbranch_scc0 .LBB63_1224
; %bb.1222:
	s_cmp_eq_u32 s22, 15
	s_cbranch_scc0 .LBB63_1227
; %bb.1223:
	global_load_ushort v4, v[0:1], off
	s_mov_b64 s[0:1], 0
	s_mov_b64 s[16:17], -1
	s_branch .LBB63_1228
.LBB63_1224:
	s_mov_b64 s[18:19], -1
                                        ; implicit-def: $vgpr4
	s_branch .LBB63_1229
.LBB63_1225:
	s_or_saveexec_b64 s[16:17], s[16:17]
	v_mov_b32_e32 v6, 0x7f800001
	s_xor_b64 exec, exec, s[16:17]
	s_cbranch_execz .LBB63_1206
.LBB63_1226:
	v_cmp_ne_u16_e32 vcc, 0, v4
	s_andn2_b64 s[12:13], s[12:13], exec
	s_and_b64 s[18:19], vcc, exec
	v_mov_b32_e32 v6, 0
	s_or_b64 s[12:13], s[12:13], s[18:19]
	s_or_b64 exec, exec, s[16:17]
	s_and_saveexec_b64 s[16:17], s[12:13]
	s_cbranch_execnz .LBB63_1207
	s_branch .LBB63_1208
.LBB63_1227:
	s_mov_b64 s[0:1], -1
                                        ; implicit-def: $vgpr4
.LBB63_1228:
	s_mov_b64 s[18:19], 0
.LBB63_1229:
	s_and_b64 vcc, exec, s[18:19]
	s_cbranch_vccz .LBB63_1231
; %bb.1230:
	s_cmp_lg_u32 s22, 11
	s_mov_b64 s[12:13], -1
	s_cselect_b64 s[0:1], -1, 0
.LBB63_1231:
	s_and_b64 vcc, exec, s[0:1]
	s_cbranch_vccnz .LBB63_1294
; %bb.1232:
	s_andn2_b64 vcc, exec, s[12:13]
	s_cbranch_vccnz .LBB63_1234
.LBB63_1233:
	global_load_ubyte v4, v[0:1], off
	s_mov_b64 s[16:17], -1
	s_waitcnt vmcnt(0)
	v_cmp_ne_u16_e32 vcc, 0, v4
	v_cndmask_b32_e64 v4, 0, 1.0, vcc
	v_lshrrev_b32_e32 v4, 16, v4
.LBB63_1234:
	s_branch .LBB63_1161
.LBB63_1235:
	s_cmp_lt_i32 s22, 5
	s_cbranch_scc1 .LBB63_1240
; %bb.1236:
	s_cmp_lt_i32 s22, 8
	s_cbranch_scc1 .LBB63_1241
; %bb.1237:
	;; [unrolled: 3-line block ×3, first 2 shown]
	s_cmp_gt_i32 s22, 9
	s_cbranch_scc0 .LBB63_1243
; %bb.1239:
	global_load_dwordx2 v[6:7], v[0:1], off
	s_movk_i32 s0, 0x7fff
	s_waitcnt vmcnt(0)
	v_cvt_f32_f64_e32 v4, v[6:7]
	v_mov_b32_e32 v6, 0x7fc0
	v_bfe_u32 v7, v4, 16, 1
	v_cmp_o_f32_e32 vcc, v4, v4
	v_add3_u32 v4, v4, v7, s0
	v_cndmask_b32_sdwa v4, v6, v4, vcc dst_sel:DWORD dst_unused:UNUSED_PAD src0_sel:DWORD src1_sel:WORD_1
	s_mov_b64 s[0:1], 0
	s_branch .LBB63_1244
.LBB63_1240:
                                        ; implicit-def: $vgpr4
	s_branch .LBB63_1262
.LBB63_1241:
	s_mov_b64 s[0:1], -1
                                        ; implicit-def: $vgpr4
	s_branch .LBB63_1250
.LBB63_1242:
	s_mov_b64 s[0:1], -1
                                        ; implicit-def: $vgpr4
	s_branch .LBB63_1247
.LBB63_1243:
	s_mov_b64 s[0:1], -1
                                        ; implicit-def: $vgpr4
.LBB63_1244:
	s_andn2_b64 vcc, exec, s[0:1]
	s_cbranch_vccnz .LBB63_1246
; %bb.1245:
	global_load_dword v4, v[0:1], off
	s_movk_i32 s0, 0x7fff
	v_mov_b32_e32 v6, 0x7fc0
	s_waitcnt vmcnt(0)
	v_bfe_u32 v7, v4, 16, 1
	v_cmp_o_f32_e32 vcc, v4, v4
	v_add3_u32 v4, v4, v7, s0
	v_cndmask_b32_sdwa v4, v6, v4, vcc dst_sel:DWORD dst_unused:UNUSED_PAD src0_sel:DWORD src1_sel:WORD_1
.LBB63_1246:
	s_mov_b64 s[0:1], 0
.LBB63_1247:
	s_andn2_b64 vcc, exec, s[0:1]
	s_cbranch_vccnz .LBB63_1249
; %bb.1248:
	global_load_dword v4, v[0:1], off
	s_movk_i32 s0, 0x7fff
	v_mov_b32_e32 v7, 0x7fc0
	s_waitcnt vmcnt(0)
	v_cvt_f32_f16_e32 v6, v4
	v_cmp_o_f16_e32 vcc, v4, v4
	v_bfe_u32 v4, v6, 16, 1
	v_add3_u32 v4, v6, v4, s0
	v_cndmask_b32_sdwa v4, v7, v4, vcc dst_sel:DWORD dst_unused:UNUSED_PAD src0_sel:DWORD src1_sel:WORD_1
.LBB63_1249:
	s_mov_b64 s[0:1], 0
.LBB63_1250:
	s_andn2_b64 vcc, exec, s[0:1]
	s_cbranch_vccnz .LBB63_1261
; %bb.1251:
	s_cmp_lt_i32 s22, 6
	s_cbranch_scc1 .LBB63_1254
; %bb.1252:
	s_cmp_gt_i32 s22, 6
	s_cbranch_scc0 .LBB63_1255
; %bb.1253:
	global_load_dwordx2 v[6:7], v[0:1], off
	s_movk_i32 s0, 0x7fff
	s_waitcnt vmcnt(0)
	v_cvt_f32_f64_e32 v4, v[6:7]
	v_mov_b32_e32 v6, 0x7fc0
	v_bfe_u32 v7, v4, 16, 1
	v_cmp_o_f32_e32 vcc, v4, v4
	v_add3_u32 v4, v4, v7, s0
	v_cndmask_b32_sdwa v4, v6, v4, vcc dst_sel:DWORD dst_unused:UNUSED_PAD src0_sel:DWORD src1_sel:WORD_1
	s_mov_b64 s[0:1], 0
	s_branch .LBB63_1256
.LBB63_1254:
	s_mov_b64 s[0:1], -1
                                        ; implicit-def: $vgpr4
	s_branch .LBB63_1259
.LBB63_1255:
	s_mov_b64 s[0:1], -1
                                        ; implicit-def: $vgpr4
.LBB63_1256:
	s_andn2_b64 vcc, exec, s[0:1]
	s_cbranch_vccnz .LBB63_1258
; %bb.1257:
	global_load_dword v4, v[0:1], off
	s_movk_i32 s0, 0x7fff
	v_mov_b32_e32 v6, 0x7fc0
	s_waitcnt vmcnt(0)
	v_bfe_u32 v7, v4, 16, 1
	v_cmp_o_f32_e32 vcc, v4, v4
	v_add3_u32 v4, v4, v7, s0
	v_cndmask_b32_sdwa v4, v6, v4, vcc dst_sel:DWORD dst_unused:UNUSED_PAD src0_sel:DWORD src1_sel:WORD_1
.LBB63_1258:
	s_mov_b64 s[0:1], 0
.LBB63_1259:
	s_andn2_b64 vcc, exec, s[0:1]
	s_cbranch_vccnz .LBB63_1261
; %bb.1260:
	global_load_ushort v4, v[0:1], off
	s_movk_i32 s0, 0x7fff
	v_mov_b32_e32 v7, 0x7fc0
	s_waitcnt vmcnt(0)
	v_cvt_f32_f16_e32 v6, v4
	v_cmp_o_f16_e32 vcc, v4, v4
	v_bfe_u32 v4, v6, 16, 1
	v_add3_u32 v4, v6, v4, s0
	v_cndmask_b32_sdwa v4, v7, v4, vcc dst_sel:DWORD dst_unused:UNUSED_PAD src0_sel:DWORD src1_sel:WORD_1
.LBB63_1261:
	s_cbranch_execnz .LBB63_1281
.LBB63_1262:
	s_cmp_lt_i32 s22, 2
	s_cbranch_scc1 .LBB63_1266
; %bb.1263:
	s_cmp_lt_i32 s22, 3
	s_cbranch_scc1 .LBB63_1267
; %bb.1264:
	s_cmp_gt_i32 s22, 3
	s_cbranch_scc0 .LBB63_1268
; %bb.1265:
	global_load_dwordx2 v[6:7], v[0:1], off
	s_movk_i32 s0, 0x7fff
	s_waitcnt vmcnt(0)
	v_xor_b32_e32 v8, v6, v7
	v_ffbh_i32_e32 v4, v7
	v_ashrrev_i32_e32 v8, 31, v8
	v_add_u32_e32 v4, -1, v4
	v_add_u32_e32 v8, 32, v8
	v_min_u32_e32 v4, v4, v8
	v_lshlrev_b64 v[6:7], v4, v[6:7]
	v_sub_u32_e32 v4, 32, v4
	v_min_u32_e32 v6, 1, v6
	v_or_b32_e32 v6, v7, v6
	v_cvt_f32_i32_e32 v6, v6
	v_ldexp_f32 v4, v6, v4
	v_bfe_u32 v6, v4, 16, 1
	v_add3_u32 v4, v4, v6, s0
	v_lshrrev_b32_e32 v4, 16, v4
	s_mov_b64 s[0:1], 0
	s_branch .LBB63_1269
.LBB63_1266:
	s_mov_b64 s[0:1], -1
                                        ; implicit-def: $vgpr4
	s_branch .LBB63_1275
.LBB63_1267:
	s_mov_b64 s[0:1], -1
                                        ; implicit-def: $vgpr4
	s_branch .LBB63_1272
.LBB63_1268:
	s_mov_b64 s[0:1], -1
                                        ; implicit-def: $vgpr4
.LBB63_1269:
	s_andn2_b64 vcc, exec, s[0:1]
	s_cbranch_vccnz .LBB63_1271
; %bb.1270:
	global_load_dword v4, v[0:1], off
	s_movk_i32 s0, 0x7fff
	s_waitcnt vmcnt(0)
	v_cvt_f32_i32_e32 v4, v4
	v_bfe_u32 v6, v4, 16, 1
	v_add3_u32 v4, v4, v6, s0
	v_lshrrev_b32_e32 v4, 16, v4
.LBB63_1271:
	s_mov_b64 s[0:1], 0
.LBB63_1272:
	s_andn2_b64 vcc, exec, s[0:1]
	s_cbranch_vccnz .LBB63_1274
; %bb.1273:
	global_load_sshort v4, v[0:1], off
	s_movk_i32 s0, 0x7fff
	s_waitcnt vmcnt(0)
	v_cvt_f32_i32_e32 v4, v4
	v_bfe_u32 v6, v4, 16, 1
	v_add3_u32 v4, v4, v6, s0
	v_lshrrev_b32_e32 v4, 16, v4
.LBB63_1274:
	s_mov_b64 s[0:1], 0
.LBB63_1275:
	s_andn2_b64 vcc, exec, s[0:1]
	s_cbranch_vccnz .LBB63_1281
; %bb.1276:
	s_cmp_gt_i32 s22, 0
	s_cbranch_scc0 .LBB63_1278
; %bb.1277:
	global_load_sbyte v4, v[0:1], off
	s_movk_i32 s0, 0x7fff
	s_waitcnt vmcnt(0)
	v_cvt_f32_i32_e32 v4, v4
	v_bfe_u32 v6, v4, 16, 1
	v_add3_u32 v4, v4, v6, s0
	v_lshrrev_b32_e32 v4, 16, v4
	s_mov_b64 s[0:1], 0
	s_branch .LBB63_1279
.LBB63_1278:
	s_mov_b64 s[0:1], -1
                                        ; implicit-def: $vgpr4
.LBB63_1279:
	s_andn2_b64 vcc, exec, s[0:1]
	s_cbranch_vccnz .LBB63_1281
; %bb.1280:
	global_load_ubyte v0, v[0:1], off
	s_movk_i32 s0, 0x7fff
	s_waitcnt vmcnt(0)
	v_cvt_f32_ubyte0_e32 v0, v0
	v_bfe_u32 v1, v0, 16, 1
	v_add3_u32 v0, v0, v1, s0
	v_lshrrev_b32_e32 v4, 16, v0
.LBB63_1281:
.LBB63_1282:
	v_add_u32_e32 v6, s3, v5
	v_ashrrev_i32_e32 v1, 31, v6
	v_mov_b32_e32 v5, s11
	v_add_co_u32_e32 v0, vcc, s10, v6
	s_cmp_lt_i32 s22, 11
	v_addc_co_u32_e32 v1, vcc, v5, v1, vcc
	s_cbranch_scc1 .LBB63_1289
; %bb.1283:
	s_cmp_gt_i32 s22, 25
	s_mov_b64 s[12:13], 0
	s_cbranch_scc0 .LBB63_1291
; %bb.1284:
	s_cmp_gt_i32 s22, 28
	s_cbranch_scc0 .LBB63_1292
; %bb.1285:
	s_cmp_gt_i32 s22, 43
	;; [unrolled: 3-line block ×3, first 2 shown]
	s_cbranch_scc0 .LBB63_1295
; %bb.1287:
	s_cmp_eq_u32 s22, 46
	s_mov_b64 s[18:19], 0
	s_cbranch_scc0 .LBB63_1296
; %bb.1288:
	global_load_dword v5, v[0:1], off
	s_mov_b64 s[0:1], 0
	s_mov_b64 s[16:17], -1
	s_branch .LBB63_1297
.LBB63_1289:
	s_mov_b64 s[16:17], 0
                                        ; implicit-def: $vgpr5
	s_cbranch_execnz .LBB63_1363
.LBB63_1290:
	s_andn2_b64 vcc, exec, s[16:17]
	s_cbranch_vccnz .LBB63_1974
	s_branch .LBB63_1411
.LBB63_1291:
	s_mov_b64 s[18:19], -1
	s_mov_b64 s[16:17], 0
	s_mov_b64 s[0:1], 0
                                        ; implicit-def: $vgpr5
	s_branch .LBB63_1326
.LBB63_1292:
	s_mov_b64 s[18:19], -1
	s_mov_b64 s[16:17], 0
	s_mov_b64 s[0:1], 0
                                        ; implicit-def: $vgpr5
	s_branch .LBB63_1307
.LBB63_1293:
	s_mov_b64 s[18:19], -1
	s_mov_b64 s[16:17], 0
	s_mov_b64 s[0:1], 0
                                        ; implicit-def: $vgpr5
	s_branch .LBB63_1302
.LBB63_1294:
	s_trap 2
	s_or_b64 s[14:15], s[14:15], exec
	s_cbranch_execz .LBB63_1233
	s_branch .LBB63_1234
.LBB63_1295:
	s_mov_b64 s[18:19], -1
	s_mov_b64 s[16:17], 0
	s_mov_b64 s[0:1], 0
                                        ; implicit-def: $vgpr5
	s_branch .LBB63_1297
.LBB63_1296:
	s_mov_b64 s[0:1], -1
                                        ; implicit-def: $vgpr5
	s_mov_b64 s[16:17], 0
.LBB63_1297:
	s_and_b64 vcc, exec, s[18:19]
	s_cbranch_vccz .LBB63_1301
; %bb.1298:
	s_cmp_eq_u32 s22, 44
	s_cbranch_scc0 .LBB63_1300
; %bb.1299:
	global_load_ubyte v5, v[0:1], off
	s_movk_i32 s16, 0xff
	v_mov_b32_e32 v7, 0x7f800001
	v_mov_b32_e32 v8, 0x400000
	;; [unrolled: 1-line block ×3, first 2 shown]
	s_mov_b64 s[0:1], 0
	s_waitcnt vmcnt(0)
	v_lshlrev_b32_e32 v10, 23, v5
	v_cmp_ne_u32_e32 vcc, s16, v5
	v_cndmask_b32_e32 v7, v7, v10, vcc
	v_cmp_ne_u32_e32 vcc, 0, v5
	v_cndmask_b32_e32 v5, v8, v7, vcc
	v_add_u32_e32 v7, 0x7fff, v5
	v_cmp_o_f32_e32 vcc, v5, v5
	v_cndmask_b32_sdwa v5, v9, v7, vcc dst_sel:DWORD dst_unused:UNUSED_PAD src0_sel:DWORD src1_sel:WORD_1
	s_mov_b64 s[16:17], -1
	s_branch .LBB63_1301
.LBB63_1300:
	s_mov_b64 s[0:1], -1
                                        ; implicit-def: $vgpr5
.LBB63_1301:
	s_mov_b64 s[18:19], 0
.LBB63_1302:
	s_and_b64 vcc, exec, s[18:19]
	s_cbranch_vccz .LBB63_1306
; %bb.1303:
	s_cmp_eq_u32 s22, 29
	s_cbranch_scc0 .LBB63_1305
; %bb.1304:
	global_load_dwordx2 v[7:8], v[0:1], off
	s_movk_i32 s16, 0x7fff
	s_mov_b64 s[0:1], 0
	s_mov_b64 s[18:19], 0
	s_waitcnt vmcnt(0)
	v_ffbh_u32_e32 v5, v8
	v_min_u32_e32 v5, 32, v5
	v_lshlrev_b64 v[7:8], v5, v[7:8]
	v_sub_u32_e32 v5, 32, v5
	v_min_u32_e32 v7, 1, v7
	v_or_b32_e32 v7, v8, v7
	v_cvt_f32_u32_e32 v7, v7
	v_ldexp_f32 v5, v7, v5
	v_bfe_u32 v7, v5, 16, 1
	v_add3_u32 v5, v5, v7, s16
	v_lshrrev_b32_e32 v5, 16, v5
	s_mov_b64 s[16:17], -1
	s_branch .LBB63_1307
.LBB63_1305:
	s_mov_b64 s[0:1], -1
                                        ; implicit-def: $vgpr5
.LBB63_1306:
	s_mov_b64 s[18:19], 0
.LBB63_1307:
	s_and_b64 vcc, exec, s[18:19]
	s_cbranch_vccz .LBB63_1325
; %bb.1308:
	s_cmp_lt_i32 s22, 27
	s_cbranch_scc1 .LBB63_1311
; %bb.1309:
	s_cmp_gt_i32 s22, 27
	s_cbranch_scc0 .LBB63_1312
; %bb.1310:
	global_load_dword v5, v[0:1], off
	s_movk_i32 s16, 0x7fff
	s_waitcnt vmcnt(0)
	v_cvt_f32_u32_e32 v5, v5
	v_bfe_u32 v7, v5, 16, 1
	v_add3_u32 v5, v5, v7, s16
	v_lshrrev_b32_e32 v5, 16, v5
	s_mov_b64 s[16:17], 0
	s_branch .LBB63_1313
.LBB63_1311:
	s_mov_b64 s[16:17], -1
                                        ; implicit-def: $vgpr5
	s_branch .LBB63_1316
.LBB63_1312:
	s_mov_b64 s[16:17], -1
                                        ; implicit-def: $vgpr5
.LBB63_1313:
	s_andn2_b64 vcc, exec, s[16:17]
	s_cbranch_vccnz .LBB63_1315
; %bb.1314:
	global_load_ushort v5, v[0:1], off
	s_movk_i32 s16, 0x7fff
	s_waitcnt vmcnt(0)
	v_cvt_f32_u32_e32 v5, v5
	v_bfe_u32 v7, v5, 16, 1
	v_add3_u32 v5, v5, v7, s16
	v_lshrrev_b32_e32 v5, 16, v5
.LBB63_1315:
	s_mov_b64 s[16:17], 0
.LBB63_1316:
	s_andn2_b64 vcc, exec, s[16:17]
	s_cbranch_vccnz .LBB63_1324
; %bb.1317:
	global_load_ubyte v5, v[0:1], off
	s_movk_i32 s16, 0x7f
	s_waitcnt vmcnt(0)
	v_cmp_lt_i16_e32 vcc, s16, v5
	s_mov_b64 s[16:17], 0
	s_and_saveexec_b64 s[18:19], vcc
	s_xor_b64 s[18:19], exec, s[18:19]
	s_cbranch_execz .LBB63_1338
; %bb.1318:
	s_movk_i32 s16, 0x80
	v_cmp_eq_u16_e32 vcc, s16, v5
	s_mov_b64 s[16:17], -1
	s_and_saveexec_b64 s[20:21], vcc
; %bb.1319:
	s_xor_b64 s[16:17], exec, -1
; %bb.1320:
	s_or_b64 exec, exec, s[20:21]
	s_and_b64 s[16:17], s[16:17], exec
	s_or_saveexec_b64 s[18:19], s[18:19]
	v_mov_b32_e32 v7, 0x7f800001
	s_xor_b64 exec, exec, s[18:19]
	s_cbranch_execnz .LBB63_1339
.LBB63_1321:
	s_or_b64 exec, exec, s[18:19]
	s_and_saveexec_b64 s[18:19], s[16:17]
	s_cbranch_execz .LBB63_1323
.LBB63_1322:
	v_lshlrev_b32_e32 v7, 24, v5
	v_and_b32_e32 v5, 0xffff, v5
	v_and_b32_e32 v8, 7, v5
	v_ffbh_u32_e32 v10, v8
	v_min_u32_e32 v10, 32, v10
	v_subrev_u32_e32 v11, 28, v10
	v_bfe_u32 v9, v5, 3, 4
	v_lshlrev_b32_e32 v5, v11, v5
	v_sub_u32_e32 v10, 29, v10
	v_and_b32_e32 v5, 7, v5
	v_cmp_eq_u32_e32 vcc, 0, v9
	v_cndmask_b32_e32 v9, v9, v10, vcc
	v_cndmask_b32_e32 v5, v8, v5, vcc
	v_mov_b32_e32 v8, 0x3b800000
	v_lshlrev_b32_e32 v5, 20, v5
	v_and_b32_e32 v7, 0x80000000, v7
	v_lshl_add_u32 v8, v9, 23, v8
	v_or3_b32 v7, v7, v8, v5
.LBB63_1323:
	s_or_b64 exec, exec, s[18:19]
	v_bfe_u32 v5, v7, 16, 1
	s_movk_i32 s16, 0x7fff
	v_add3_u32 v5, v7, v5, s16
	v_cmp_o_f32_e32 vcc, v7, v7
	v_mov_b32_e32 v7, 0x7fc0
	v_cndmask_b32_sdwa v5, v7, v5, vcc dst_sel:DWORD dst_unused:UNUSED_PAD src0_sel:DWORD src1_sel:WORD_1
.LBB63_1324:
	s_mov_b64 s[16:17], -1
.LBB63_1325:
	s_mov_b64 s[18:19], 0
.LBB63_1326:
	s_and_b64 vcc, exec, s[18:19]
	s_cbranch_vccz .LBB63_1359
; %bb.1327:
	s_cmp_gt_i32 s22, 22
	s_cbranch_scc0 .LBB63_1337
; %bb.1328:
	s_cmp_lt_i32 s22, 24
	s_cbranch_scc1 .LBB63_1340
; %bb.1329:
	s_cmp_gt_i32 s22, 24
	s_cbranch_scc0 .LBB63_1341
; %bb.1330:
	global_load_ubyte v5, v[0:1], off
	s_movk_i32 s12, 0x7f
	s_waitcnt vmcnt(0)
	v_cmp_lt_i16_e32 vcc, s12, v5
	s_mov_b64 s[12:13], 0
	s_and_saveexec_b64 s[16:17], vcc
	s_xor_b64 s[16:17], exec, s[16:17]
	s_cbranch_execz .LBB63_1353
; %bb.1331:
	s_movk_i32 s12, 0x80
	v_cmp_eq_u16_e32 vcc, s12, v5
	s_mov_b64 s[12:13], -1
	s_and_saveexec_b64 s[18:19], vcc
; %bb.1332:
	s_xor_b64 s[12:13], exec, -1
; %bb.1333:
	s_or_b64 exec, exec, s[18:19]
	s_and_b64 s[12:13], s[12:13], exec
	s_or_saveexec_b64 s[16:17], s[16:17]
	v_mov_b32_e32 v7, 0x7f800001
	s_xor_b64 exec, exec, s[16:17]
	s_cbranch_execnz .LBB63_1354
.LBB63_1334:
	s_or_b64 exec, exec, s[16:17]
	s_and_saveexec_b64 s[16:17], s[12:13]
	s_cbranch_execz .LBB63_1336
.LBB63_1335:
	v_lshlrev_b32_e32 v7, 24, v5
	v_and_b32_e32 v5, 0xffff, v5
	v_and_b32_e32 v8, 3, v5
	v_ffbh_u32_e32 v10, v8
	v_min_u32_e32 v10, 32, v10
	v_subrev_u32_e32 v11, 29, v10
	v_bfe_u32 v9, v5, 2, 5
	v_lshlrev_b32_e32 v5, v11, v5
	v_sub_u32_e32 v10, 30, v10
	v_and_b32_e32 v5, 3, v5
	v_cmp_eq_u32_e32 vcc, 0, v9
	v_cndmask_b32_e32 v9, v9, v10, vcc
	v_cndmask_b32_e32 v5, v8, v5, vcc
	v_mov_b32_e32 v8, 0x37800000
	v_lshlrev_b32_e32 v5, 21, v5
	v_and_b32_e32 v7, 0x80000000, v7
	v_lshl_add_u32 v8, v9, 23, v8
	v_or3_b32 v7, v7, v8, v5
.LBB63_1336:
	s_or_b64 exec, exec, s[16:17]
	v_bfe_u32 v5, v7, 16, 1
	s_movk_i32 s12, 0x7fff
	v_add3_u32 v5, v7, v5, s12
	v_cmp_o_f32_e32 vcc, v7, v7
	v_mov_b32_e32 v7, 0x7fc0
	v_cndmask_b32_sdwa v5, v7, v5, vcc dst_sel:DWORD dst_unused:UNUSED_PAD src0_sel:DWORD src1_sel:WORD_1
	s_mov_b64 s[12:13], 0
	s_branch .LBB63_1342
.LBB63_1337:
	s_mov_b64 s[12:13], -1
                                        ; implicit-def: $vgpr5
	s_branch .LBB63_1348
.LBB63_1338:
	s_or_saveexec_b64 s[18:19], s[18:19]
	v_mov_b32_e32 v7, 0x7f800001
	s_xor_b64 exec, exec, s[18:19]
	s_cbranch_execz .LBB63_1321
.LBB63_1339:
	v_cmp_ne_u16_e32 vcc, 0, v5
	s_andn2_b64 s[16:17], s[16:17], exec
	s_and_b64 s[20:21], vcc, exec
	v_mov_b32_e32 v7, 0
	s_or_b64 s[16:17], s[16:17], s[20:21]
	s_or_b64 exec, exec, s[18:19]
	s_and_saveexec_b64 s[18:19], s[16:17]
	s_cbranch_execnz .LBB63_1322
	s_branch .LBB63_1323
.LBB63_1340:
	s_mov_b64 s[12:13], -1
                                        ; implicit-def: $vgpr5
	s_branch .LBB63_1345
.LBB63_1341:
	s_mov_b64 s[12:13], -1
                                        ; implicit-def: $vgpr5
.LBB63_1342:
	s_and_b64 vcc, exec, s[12:13]
	s_cbranch_vccz .LBB63_1344
; %bb.1343:
	global_load_ubyte v5, v[0:1], off
	s_mov_b32 s12, 0x7f800000
	s_brev_b32 s13, 1
	s_movk_i32 s16, 0x7fff
	s_waitcnt vmcnt(0)
	v_lshlrev_b32_e32 v5, 24, v5
	v_and_b32_e32 v7, 0x7f000000, v5
	v_ffbh_u32_e32 v8, v7
	v_min_u32_e32 v8, 32, v8
	v_sub_u32_e64 v8, v8, 4 clamp
	v_lshlrev_b32_e32 v10, v8, v7
	v_lshlrev_b32_e32 v8, 23, v8
	v_lshrrev_b32_e32 v10, 4, v10
	v_add_u32_e32 v9, 0x1000000, v7
	v_sub_u32_e32 v8, v10, v8
	v_ashrrev_i32_e32 v9, 8, v9
	v_add_u32_e32 v8, 0x3c000000, v8
	v_and_or_b32 v8, v9, s12, v8
	v_cmp_ne_u32_e32 vcc, 0, v7
	v_cndmask_b32_e32 v7, 0, v8, vcc
	v_and_or_b32 v5, v5, s13, v7
	v_bfe_u32 v7, v7, 16, 1
	v_add3_u32 v7, v5, v7, s16
	v_cmp_o_f32_e32 vcc, v5, v5
	v_mov_b32_e32 v5, 0x7fc0
	v_cndmask_b32_sdwa v5, v5, v7, vcc dst_sel:DWORD dst_unused:UNUSED_PAD src0_sel:DWORD src1_sel:WORD_1
.LBB63_1344:
	s_mov_b64 s[12:13], 0
.LBB63_1345:
	s_andn2_b64 vcc, exec, s[12:13]
	s_cbranch_vccnz .LBB63_1347
; %bb.1346:
	global_load_ubyte v5, v[0:1], off
	s_movk_i32 s12, 0x7f00
	s_brev_b32 s13, 16
	s_brev_b32 s16, 1
	s_movk_i32 s17, 0x7fff
	s_waitcnt vmcnt(0)
	v_lshlrev_b16_e32 v7, 8, v5
	v_lshlrev_b32_e32 v5, 25, v5
	v_lshrrev_b32_e32 v8, 4, v5
	v_and_or_b32 v9, v7, s12, 0.5
	v_or_b32_e32 v8, 0x70000000, v8
	v_add_f32_e32 v9, -0.5, v9
	v_mul_f32_e32 v8, 0x7800000, v8
	v_cmp_gt_u32_e32 vcc, s13, v5
	v_bfe_i32 v7, v7, 0, 16
	v_cndmask_b32_e32 v5, v8, v9, vcc
	v_and_or_b32 v7, v7, s16, v5
	v_bfe_u32 v5, v5, 16, 1
	v_add3_u32 v5, v7, v5, s17
	v_cmp_o_f32_e32 vcc, v7, v7
	v_mov_b32_e32 v7, 0x7fc0
	v_cndmask_b32_sdwa v5, v7, v5, vcc dst_sel:DWORD dst_unused:UNUSED_PAD src0_sel:DWORD src1_sel:WORD_1
.LBB63_1347:
	s_mov_b64 s[12:13], 0
	s_mov_b64 s[16:17], -1
.LBB63_1348:
	s_andn2_b64 vcc, exec, s[12:13]
	s_mov_b64 s[12:13], 0
	s_cbranch_vccnz .LBB63_1359
; %bb.1349:
	s_cmp_gt_i32 s22, 14
	s_cbranch_scc0 .LBB63_1352
; %bb.1350:
	s_cmp_eq_u32 s22, 15
	s_cbranch_scc0 .LBB63_1355
; %bb.1351:
	global_load_ushort v5, v[0:1], off
	s_mov_b64 s[0:1], 0
	s_mov_b64 s[16:17], -1
	s_branch .LBB63_1356
.LBB63_1352:
	s_mov_b64 s[18:19], -1
                                        ; implicit-def: $vgpr5
	s_branch .LBB63_1357
.LBB63_1353:
	s_or_saveexec_b64 s[16:17], s[16:17]
	v_mov_b32_e32 v7, 0x7f800001
	s_xor_b64 exec, exec, s[16:17]
	s_cbranch_execz .LBB63_1334
.LBB63_1354:
	v_cmp_ne_u16_e32 vcc, 0, v5
	s_andn2_b64 s[12:13], s[12:13], exec
	s_and_b64 s[18:19], vcc, exec
	v_mov_b32_e32 v7, 0
	s_or_b64 s[12:13], s[12:13], s[18:19]
	s_or_b64 exec, exec, s[16:17]
	s_and_saveexec_b64 s[16:17], s[12:13]
	s_cbranch_execnz .LBB63_1335
	s_branch .LBB63_1336
.LBB63_1355:
	s_mov_b64 s[0:1], -1
                                        ; implicit-def: $vgpr5
.LBB63_1356:
	s_mov_b64 s[18:19], 0
.LBB63_1357:
	s_and_b64 vcc, exec, s[18:19]
	s_cbranch_vccz .LBB63_1359
; %bb.1358:
	s_cmp_lg_u32 s22, 11
	s_mov_b64 s[12:13], -1
	s_cselect_b64 s[0:1], -1, 0
.LBB63_1359:
	s_and_b64 vcc, exec, s[0:1]
	s_cbranch_vccnz .LBB63_1422
; %bb.1360:
	s_andn2_b64 vcc, exec, s[12:13]
	s_cbranch_vccnz .LBB63_1362
.LBB63_1361:
	global_load_ubyte v5, v[0:1], off
	s_mov_b64 s[16:17], -1
	s_waitcnt vmcnt(0)
	v_cmp_ne_u16_e32 vcc, 0, v5
	v_cndmask_b32_e64 v5, 0, 1.0, vcc
	v_lshrrev_b32_e32 v5, 16, v5
.LBB63_1362:
	s_branch .LBB63_1290
.LBB63_1363:
	s_cmp_lt_i32 s22, 5
	s_cbranch_scc1 .LBB63_1368
; %bb.1364:
	s_cmp_lt_i32 s22, 8
	s_cbranch_scc1 .LBB63_1369
; %bb.1365:
	;; [unrolled: 3-line block ×3, first 2 shown]
	s_cmp_gt_i32 s22, 9
	s_cbranch_scc0 .LBB63_1371
; %bb.1367:
	global_load_dwordx2 v[7:8], v[0:1], off
	s_movk_i32 s0, 0x7fff
	s_waitcnt vmcnt(0)
	v_cvt_f32_f64_e32 v5, v[7:8]
	v_mov_b32_e32 v7, 0x7fc0
	v_bfe_u32 v8, v5, 16, 1
	v_cmp_o_f32_e32 vcc, v5, v5
	v_add3_u32 v5, v5, v8, s0
	v_cndmask_b32_sdwa v5, v7, v5, vcc dst_sel:DWORD dst_unused:UNUSED_PAD src0_sel:DWORD src1_sel:WORD_1
	s_mov_b64 s[0:1], 0
	s_branch .LBB63_1372
.LBB63_1368:
	s_mov_b64 s[0:1], -1
                                        ; implicit-def: $vgpr5
	s_branch .LBB63_1390
.LBB63_1369:
	s_mov_b64 s[0:1], -1
                                        ; implicit-def: $vgpr5
	s_branch .LBB63_1378
.LBB63_1370:
	s_mov_b64 s[0:1], -1
                                        ; implicit-def: $vgpr5
	s_branch .LBB63_1375
.LBB63_1371:
	s_mov_b64 s[0:1], -1
                                        ; implicit-def: $vgpr5
.LBB63_1372:
	s_andn2_b64 vcc, exec, s[0:1]
	s_cbranch_vccnz .LBB63_1374
; %bb.1373:
	global_load_dword v5, v[0:1], off
	s_movk_i32 s0, 0x7fff
	v_mov_b32_e32 v7, 0x7fc0
	s_waitcnt vmcnt(0)
	v_bfe_u32 v8, v5, 16, 1
	v_cmp_o_f32_e32 vcc, v5, v5
	v_add3_u32 v5, v5, v8, s0
	v_cndmask_b32_sdwa v5, v7, v5, vcc dst_sel:DWORD dst_unused:UNUSED_PAD src0_sel:DWORD src1_sel:WORD_1
.LBB63_1374:
	s_mov_b64 s[0:1], 0
.LBB63_1375:
	s_andn2_b64 vcc, exec, s[0:1]
	s_cbranch_vccnz .LBB63_1377
; %bb.1376:
	global_load_dword v5, v[0:1], off
	s_movk_i32 s0, 0x7fff
	v_mov_b32_e32 v8, 0x7fc0
	s_waitcnt vmcnt(0)
	v_cvt_f32_f16_e32 v7, v5
	v_cmp_o_f16_e32 vcc, v5, v5
	v_bfe_u32 v5, v7, 16, 1
	v_add3_u32 v5, v7, v5, s0
	v_cndmask_b32_sdwa v5, v8, v5, vcc dst_sel:DWORD dst_unused:UNUSED_PAD src0_sel:DWORD src1_sel:WORD_1
.LBB63_1377:
	s_mov_b64 s[0:1], 0
.LBB63_1378:
	s_andn2_b64 vcc, exec, s[0:1]
	s_cbranch_vccnz .LBB63_1389
; %bb.1379:
	s_cmp_lt_i32 s22, 6
	s_cbranch_scc1 .LBB63_1382
; %bb.1380:
	s_cmp_gt_i32 s22, 6
	s_cbranch_scc0 .LBB63_1383
; %bb.1381:
	global_load_dwordx2 v[7:8], v[0:1], off
	s_movk_i32 s0, 0x7fff
	s_waitcnt vmcnt(0)
	v_cvt_f32_f64_e32 v5, v[7:8]
	v_mov_b32_e32 v7, 0x7fc0
	v_bfe_u32 v8, v5, 16, 1
	v_cmp_o_f32_e32 vcc, v5, v5
	v_add3_u32 v5, v5, v8, s0
	v_cndmask_b32_sdwa v5, v7, v5, vcc dst_sel:DWORD dst_unused:UNUSED_PAD src0_sel:DWORD src1_sel:WORD_1
	s_mov_b64 s[0:1], 0
	s_branch .LBB63_1384
.LBB63_1382:
	s_mov_b64 s[0:1], -1
                                        ; implicit-def: $vgpr5
	s_branch .LBB63_1387
.LBB63_1383:
	s_mov_b64 s[0:1], -1
                                        ; implicit-def: $vgpr5
.LBB63_1384:
	s_andn2_b64 vcc, exec, s[0:1]
	s_cbranch_vccnz .LBB63_1386
; %bb.1385:
	global_load_dword v5, v[0:1], off
	s_movk_i32 s0, 0x7fff
	v_mov_b32_e32 v7, 0x7fc0
	s_waitcnt vmcnt(0)
	v_bfe_u32 v8, v5, 16, 1
	v_cmp_o_f32_e32 vcc, v5, v5
	v_add3_u32 v5, v5, v8, s0
	v_cndmask_b32_sdwa v5, v7, v5, vcc dst_sel:DWORD dst_unused:UNUSED_PAD src0_sel:DWORD src1_sel:WORD_1
.LBB63_1386:
	s_mov_b64 s[0:1], 0
.LBB63_1387:
	s_andn2_b64 vcc, exec, s[0:1]
	s_cbranch_vccnz .LBB63_1389
; %bb.1388:
	global_load_ushort v5, v[0:1], off
	s_movk_i32 s0, 0x7fff
	v_mov_b32_e32 v8, 0x7fc0
	s_waitcnt vmcnt(0)
	v_cvt_f32_f16_e32 v7, v5
	v_cmp_o_f16_e32 vcc, v5, v5
	v_bfe_u32 v5, v7, 16, 1
	v_add3_u32 v5, v7, v5, s0
	v_cndmask_b32_sdwa v5, v8, v5, vcc dst_sel:DWORD dst_unused:UNUSED_PAD src0_sel:DWORD src1_sel:WORD_1
.LBB63_1389:
	s_mov_b64 s[0:1], 0
.LBB63_1390:
	s_andn2_b64 vcc, exec, s[0:1]
	s_cbranch_vccnz .LBB63_1410
; %bb.1391:
	s_cmp_lt_i32 s22, 2
	s_cbranch_scc1 .LBB63_1395
; %bb.1392:
	s_cmp_lt_i32 s22, 3
	s_cbranch_scc1 .LBB63_1396
; %bb.1393:
	s_cmp_gt_i32 s22, 3
	s_cbranch_scc0 .LBB63_1397
; %bb.1394:
	global_load_dwordx2 v[7:8], v[0:1], off
	s_movk_i32 s0, 0x7fff
	s_waitcnt vmcnt(0)
	v_xor_b32_e32 v9, v7, v8
	v_ffbh_i32_e32 v5, v8
	v_ashrrev_i32_e32 v9, 31, v9
	v_add_u32_e32 v5, -1, v5
	v_add_u32_e32 v9, 32, v9
	v_min_u32_e32 v5, v5, v9
	v_lshlrev_b64 v[7:8], v5, v[7:8]
	v_sub_u32_e32 v5, 32, v5
	v_min_u32_e32 v7, 1, v7
	v_or_b32_e32 v7, v8, v7
	v_cvt_f32_i32_e32 v7, v7
	v_ldexp_f32 v5, v7, v5
	v_bfe_u32 v7, v5, 16, 1
	v_add3_u32 v5, v5, v7, s0
	v_lshrrev_b32_e32 v5, 16, v5
	s_mov_b64 s[0:1], 0
	s_branch .LBB63_1398
.LBB63_1395:
	s_mov_b64 s[0:1], -1
                                        ; implicit-def: $vgpr5
	s_branch .LBB63_1404
.LBB63_1396:
	s_mov_b64 s[0:1], -1
                                        ; implicit-def: $vgpr5
	s_branch .LBB63_1401
.LBB63_1397:
	s_mov_b64 s[0:1], -1
                                        ; implicit-def: $vgpr5
.LBB63_1398:
	s_andn2_b64 vcc, exec, s[0:1]
	s_cbranch_vccnz .LBB63_1400
; %bb.1399:
	global_load_dword v5, v[0:1], off
	s_movk_i32 s0, 0x7fff
	s_waitcnt vmcnt(0)
	v_cvt_f32_i32_e32 v5, v5
	v_bfe_u32 v7, v5, 16, 1
	v_add3_u32 v5, v5, v7, s0
	v_lshrrev_b32_e32 v5, 16, v5
.LBB63_1400:
	s_mov_b64 s[0:1], 0
.LBB63_1401:
	s_andn2_b64 vcc, exec, s[0:1]
	s_cbranch_vccnz .LBB63_1403
; %bb.1402:
	global_load_sshort v5, v[0:1], off
	s_movk_i32 s0, 0x7fff
	s_waitcnt vmcnt(0)
	v_cvt_f32_i32_e32 v5, v5
	v_bfe_u32 v7, v5, 16, 1
	v_add3_u32 v5, v5, v7, s0
	v_lshrrev_b32_e32 v5, 16, v5
.LBB63_1403:
	s_mov_b64 s[0:1], 0
.LBB63_1404:
	s_andn2_b64 vcc, exec, s[0:1]
	s_cbranch_vccnz .LBB63_1410
; %bb.1405:
	s_cmp_gt_i32 s22, 0
	s_cbranch_scc0 .LBB63_1407
; %bb.1406:
	global_load_sbyte v5, v[0:1], off
	s_movk_i32 s0, 0x7fff
	s_waitcnt vmcnt(0)
	v_cvt_f32_i32_e32 v5, v5
	v_bfe_u32 v7, v5, 16, 1
	v_add3_u32 v5, v5, v7, s0
	v_lshrrev_b32_e32 v5, 16, v5
	s_mov_b64 s[0:1], 0
	s_branch .LBB63_1408
.LBB63_1407:
	s_mov_b64 s[0:1], -1
                                        ; implicit-def: $vgpr5
.LBB63_1408:
	s_andn2_b64 vcc, exec, s[0:1]
	s_cbranch_vccnz .LBB63_1410
; %bb.1409:
	global_load_ubyte v0, v[0:1], off
	s_movk_i32 s0, 0x7fff
	s_waitcnt vmcnt(0)
	v_cvt_f32_ubyte0_e32 v0, v0
	v_bfe_u32 v1, v0, 16, 1
	v_add3_u32 v0, v0, v1, s0
	v_lshrrev_b32_e32 v5, 16, v0
.LBB63_1410:
.LBB63_1411:
	v_add_u32_e32 v0, s3, v6
	v_ashrrev_i32_e32 v1, 31, v0
	v_mov_b32_e32 v6, s11
	v_add_co_u32_e32 v0, vcc, s10, v0
	s_cmp_lt_i32 s22, 11
	v_addc_co_u32_e32 v1, vcc, v6, v1, vcc
	s_cbranch_scc1 .LBB63_1418
; %bb.1412:
	s_cmp_gt_i32 s22, 25
	s_mov_b64 s[10:11], 0
	s_cbranch_scc0 .LBB63_1419
; %bb.1413:
	s_cmp_gt_i32 s22, 28
	s_cbranch_scc0 .LBB63_1420
; %bb.1414:
	s_cmp_gt_i32 s22, 43
	;; [unrolled: 3-line block ×3, first 2 shown]
	s_cbranch_scc0 .LBB63_1423
; %bb.1416:
	s_cmp_eq_u32 s22, 46
	s_mov_b64 s[16:17], 0
	s_cbranch_scc0 .LBB63_1424
; %bb.1417:
	global_load_dword v6, v[0:1], off
	s_mov_b64 s[0:1], 0
	s_mov_b64 s[12:13], -1
	s_branch .LBB63_1425
.LBB63_1418:
	s_mov_b64 s[0:1], -1
	s_mov_b64 s[12:13], 0
                                        ; implicit-def: $vgpr6
	s_branch .LBB63_1491
.LBB63_1419:
	s_mov_b64 s[16:17], -1
	s_mov_b64 s[12:13], 0
	s_mov_b64 s[0:1], 0
                                        ; implicit-def: $vgpr6
	s_branch .LBB63_1454
.LBB63_1420:
	s_mov_b64 s[16:17], -1
	s_mov_b64 s[12:13], 0
	s_mov_b64 s[0:1], 0
                                        ; implicit-def: $vgpr6
	s_branch .LBB63_1435
.LBB63_1421:
	s_mov_b64 s[16:17], -1
	s_mov_b64 s[12:13], 0
	s_mov_b64 s[0:1], 0
                                        ; implicit-def: $vgpr6
	s_branch .LBB63_1430
.LBB63_1422:
	s_trap 2
	s_or_b64 s[14:15], s[14:15], exec
	s_cbranch_execz .LBB63_1361
	s_branch .LBB63_1362
.LBB63_1423:
	s_mov_b64 s[16:17], -1
	s_mov_b64 s[12:13], 0
	s_mov_b64 s[0:1], 0
                                        ; implicit-def: $vgpr6
	s_branch .LBB63_1425
.LBB63_1424:
	s_mov_b64 s[0:1], -1
                                        ; implicit-def: $vgpr6
	s_mov_b64 s[12:13], 0
.LBB63_1425:
	s_and_b64 vcc, exec, s[16:17]
	s_cbranch_vccz .LBB63_1429
; %bb.1426:
	s_cmp_eq_u32 s22, 44
	s_cbranch_scc0 .LBB63_1428
; %bb.1427:
	global_load_ubyte v6, v[0:1], off
	s_movk_i32 s3, 0xff
	v_mov_b32_e32 v7, 0x7f800001
	v_mov_b32_e32 v8, 0x400000
	;; [unrolled: 1-line block ×3, first 2 shown]
	s_mov_b64 s[0:1], 0
	s_mov_b64 s[12:13], -1
	s_waitcnt vmcnt(0)
	v_lshlrev_b32_e32 v10, 23, v6
	v_cmp_ne_u32_e32 vcc, s3, v6
	v_cndmask_b32_e32 v7, v7, v10, vcc
	v_cmp_ne_u32_e32 vcc, 0, v6
	v_cndmask_b32_e32 v6, v8, v7, vcc
	v_add_u32_e32 v7, 0x7fff, v6
	v_cmp_o_f32_e32 vcc, v6, v6
	v_cndmask_b32_sdwa v6, v9, v7, vcc dst_sel:DWORD dst_unused:UNUSED_PAD src0_sel:DWORD src1_sel:WORD_1
	s_branch .LBB63_1429
.LBB63_1428:
	s_mov_b64 s[0:1], -1
                                        ; implicit-def: $vgpr6
.LBB63_1429:
	s_mov_b64 s[16:17], 0
.LBB63_1430:
	s_and_b64 vcc, exec, s[16:17]
	s_cbranch_vccz .LBB63_1434
; %bb.1431:
	s_cmp_eq_u32 s22, 29
	s_cbranch_scc0 .LBB63_1433
; %bb.1432:
	global_load_dwordx2 v[6:7], v[0:1], off
	s_movk_i32 s3, 0x7fff
	s_mov_b64 s[0:1], 0
	s_mov_b64 s[12:13], -1
	s_mov_b64 s[16:17], 0
	s_waitcnt vmcnt(0)
	v_ffbh_u32_e32 v8, v7
	v_min_u32_e32 v8, 32, v8
	v_lshlrev_b64 v[6:7], v8, v[6:7]
	v_min_u32_e32 v6, 1, v6
	v_or_b32_e32 v6, v7, v6
	v_cvt_f32_u32_e32 v6, v6
	v_sub_u32_e32 v7, 32, v8
	v_ldexp_f32 v6, v6, v7
	v_bfe_u32 v7, v6, 16, 1
	v_add3_u32 v6, v6, v7, s3
	v_lshrrev_b32_e32 v6, 16, v6
	s_branch .LBB63_1435
.LBB63_1433:
	s_mov_b64 s[0:1], -1
                                        ; implicit-def: $vgpr6
.LBB63_1434:
	s_mov_b64 s[16:17], 0
.LBB63_1435:
	s_and_b64 vcc, exec, s[16:17]
	s_cbranch_vccz .LBB63_1453
; %bb.1436:
	s_cmp_lt_i32 s22, 27
	s_cbranch_scc1 .LBB63_1439
; %bb.1437:
	s_cmp_gt_i32 s22, 27
	s_cbranch_scc0 .LBB63_1440
; %bb.1438:
	global_load_dword v6, v[0:1], off
	s_movk_i32 s3, 0x7fff
	s_mov_b64 s[12:13], 0
	s_waitcnt vmcnt(0)
	v_cvt_f32_u32_e32 v6, v6
	v_bfe_u32 v7, v6, 16, 1
	v_add3_u32 v6, v6, v7, s3
	v_lshrrev_b32_e32 v6, 16, v6
	s_branch .LBB63_1441
.LBB63_1439:
	s_mov_b64 s[12:13], -1
                                        ; implicit-def: $vgpr6
	s_branch .LBB63_1444
.LBB63_1440:
	s_mov_b64 s[12:13], -1
                                        ; implicit-def: $vgpr6
.LBB63_1441:
	s_andn2_b64 vcc, exec, s[12:13]
	s_cbranch_vccnz .LBB63_1443
; %bb.1442:
	global_load_ushort v6, v[0:1], off
	s_movk_i32 s3, 0x7fff
	s_waitcnt vmcnt(0)
	v_cvt_f32_u32_e32 v6, v6
	v_bfe_u32 v7, v6, 16, 1
	v_add3_u32 v6, v6, v7, s3
	v_lshrrev_b32_e32 v6, 16, v6
.LBB63_1443:
	s_mov_b64 s[12:13], 0
.LBB63_1444:
	s_andn2_b64 vcc, exec, s[12:13]
	s_cbranch_vccnz .LBB63_1452
; %bb.1445:
	global_load_ubyte v6, v[0:1], off
	s_movk_i32 s3, 0x7f
	s_mov_b64 s[12:13], 0
	s_waitcnt vmcnt(0)
	v_cmp_lt_i16_e32 vcc, s3, v6
	s_and_saveexec_b64 s[16:17], vcc
	s_xor_b64 s[16:17], exec, s[16:17]
	s_cbranch_execz .LBB63_1466
; %bb.1446:
	s_movk_i32 s3, 0x80
	v_cmp_eq_u16_e32 vcc, s3, v6
	s_mov_b64 s[12:13], -1
	s_and_saveexec_b64 s[18:19], vcc
; %bb.1447:
	s_xor_b64 s[12:13], exec, -1
; %bb.1448:
	s_or_b64 exec, exec, s[18:19]
	s_and_b64 s[12:13], s[12:13], exec
	s_or_saveexec_b64 s[16:17], s[16:17]
	v_mov_b32_e32 v7, 0x7f800001
	s_xor_b64 exec, exec, s[16:17]
	s_cbranch_execnz .LBB63_1467
.LBB63_1449:
	s_or_b64 exec, exec, s[16:17]
	s_and_saveexec_b64 s[16:17], s[12:13]
	s_cbranch_execz .LBB63_1451
.LBB63_1450:
	v_lshlrev_b32_e32 v7, 24, v6
	v_and_b32_e32 v6, 0xffff, v6
	v_and_b32_e32 v8, 7, v6
	v_ffbh_u32_e32 v10, v8
	v_min_u32_e32 v10, 32, v10
	v_subrev_u32_e32 v11, 28, v10
	v_bfe_u32 v9, v6, 3, 4
	v_lshlrev_b32_e32 v6, v11, v6
	v_sub_u32_e32 v10, 29, v10
	v_and_b32_e32 v6, 7, v6
	v_cmp_eq_u32_e32 vcc, 0, v9
	v_cndmask_b32_e32 v9, v9, v10, vcc
	v_cndmask_b32_e32 v6, v8, v6, vcc
	v_mov_b32_e32 v8, 0x3b800000
	v_lshlrev_b32_e32 v6, 20, v6
	v_and_b32_e32 v7, 0x80000000, v7
	v_lshl_add_u32 v8, v9, 23, v8
	v_or3_b32 v7, v7, v8, v6
.LBB63_1451:
	s_or_b64 exec, exec, s[16:17]
	v_bfe_u32 v6, v7, 16, 1
	s_movk_i32 s3, 0x7fff
	v_add3_u32 v6, v7, v6, s3
	v_cmp_o_f32_e32 vcc, v7, v7
	v_mov_b32_e32 v7, 0x7fc0
	v_cndmask_b32_sdwa v6, v7, v6, vcc dst_sel:DWORD dst_unused:UNUSED_PAD src0_sel:DWORD src1_sel:WORD_1
.LBB63_1452:
	s_mov_b64 s[12:13], -1
.LBB63_1453:
	s_mov_b64 s[16:17], 0
.LBB63_1454:
	s_and_b64 vcc, exec, s[16:17]
	s_cbranch_vccz .LBB63_1487
; %bb.1455:
	s_cmp_gt_i32 s22, 22
	s_cbranch_scc0 .LBB63_1465
; %bb.1456:
	s_cmp_lt_i32 s22, 24
	s_cbranch_scc1 .LBB63_1468
; %bb.1457:
	s_cmp_gt_i32 s22, 24
	s_cbranch_scc0 .LBB63_1469
; %bb.1458:
	global_load_ubyte v6, v[0:1], off
	s_movk_i32 s3, 0x7f
	s_waitcnt vmcnt(0)
	v_cmp_lt_i16_e32 vcc, s3, v6
	s_and_saveexec_b64 s[12:13], vcc
	s_xor_b64 s[12:13], exec, s[12:13]
	s_cbranch_execz .LBB63_1481
; %bb.1459:
	s_movk_i32 s3, 0x80
	v_cmp_eq_u16_e32 vcc, s3, v6
	s_mov_b64 s[10:11], -1
	s_and_saveexec_b64 s[16:17], vcc
; %bb.1460:
	s_xor_b64 s[10:11], exec, -1
; %bb.1461:
	s_or_b64 exec, exec, s[16:17]
	s_and_b64 s[10:11], s[10:11], exec
	s_or_saveexec_b64 s[12:13], s[12:13]
	v_mov_b32_e32 v7, 0x7f800001
	s_xor_b64 exec, exec, s[12:13]
	s_cbranch_execnz .LBB63_1482
.LBB63_1462:
	s_or_b64 exec, exec, s[12:13]
	s_and_saveexec_b64 s[12:13], s[10:11]
	s_cbranch_execz .LBB63_1464
.LBB63_1463:
	v_lshlrev_b32_e32 v7, 24, v6
	v_and_b32_e32 v6, 0xffff, v6
	v_and_b32_e32 v8, 3, v6
	v_ffbh_u32_e32 v10, v8
	v_min_u32_e32 v10, 32, v10
	v_subrev_u32_e32 v11, 29, v10
	v_bfe_u32 v9, v6, 2, 5
	v_lshlrev_b32_e32 v6, v11, v6
	v_sub_u32_e32 v10, 30, v10
	v_and_b32_e32 v6, 3, v6
	v_cmp_eq_u32_e32 vcc, 0, v9
	v_cndmask_b32_e32 v9, v9, v10, vcc
	v_cndmask_b32_e32 v6, v8, v6, vcc
	v_mov_b32_e32 v8, 0x37800000
	v_lshlrev_b32_e32 v6, 21, v6
	v_and_b32_e32 v7, 0x80000000, v7
	v_lshl_add_u32 v8, v9, 23, v8
	v_or3_b32 v7, v7, v8, v6
.LBB63_1464:
	s_or_b64 exec, exec, s[12:13]
	v_bfe_u32 v6, v7, 16, 1
	s_movk_i32 s3, 0x7fff
	v_add3_u32 v6, v7, v6, s3
	v_cmp_o_f32_e32 vcc, v7, v7
	v_mov_b32_e32 v7, 0x7fc0
	v_cndmask_b32_sdwa v6, v7, v6, vcc dst_sel:DWORD dst_unused:UNUSED_PAD src0_sel:DWORD src1_sel:WORD_1
	s_mov_b64 s[10:11], 0
	s_branch .LBB63_1470
.LBB63_1465:
	s_mov_b64 s[10:11], -1
                                        ; implicit-def: $vgpr6
	s_branch .LBB63_1476
.LBB63_1466:
	s_or_saveexec_b64 s[16:17], s[16:17]
	v_mov_b32_e32 v7, 0x7f800001
	s_xor_b64 exec, exec, s[16:17]
	s_cbranch_execz .LBB63_1449
.LBB63_1467:
	v_cmp_ne_u16_e32 vcc, 0, v6
	s_andn2_b64 s[12:13], s[12:13], exec
	s_and_b64 s[18:19], vcc, exec
	v_mov_b32_e32 v7, 0
	s_or_b64 s[12:13], s[12:13], s[18:19]
	s_or_b64 exec, exec, s[16:17]
	s_and_saveexec_b64 s[16:17], s[12:13]
	s_cbranch_execnz .LBB63_1450
	s_branch .LBB63_1451
.LBB63_1468:
	s_mov_b64 s[10:11], -1
                                        ; implicit-def: $vgpr6
	s_branch .LBB63_1473
.LBB63_1469:
	s_mov_b64 s[10:11], -1
                                        ; implicit-def: $vgpr6
.LBB63_1470:
	s_and_b64 vcc, exec, s[10:11]
	s_cbranch_vccz .LBB63_1472
; %bb.1471:
	global_load_ubyte v6, v[0:1], off
	s_mov_b32 s3, 0x7f800000
	s_brev_b32 s10, 1
	s_movk_i32 s11, 0x7fff
	s_waitcnt vmcnt(0)
	v_lshlrev_b32_e32 v6, 24, v6
	v_and_b32_e32 v7, 0x7f000000, v6
	v_ffbh_u32_e32 v8, v7
	v_min_u32_e32 v8, 32, v8
	v_sub_u32_e64 v8, v8, 4 clamp
	v_lshlrev_b32_e32 v10, v8, v7
	v_lshlrev_b32_e32 v8, 23, v8
	v_lshrrev_b32_e32 v10, 4, v10
	v_add_u32_e32 v9, 0x1000000, v7
	v_sub_u32_e32 v8, v10, v8
	v_ashrrev_i32_e32 v9, 8, v9
	v_add_u32_e32 v8, 0x3c000000, v8
	v_and_or_b32 v8, v9, s3, v8
	v_cmp_ne_u32_e32 vcc, 0, v7
	v_cndmask_b32_e32 v7, 0, v8, vcc
	v_and_or_b32 v6, v6, s10, v7
	v_bfe_u32 v7, v7, 16, 1
	v_add3_u32 v7, v6, v7, s11
	v_cmp_o_f32_e32 vcc, v6, v6
	v_mov_b32_e32 v6, 0x7fc0
	v_cndmask_b32_sdwa v6, v6, v7, vcc dst_sel:DWORD dst_unused:UNUSED_PAD src0_sel:DWORD src1_sel:WORD_1
.LBB63_1472:
	s_mov_b64 s[10:11], 0
.LBB63_1473:
	s_andn2_b64 vcc, exec, s[10:11]
	s_cbranch_vccnz .LBB63_1475
; %bb.1474:
	global_load_ubyte v6, v[0:1], off
	s_movk_i32 s3, 0x7f00
	s_brev_b32 s10, 16
	s_brev_b32 s11, 1
	s_movk_i32 s12, 0x7fff
	s_waitcnt vmcnt(0)
	v_lshlrev_b16_e32 v7, 8, v6
	v_lshlrev_b32_e32 v6, 25, v6
	v_lshrrev_b32_e32 v8, 4, v6
	v_and_or_b32 v9, v7, s3, 0.5
	v_or_b32_e32 v8, 0x70000000, v8
	v_add_f32_e32 v9, -0.5, v9
	v_mul_f32_e32 v8, 0x7800000, v8
	v_cmp_gt_u32_e32 vcc, s10, v6
	v_bfe_i32 v7, v7, 0, 16
	v_cndmask_b32_e32 v6, v8, v9, vcc
	v_and_or_b32 v7, v7, s11, v6
	v_bfe_u32 v6, v6, 16, 1
	v_add3_u32 v6, v7, v6, s12
	v_cmp_o_f32_e32 vcc, v7, v7
	v_mov_b32_e32 v7, 0x7fc0
	v_cndmask_b32_sdwa v6, v7, v6, vcc dst_sel:DWORD dst_unused:UNUSED_PAD src0_sel:DWORD src1_sel:WORD_1
.LBB63_1475:
	s_mov_b64 s[10:11], 0
	s_mov_b64 s[12:13], -1
.LBB63_1476:
	s_andn2_b64 vcc, exec, s[10:11]
	s_mov_b64 s[10:11], 0
	s_cbranch_vccnz .LBB63_1487
; %bb.1477:
	s_cmp_gt_i32 s22, 14
	s_cbranch_scc0 .LBB63_1480
; %bb.1478:
	s_cmp_eq_u32 s22, 15
	s_cbranch_scc0 .LBB63_1483
; %bb.1479:
	global_load_ushort v6, v[0:1], off
	s_mov_b64 s[0:1], 0
	s_mov_b64 s[12:13], -1
	s_branch .LBB63_1484
.LBB63_1480:
	s_mov_b64 s[16:17], -1
                                        ; implicit-def: $vgpr6
	s_branch .LBB63_1485
.LBB63_1481:
	s_or_saveexec_b64 s[12:13], s[12:13]
	v_mov_b32_e32 v7, 0x7f800001
	s_xor_b64 exec, exec, s[12:13]
	s_cbranch_execz .LBB63_1462
.LBB63_1482:
	v_cmp_ne_u16_e32 vcc, 0, v6
	s_andn2_b64 s[10:11], s[10:11], exec
	s_and_b64 s[16:17], vcc, exec
	v_mov_b32_e32 v7, 0
	s_or_b64 s[10:11], s[10:11], s[16:17]
	s_or_b64 exec, exec, s[12:13]
	s_and_saveexec_b64 s[12:13], s[10:11]
	s_cbranch_execnz .LBB63_1463
	s_branch .LBB63_1464
.LBB63_1483:
	s_mov_b64 s[0:1], -1
                                        ; implicit-def: $vgpr6
.LBB63_1484:
	s_mov_b64 s[16:17], 0
.LBB63_1485:
	s_and_b64 vcc, exec, s[16:17]
	s_cbranch_vccz .LBB63_1487
; %bb.1486:
	s_cmp_lg_u32 s22, 11
	s_mov_b64 s[10:11], -1
	s_cselect_b64 s[0:1], -1, 0
.LBB63_1487:
	s_and_b64 vcc, exec, s[0:1]
	s_cbranch_vccnz .LBB63_2020
; %bb.1488:
	s_andn2_b64 vcc, exec, s[10:11]
	s_cbranch_vccnz .LBB63_1490
.LBB63_1489:
	global_load_ubyte v6, v[0:1], off
	s_mov_b64 s[12:13], -1
	s_waitcnt vmcnt(0)
	v_cmp_ne_u16_e32 vcc, 0, v6
	v_cndmask_b32_e64 v6, 0, 1.0, vcc
	v_lshrrev_b32_e32 v6, 16, v6
.LBB63_1490:
	s_mov_b64 s[0:1], 0
.LBB63_1491:
	s_and_b64 vcc, exec, s[0:1]
	s_cbranch_vccz .LBB63_1540
; %bb.1492:
	s_cmp_lt_i32 s22, 5
	s_cbranch_scc1 .LBB63_1497
; %bb.1493:
	s_cmp_lt_i32 s22, 8
	s_cbranch_scc1 .LBB63_1498
	;; [unrolled: 3-line block ×3, first 2 shown]
; %bb.1495:
	s_cmp_gt_i32 s22, 9
	s_cbranch_scc0 .LBB63_1500
; %bb.1496:
	global_load_dwordx2 v[6:7], v[0:1], off
	s_movk_i32 s0, 0x7fff
	s_waitcnt vmcnt(0)
	v_cvt_f32_f64_e32 v6, v[6:7]
	v_mov_b32_e32 v7, 0x7fc0
	v_bfe_u32 v8, v6, 16, 1
	v_cmp_o_f32_e32 vcc, v6, v6
	v_add3_u32 v6, v6, v8, s0
	v_cndmask_b32_sdwa v6, v7, v6, vcc dst_sel:DWORD dst_unused:UNUSED_PAD src0_sel:DWORD src1_sel:WORD_1
	s_mov_b64 s[0:1], 0
	s_branch .LBB63_1501
.LBB63_1497:
	s_mov_b64 s[0:1], -1
                                        ; implicit-def: $vgpr6
	s_branch .LBB63_1519
.LBB63_1498:
	s_mov_b64 s[0:1], -1
                                        ; implicit-def: $vgpr6
	s_branch .LBB63_1507
.LBB63_1499:
	s_mov_b64 s[0:1], -1
                                        ; implicit-def: $vgpr6
	s_branch .LBB63_1504
.LBB63_1500:
	s_mov_b64 s[0:1], -1
                                        ; implicit-def: $vgpr6
.LBB63_1501:
	s_andn2_b64 vcc, exec, s[0:1]
	s_cbranch_vccnz .LBB63_1503
; %bb.1502:
	global_load_dword v6, v[0:1], off
	s_movk_i32 s0, 0x7fff
	v_mov_b32_e32 v7, 0x7fc0
	s_waitcnt vmcnt(0)
	v_bfe_u32 v8, v6, 16, 1
	v_cmp_o_f32_e32 vcc, v6, v6
	v_add3_u32 v6, v6, v8, s0
	v_cndmask_b32_sdwa v6, v7, v6, vcc dst_sel:DWORD dst_unused:UNUSED_PAD src0_sel:DWORD src1_sel:WORD_1
.LBB63_1503:
	s_mov_b64 s[0:1], 0
.LBB63_1504:
	s_andn2_b64 vcc, exec, s[0:1]
	s_cbranch_vccnz .LBB63_1506
; %bb.1505:
	global_load_dword v6, v[0:1], off
	s_movk_i32 s0, 0x7fff
	v_mov_b32_e32 v8, 0x7fc0
	s_waitcnt vmcnt(0)
	v_cvt_f32_f16_e32 v7, v6
	v_cmp_o_f16_e32 vcc, v6, v6
	v_bfe_u32 v6, v7, 16, 1
	v_add3_u32 v6, v7, v6, s0
	v_cndmask_b32_sdwa v6, v8, v6, vcc dst_sel:DWORD dst_unused:UNUSED_PAD src0_sel:DWORD src1_sel:WORD_1
.LBB63_1506:
	s_mov_b64 s[0:1], 0
.LBB63_1507:
	s_andn2_b64 vcc, exec, s[0:1]
	s_cbranch_vccnz .LBB63_1518
; %bb.1508:
	s_cmp_lt_i32 s22, 6
	s_cbranch_scc1 .LBB63_1511
; %bb.1509:
	s_cmp_gt_i32 s22, 6
	s_cbranch_scc0 .LBB63_1512
; %bb.1510:
	global_load_dwordx2 v[6:7], v[0:1], off
	s_movk_i32 s0, 0x7fff
	s_waitcnt vmcnt(0)
	v_cvt_f32_f64_e32 v6, v[6:7]
	v_mov_b32_e32 v7, 0x7fc0
	v_bfe_u32 v8, v6, 16, 1
	v_cmp_o_f32_e32 vcc, v6, v6
	v_add3_u32 v6, v6, v8, s0
	v_cndmask_b32_sdwa v6, v7, v6, vcc dst_sel:DWORD dst_unused:UNUSED_PAD src0_sel:DWORD src1_sel:WORD_1
	s_mov_b64 s[0:1], 0
	s_branch .LBB63_1513
.LBB63_1511:
	s_mov_b64 s[0:1], -1
                                        ; implicit-def: $vgpr6
	s_branch .LBB63_1516
.LBB63_1512:
	s_mov_b64 s[0:1], -1
                                        ; implicit-def: $vgpr6
.LBB63_1513:
	s_andn2_b64 vcc, exec, s[0:1]
	s_cbranch_vccnz .LBB63_1515
; %bb.1514:
	global_load_dword v6, v[0:1], off
	s_movk_i32 s0, 0x7fff
	v_mov_b32_e32 v7, 0x7fc0
	s_waitcnt vmcnt(0)
	v_bfe_u32 v8, v6, 16, 1
	v_cmp_o_f32_e32 vcc, v6, v6
	v_add3_u32 v6, v6, v8, s0
	v_cndmask_b32_sdwa v6, v7, v6, vcc dst_sel:DWORD dst_unused:UNUSED_PAD src0_sel:DWORD src1_sel:WORD_1
.LBB63_1515:
	s_mov_b64 s[0:1], 0
.LBB63_1516:
	s_andn2_b64 vcc, exec, s[0:1]
	s_cbranch_vccnz .LBB63_1518
; %bb.1517:
	global_load_ushort v6, v[0:1], off
	s_movk_i32 s0, 0x7fff
	v_mov_b32_e32 v8, 0x7fc0
	s_waitcnt vmcnt(0)
	v_cvt_f32_f16_e32 v7, v6
	v_cmp_o_f16_e32 vcc, v6, v6
	v_bfe_u32 v6, v7, 16, 1
	v_add3_u32 v6, v7, v6, s0
	v_cndmask_b32_sdwa v6, v8, v6, vcc dst_sel:DWORD dst_unused:UNUSED_PAD src0_sel:DWORD src1_sel:WORD_1
.LBB63_1518:
	s_mov_b64 s[0:1], 0
.LBB63_1519:
	s_andn2_b64 vcc, exec, s[0:1]
	s_cbranch_vccnz .LBB63_1539
; %bb.1520:
	s_cmp_lt_i32 s22, 2
	s_cbranch_scc1 .LBB63_1524
; %bb.1521:
	s_cmp_lt_i32 s22, 3
	s_cbranch_scc1 .LBB63_1525
; %bb.1522:
	s_cmp_gt_i32 s22, 3
	s_cbranch_scc0 .LBB63_1526
; %bb.1523:
	global_load_dwordx2 v[6:7], v[0:1], off
	s_movk_i32 s0, 0x7fff
	s_waitcnt vmcnt(0)
	v_xor_b32_e32 v9, v6, v7
	v_ffbh_i32_e32 v8, v7
	v_ashrrev_i32_e32 v9, 31, v9
	v_add_u32_e32 v8, -1, v8
	v_add_u32_e32 v9, 32, v9
	v_min_u32_e32 v8, v8, v9
	v_lshlrev_b64 v[6:7], v8, v[6:7]
	v_min_u32_e32 v6, 1, v6
	v_or_b32_e32 v6, v7, v6
	v_cvt_f32_i32_e32 v6, v6
	v_sub_u32_e32 v7, 32, v8
	v_ldexp_f32 v6, v6, v7
	v_bfe_u32 v7, v6, 16, 1
	v_add3_u32 v6, v6, v7, s0
	v_lshrrev_b32_e32 v6, 16, v6
	s_mov_b64 s[0:1], 0
	s_branch .LBB63_1527
.LBB63_1524:
	s_mov_b64 s[0:1], -1
                                        ; implicit-def: $vgpr6
	s_branch .LBB63_1533
.LBB63_1525:
	s_mov_b64 s[0:1], -1
                                        ; implicit-def: $vgpr6
	s_branch .LBB63_1530
.LBB63_1526:
	s_mov_b64 s[0:1], -1
                                        ; implicit-def: $vgpr6
.LBB63_1527:
	s_andn2_b64 vcc, exec, s[0:1]
	s_cbranch_vccnz .LBB63_1529
; %bb.1528:
	global_load_dword v6, v[0:1], off
	s_movk_i32 s0, 0x7fff
	s_waitcnt vmcnt(0)
	v_cvt_f32_i32_e32 v6, v6
	v_bfe_u32 v7, v6, 16, 1
	v_add3_u32 v6, v6, v7, s0
	v_lshrrev_b32_e32 v6, 16, v6
.LBB63_1529:
	s_mov_b64 s[0:1], 0
.LBB63_1530:
	s_andn2_b64 vcc, exec, s[0:1]
	s_cbranch_vccnz .LBB63_1532
; %bb.1531:
	global_load_sshort v6, v[0:1], off
	s_movk_i32 s0, 0x7fff
	s_waitcnt vmcnt(0)
	v_cvt_f32_i32_e32 v6, v6
	v_bfe_u32 v7, v6, 16, 1
	v_add3_u32 v6, v6, v7, s0
	v_lshrrev_b32_e32 v6, 16, v6
.LBB63_1532:
	s_mov_b64 s[0:1], 0
.LBB63_1533:
	s_andn2_b64 vcc, exec, s[0:1]
	s_cbranch_vccnz .LBB63_1539
; %bb.1534:
	s_cmp_gt_i32 s22, 0
	s_cbranch_scc0 .LBB63_1536
; %bb.1535:
	global_load_sbyte v6, v[0:1], off
	s_movk_i32 s0, 0x7fff
	s_waitcnt vmcnt(0)
	v_cvt_f32_i32_e32 v6, v6
	v_bfe_u32 v7, v6, 16, 1
	v_add3_u32 v6, v6, v7, s0
	v_lshrrev_b32_e32 v6, 16, v6
	s_mov_b64 s[0:1], 0
	s_branch .LBB63_1537
.LBB63_1536:
	s_mov_b64 s[0:1], -1
                                        ; implicit-def: $vgpr6
.LBB63_1537:
	s_andn2_b64 vcc, exec, s[0:1]
	s_cbranch_vccnz .LBB63_1539
; %bb.1538:
	global_load_ubyte v0, v[0:1], off
	s_movk_i32 s0, 0x7fff
	s_waitcnt vmcnt(0)
	v_cvt_f32_ubyte0_e32 v0, v0
	v_bfe_u32 v1, v0, 16, 1
	v_add3_u32 v0, v0, v1, s0
	v_lshrrev_b32_e32 v6, 16, v0
.LBB63_1539:
	s_mov_b64 s[12:13], -1
.LBB63_1540:
	s_andn2_b64 vcc, exec, s[12:13]
	s_cbranch_vccnz .LBB63_1974
; %bb.1541:
	s_waitcnt vmcnt(0)
	v_lshlrev_b32_e32 v0, 16, v3
	v_fma_f32 v1, |v0|, -0.5, 0.5
	v_mul_f32_e32 v3, v0, v0
	v_cmp_ge_f32_e64 vcc, |v0|, 0.5
	v_cndmask_b32_e32 v1, v3, v1, vcc
	v_mov_b32_e32 v3, 0x3c5fc5da
	v_fmac_f32_e32 v3, 0x3d1c21a7, v1
	v_mov_b32_e32 v7, 0x3d034c3c
	v_fmac_f32_e32 v7, v1, v3
	;; [unrolled: 2-line block ×4, first 2 shown]
	v_sqrt_f32_e32 v3, v1
	v_mov_b32_e32 v8, 0x3e2aaaac
	v_fmac_f32_e32 v8, v1, v7
	v_mul_f32_e32 v1, v1, v8
	v_fmac_f32_e32 v3, v3, v1
	v_add_f32_e32 v3, v3, v3
	v_sub_f32_e32 v3, 0x3fc90fdb, v3
	v_fma_f32 v1, |v0|, v1, |v0|
	v_cmp_lt_f32_e64 vcc, |v0|, 0.5
	v_cndmask_b32_e32 v1, v3, v1, vcc
	s_brev_b32 s0, -2
	v_mul_lo_u32 v2, s2, v2
	v_bfi_b32 v0, s0, v1, v0
	v_bfe_u32 v1, v0, 16, 1
	s_movk_i32 s0, 0x7fff
	v_add3_u32 v1, v0, v1, s0
	v_cmp_o_f32_e32 vcc, v0, v0
	v_mov_b32_e32 v0, 0x7fc0
	v_cndmask_b32_sdwa v3, v0, v1, vcc dst_sel:DWORD dst_unused:UNUSED_PAD src0_sel:DWORD src1_sel:WORD_1
	v_ashrrev_i32_e32 v1, 31, v2
	v_mov_b32_e32 v7, s9
	s_and_b32 s20, s33, 0xff
	v_add_co_u32_e32 v0, vcc, s8, v2
	s_cmp_lt_i32 s20, 11
	v_addc_co_u32_e32 v1, vcc, v7, v1, vcc
	s_cbranch_scc1 .LBB63_1619
; %bb.1542:
	s_and_b32 s3, 0xffff, s20
	s_mov_b64 s[16:17], -1
	s_mov_b64 s[10:11], 0
	s_cmp_gt_i32 s3, 25
	s_mov_b64 s[12:13], 0
	s_mov_b64 s[0:1], 0
	s_cbranch_scc0 .LBB63_1575
; %bb.1543:
	s_cmp_gt_i32 s3, 28
	s_cbranch_scc0 .LBB63_1558
; %bb.1544:
	s_cmp_gt_i32 s3, 43
	;; [unrolled: 3-line block ×3, first 2 shown]
	s_cbranch_scc0 .LBB63_1548
; %bb.1546:
	s_mov_b64 s[0:1], -1
	s_mov_b64 s[16:17], 0
	s_cmp_eq_u32 s3, 46
	s_cbranch_scc0 .LBB63_1548
; %bb.1547:
	v_and_b32_e32 v7, 0xffff, v3
	global_store_dword v[0:1], v7, off
	s_mov_b64 s[0:1], 0
	s_mov_b64 s[12:13], -1
.LBB63_1548:
	s_and_b64 vcc, exec, s[16:17]
	s_cbranch_vccz .LBB63_1553
; %bb.1549:
	s_cmp_eq_u32 s3, 44
	s_mov_b64 s[0:1], -1
	s_cbranch_scc0 .LBB63_1553
; %bb.1550:
	v_and_b32_e32 v8, 0xffff, v3
	v_bfe_u32 v7, v8, 7, 8
	s_movk_i32 s0, 0xff
	v_cmp_ne_u32_e32 vcc, s0, v7
	v_mov_b32_e32 v9, 0xff
	s_and_saveexec_b64 s[12:13], vcc
	s_cbranch_execz .LBB63_1552
; %bb.1551:
	v_lshlrev_b32_e32 v10, 16, v8
	s_mov_b32 s0, 0x3f0000
	v_lshrrev_b32_e32 v9, 7, v8
	v_and_b32_e32 v8, 64, v8
	v_and_or_b32 v7, v10, s0, v7
	v_cmp_ne_u32_e32 vcc, 0, v8
	v_cmp_ne_u32_e64 s[0:1], 0, v7
	s_and_b64 s[0:1], vcc, s[0:1]
	v_cndmask_b32_e64 v7, 0, 1, s[0:1]
	v_add_u32_e32 v9, v9, v7
.LBB63_1552:
	s_or_b64 exec, exec, s[12:13]
	s_mov_b64 s[0:1], 0
	s_mov_b64 s[12:13], -1
	global_store_byte v[0:1], v9, off
.LBB63_1553:
	s_mov_b64 s[16:17], 0
.LBB63_1554:
	s_and_b64 vcc, exec, s[16:17]
	s_cbranch_vccz .LBB63_1557
; %bb.1555:
	s_cmp_eq_u32 s3, 29
	s_mov_b64 s[0:1], -1
	s_cbranch_scc0 .LBB63_1557
; %bb.1556:
	v_lshlrev_b32_e32 v7, 16, v3
	v_trunc_f32_e32 v7, v7
	v_mul_f32_e32 v8, 0x2f800000, v7
	v_floor_f32_e32 v9, v8
	v_fmac_f32_e32 v7, 0xcf800000, v9
	v_cvt_u32_f32_e32 v8, v9
	v_cvt_u32_f32_e32 v7, v7
	s_mov_b64 s[0:1], 0
	s_mov_b64 s[12:13], -1
	global_store_dwordx2 v[0:1], v[7:8], off
.LBB63_1557:
	s_mov_b64 s[16:17], 0
.LBB63_1558:
	s_and_b64 vcc, exec, s[16:17]
	s_cbranch_vccz .LBB63_1574
; %bb.1559:
	s_cmp_lt_i32 s3, 27
	s_mov_b64 s[12:13], -1
	s_cbranch_scc1 .LBB63_1565
; %bb.1560:
	s_cmp_gt_i32 s3, 27
	s_cbranch_scc0 .LBB63_1562
; %bb.1561:
	v_lshlrev_b32_e32 v7, 16, v3
	v_cvt_u32_f32_e32 v7, v7
	s_mov_b64 s[12:13], 0
	global_store_dword v[0:1], v7, off
.LBB63_1562:
	s_andn2_b64 vcc, exec, s[12:13]
	s_cbranch_vccnz .LBB63_1564
; %bb.1563:
	v_lshlrev_b32_e32 v7, 16, v3
	v_cvt_u32_f32_e32 v7, v7
	global_store_short v[0:1], v7, off
.LBB63_1564:
	s_mov_b64 s[12:13], 0
.LBB63_1565:
	s_andn2_b64 vcc, exec, s[12:13]
	s_cbranch_vccnz .LBB63_1573
; %bb.1566:
	v_lshlrev_b32_e32 v9, 16, v3
	v_and_b32_e32 v8, 0x7fffffff, v9
	s_mov_b32 s12, 0x43800000
	v_cmp_gt_u32_e32 vcc, s12, v8
	v_mov_b32_e32 v10, 0x80
	s_and_saveexec_b64 s[12:13], vcc
	s_cbranch_execz .LBB63_1572
; %bb.1567:
	s_mov_b32 s16, 0x3bffffff
	v_and_b32_e32 v7, 0xffff, v3
	v_cmp_lt_u32_e32 vcc, s16, v8
	s_mov_b64 s[16:17], 0
                                        ; implicit-def: $vgpr8
	s_and_saveexec_b64 s[18:19], vcc
	s_xor_b64 s[18:19], exec, s[18:19]
	s_cbranch_execz .LBB63_2021
; %bb.1568:
	v_bfe_u32 v8, v7, 4, 1
	s_mov_b32 s21, 0x487ffff
	v_add3_u32 v8, v9, v8, s21
	s_mov_b64 s[16:17], exec
	v_lshrrev_b32_e32 v8, 20, v8
                                        ; implicit-def: $vgpr9
	s_andn2_saveexec_b64 s[18:19], s[18:19]
	s_cbranch_execnz .LBB63_2022
.LBB63_1569:
	s_or_b64 exec, exec, s[18:19]
	v_mov_b32_e32 v10, 0
	s_and_saveexec_b64 s[18:19], s[16:17]
.LBB63_1570:
	v_lshrrev_b32_e32 v7, 8, v7
	s_movk_i32 s16, 0x80
	v_and_or_b32 v10, v7, s16, v8
.LBB63_1571:
	s_or_b64 exec, exec, s[18:19]
.LBB63_1572:
	s_or_b64 exec, exec, s[12:13]
	global_store_byte v[0:1], v10, off
.LBB63_1573:
	s_mov_b64 s[12:13], -1
.LBB63_1574:
	s_mov_b64 s[16:17], 0
.LBB63_1575:
	s_and_b64 vcc, exec, s[16:17]
	s_cbranch_vccz .LBB63_1615
; %bb.1576:
	s_cmp_gt_i32 s3, 22
	s_mov_b64 s[10:11], -1
	s_cbranch_scc0 .LBB63_1608
; %bb.1577:
	s_cmp_lt_i32 s3, 24
	s_cbranch_scc1 .LBB63_1597
; %bb.1578:
	s_cmp_gt_i32 s3, 24
	s_cbranch_scc0 .LBB63_1586
; %bb.1579:
	v_lshlrev_b32_e32 v9, 16, v3
	v_and_b32_e32 v8, 0x7fffffff, v9
	s_mov_b32 s10, 0x47800000
	v_cmp_gt_u32_e32 vcc, s10, v8
	v_mov_b32_e32 v10, 0x80
	s_and_saveexec_b64 s[10:11], vcc
	s_cbranch_execz .LBB63_1585
; %bb.1580:
	s_mov_b32 s12, 0x37ffffff
	v_and_b32_e32 v7, 0xffff, v3
	v_cmp_lt_u32_e32 vcc, s12, v8
	s_mov_b64 s[12:13], 0
                                        ; implicit-def: $vgpr8
	s_and_saveexec_b64 s[16:17], vcc
	s_xor_b64 s[16:17], exec, s[16:17]
	s_cbranch_execz .LBB63_2024
; %bb.1581:
	v_bfe_u32 v8, v7, 5, 1
	s_mov_b32 s18, 0x88fffff
	v_add3_u32 v8, v9, v8, s18
	s_mov_b64 s[12:13], exec
	v_lshrrev_b32_e32 v8, 21, v8
                                        ; implicit-def: $vgpr9
	s_andn2_saveexec_b64 s[16:17], s[16:17]
	s_cbranch_execnz .LBB63_2025
.LBB63_1582:
	s_or_b64 exec, exec, s[16:17]
	v_mov_b32_e32 v10, 0
	s_and_saveexec_b64 s[16:17], s[12:13]
.LBB63_1583:
	v_lshrrev_b32_e32 v7, 8, v7
	s_movk_i32 s12, 0x80
	v_and_or_b32 v10, v7, s12, v8
.LBB63_1584:
	s_or_b64 exec, exec, s[16:17]
.LBB63_1585:
	s_or_b64 exec, exec, s[10:11]
	s_mov_b64 s[10:11], 0
	global_store_byte v[0:1], v10, off
.LBB63_1586:
	s_and_b64 vcc, exec, s[10:11]
	s_cbranch_vccz .LBB63_1596
; %bb.1587:
	v_lshlrev_b32_e32 v9, 16, v3
	v_and_b32_e32 v10, 0x7fffffff, v9
	s_mov_b32 s10, 0x43f00000
	v_and_b32_e32 v7, 0xffff, v3
	v_cmp_gt_u32_e32 vcc, s10, v10
                                        ; implicit-def: $vgpr8
	s_and_saveexec_b64 s[10:11], vcc
	s_xor_b64 s[10:11], exec, s[10:11]
	s_cbranch_execz .LBB63_1593
; %bb.1588:
	s_mov_b32 s12, 0x3c7fffff
	v_cmp_lt_u32_e32 vcc, s12, v10
                                        ; implicit-def: $vgpr8
	s_and_saveexec_b64 s[12:13], vcc
	s_xor_b64 s[12:13], exec, s[12:13]
; %bb.1589:
	v_bfe_u32 v8, v7, 4, 1
	s_mov_b32 s16, 0x407ffff
	v_add3_u32 v8, v9, v8, s16
	v_lshrrev_b32_e32 v9, 20, v8
	v_and_b32_e32 v8, 0xff00000, v8
	s_mov_b32 s16, 0x7f00000
	v_mov_b32_e32 v10, 0x7e
	v_cmp_ne_u32_e32 vcc, s16, v8
	v_cndmask_b32_e32 v8, v10, v9, vcc
                                        ; implicit-def: $vgpr9
; %bb.1590:
	s_andn2_saveexec_b64 s[12:13], s[12:13]
; %bb.1591:
	s_mov_b32 s16, 0x46800000
	v_add_f32_e64 v8, |v9|, s16
; %bb.1592:
	s_or_b64 exec, exec, s[12:13]
                                        ; implicit-def: $vgpr10
.LBB63_1593:
	s_andn2_saveexec_b64 s[10:11], s[10:11]
; %bb.1594:
	s_mov_b32 s12, 0x7f800000
	v_mov_b32_e32 v8, 0x7e
	v_mov_b32_e32 v9, 0x7f
	v_cmp_lt_u32_e32 vcc, s12, v10
	v_cndmask_b32_e32 v8, v8, v9, vcc
; %bb.1595:
	s_or_b64 exec, exec, s[10:11]
	v_lshrrev_b32_e32 v7, 8, v7
	s_movk_i32 s10, 0x80
	v_and_or_b32 v7, v7, s10, v8
	global_store_byte v[0:1], v7, off
.LBB63_1596:
	s_mov_b64 s[10:11], 0
.LBB63_1597:
	s_andn2_b64 vcc, exec, s[10:11]
	s_cbranch_vccnz .LBB63_1607
; %bb.1598:
	v_lshlrev_b32_e32 v9, 16, v3
	v_and_b32_e32 v10, 0x7fffffff, v9
	s_mov_b32 s10, 0x47800000
	v_and_b32_e32 v7, 0xffff, v3
	v_cmp_gt_u32_e32 vcc, s10, v10
                                        ; implicit-def: $vgpr8
	s_and_saveexec_b64 s[10:11], vcc
	s_xor_b64 s[10:11], exec, s[10:11]
	s_cbranch_execz .LBB63_1604
; %bb.1599:
	s_mov_b32 s12, 0x387fffff
	v_cmp_lt_u32_e32 vcc, s12, v10
                                        ; implicit-def: $vgpr8
	s_and_saveexec_b64 s[12:13], vcc
	s_xor_b64 s[12:13], exec, s[12:13]
; %bb.1600:
	v_bfe_u32 v8, v7, 5, 1
	s_mov_b32 s16, 0x80fffff
	v_add3_u32 v8, v9, v8, s16
	v_lshrrev_b32_e32 v8, 21, v8
                                        ; implicit-def: $vgpr9
; %bb.1601:
	s_andn2_saveexec_b64 s[12:13], s[12:13]
; %bb.1602:
	s_mov_b32 s16, 0x43000000
	v_add_f32_e64 v8, |v9|, s16
; %bb.1603:
	s_or_b64 exec, exec, s[12:13]
                                        ; implicit-def: $vgpr10
.LBB63_1604:
	s_andn2_saveexec_b64 s[10:11], s[10:11]
; %bb.1605:
	s_mov_b32 s12, 0x7f800000
	v_mov_b32_e32 v8, 0x7c
	v_mov_b32_e32 v9, 0x7f
	v_cmp_lt_u32_e32 vcc, s12, v10
	v_cndmask_b32_e32 v8, v8, v9, vcc
; %bb.1606:
	s_or_b64 exec, exec, s[10:11]
	v_lshrrev_b32_e32 v7, 8, v7
	s_movk_i32 s10, 0x80
	v_and_or_b32 v7, v7, s10, v8
	global_store_byte v[0:1], v7, off
.LBB63_1607:
	s_mov_b64 s[10:11], 0
	s_mov_b64 s[12:13], -1
.LBB63_1608:
	s_andn2_b64 vcc, exec, s[10:11]
	s_mov_b64 s[10:11], 0
	s_cbranch_vccnz .LBB63_1615
; %bb.1609:
	s_cmp_gt_i32 s3, 14
	s_mov_b64 s[16:17], -1
	s_cbranch_scc0 .LBB63_1613
; %bb.1610:
	s_cmp_eq_u32 s3, 15
	s_mov_b64 s[0:1], -1
	s_cbranch_scc0 .LBB63_1612
; %bb.1611:
	global_store_short v[0:1], v3, off
	s_mov_b64 s[0:1], 0
	s_mov_b64 s[12:13], -1
.LBB63_1612:
	s_mov_b64 s[16:17], 0
.LBB63_1613:
	s_and_b64 vcc, exec, s[16:17]
	s_cbranch_vccz .LBB63_1615
; %bb.1614:
	s_cmp_lg_u32 s3, 11
	s_mov_b64 s[10:11], -1
	s_cselect_b64 s[0:1], -1, 0
.LBB63_1615:
	s_and_b64 vcc, exec, s[0:1]
	s_cbranch_vccnz .LBB63_2023
; %bb.1616:
	s_andn2_b64 vcc, exec, s[10:11]
	s_cbranch_vccnz .LBB63_1618
.LBB63_1617:
	v_and_b32_e32 v7, 0x7fff, v3
	v_cmp_ne_u16_e32 vcc, 0, v7
	v_cndmask_b32_e64 v7, 0, 1, vcc
	s_mov_b64 s[12:13], -1
	global_store_byte v[0:1], v7, off
.LBB63_1618:
	s_mov_b64 s[0:1], 0
	s_branch .LBB63_1620
.LBB63_1619:
	s_mov_b64 s[0:1], -1
	s_mov_b64 s[12:13], 0
.LBB63_1620:
	s_and_b64 vcc, exec, s[0:1]
	s_cbranch_vccz .LBB63_1659
; %bb.1621:
	s_and_b32 s3, 0xffff, s20
	s_cmp_lt_i32 s3, 5
	s_mov_b64 s[0:1], -1
	s_cbranch_scc1 .LBB63_1642
; %bb.1622:
	s_cmp_lt_i32 s3, 8
	s_cbranch_scc1 .LBB63_1632
; %bb.1623:
	s_cmp_lt_i32 s3, 9
	s_cbranch_scc1 .LBB63_1629
; %bb.1624:
	s_cmp_gt_i32 s3, 9
	s_cbranch_scc0 .LBB63_1626
; %bb.1625:
	v_lshlrev_b32_e32 v7, 16, v3
	v_cvt_f64_f32_e32 v[7:8], v7
	v_mov_b32_e32 v9, 0
	v_mov_b32_e32 v10, v9
	s_mov_b64 s[0:1], 0
	global_store_dwordx4 v[0:1], v[7:10], off
.LBB63_1626:
	s_andn2_b64 vcc, exec, s[0:1]
	s_cbranch_vccnz .LBB63_1628
; %bb.1627:
	v_lshlrev_b32_e32 v7, 16, v3
	v_mov_b32_e32 v8, 0
	global_store_dwordx2 v[0:1], v[7:8], off
.LBB63_1628:
	s_mov_b64 s[0:1], 0
.LBB63_1629:
	s_andn2_b64 vcc, exec, s[0:1]
	s_cbranch_vccnz .LBB63_1631
; %bb.1630:
	v_lshlrev_b32_e32 v7, 16, v3
	v_cvt_f16_f32_e32 v7, v7
	global_store_dword v[0:1], v7, off
.LBB63_1631:
	s_mov_b64 s[0:1], 0
.LBB63_1632:
	s_andn2_b64 vcc, exec, s[0:1]
	s_cbranch_vccnz .LBB63_1641
; %bb.1633:
	s_cmp_lt_i32 s3, 6
	s_mov_b64 s[0:1], -1
	s_cbranch_scc1 .LBB63_1639
; %bb.1634:
	s_cmp_gt_i32 s3, 6
	s_cbranch_scc0 .LBB63_1636
; %bb.1635:
	v_lshlrev_b32_e32 v7, 16, v3
	v_cvt_f64_f32_e32 v[7:8], v7
	s_mov_b64 s[0:1], 0
	global_store_dwordx2 v[0:1], v[7:8], off
.LBB63_1636:
	s_andn2_b64 vcc, exec, s[0:1]
	s_cbranch_vccnz .LBB63_1638
; %bb.1637:
	v_lshlrev_b32_e32 v7, 16, v3
	global_store_dword v[0:1], v7, off
.LBB63_1638:
	s_mov_b64 s[0:1], 0
.LBB63_1639:
	s_andn2_b64 vcc, exec, s[0:1]
	s_cbranch_vccnz .LBB63_1641
; %bb.1640:
	v_lshlrev_b32_e32 v7, 16, v3
	v_cvt_f16_f32_e32 v7, v7
	global_store_short v[0:1], v7, off
.LBB63_1641:
	s_mov_b64 s[0:1], 0
.LBB63_1642:
	s_andn2_b64 vcc, exec, s[0:1]
	s_cbranch_vccnz .LBB63_1658
; %bb.1643:
	s_cmp_lt_i32 s3, 2
	s_mov_b64 s[0:1], -1
	s_cbranch_scc1 .LBB63_1653
; %bb.1644:
	s_cmp_lt_i32 s3, 3
	s_cbranch_scc1 .LBB63_1650
; %bb.1645:
	s_cmp_gt_i32 s3, 3
	s_cbranch_scc0 .LBB63_1647
; %bb.1646:
	v_lshlrev_b32_e32 v7, 16, v3
	v_trunc_f32_e32 v7, v7
	s_mov_b32 s0, 0x2f800000
	v_mul_f32_e64 v8, |v7|, s0
	v_floor_f32_e32 v8, v8
	s_mov_b32 s0, 0xcf800000
	v_cvt_u32_f32_e32 v9, v8
	v_fma_f32 v8, v8, s0, |v7|
	v_cvt_u32_f32_e32 v8, v8
	v_ashrrev_i32_e32 v10, 31, v7
	v_xor_b32_e32 v9, v9, v10
	s_mov_b64 s[0:1], 0
	v_xor_b32_e32 v7, v8, v10
	v_sub_co_u32_e32 v7, vcc, v7, v10
	v_subb_co_u32_e32 v8, vcc, v9, v10, vcc
	global_store_dwordx2 v[0:1], v[7:8], off
.LBB63_1647:
	s_andn2_b64 vcc, exec, s[0:1]
	s_cbranch_vccnz .LBB63_1649
; %bb.1648:
	v_lshlrev_b32_e32 v7, 16, v3
	v_cvt_i32_f32_e32 v7, v7
	global_store_dword v[0:1], v7, off
.LBB63_1649:
	s_mov_b64 s[0:1], 0
.LBB63_1650:
	s_andn2_b64 vcc, exec, s[0:1]
	s_cbranch_vccnz .LBB63_1652
; %bb.1651:
	v_lshlrev_b32_e32 v7, 16, v3
	v_cvt_i32_f32_e32 v7, v7
	global_store_short v[0:1], v7, off
.LBB63_1652:
	s_mov_b64 s[0:1], 0
.LBB63_1653:
	s_andn2_b64 vcc, exec, s[0:1]
	s_cbranch_vccnz .LBB63_1658
; %bb.1654:
	s_mov_b64 s[0:1], -1
	s_cmp_gt_i32 s3, 0
	v_lshlrev_b32_e32 v3, 16, v3
	s_cbranch_scc0 .LBB63_1656
; %bb.1655:
	v_cvt_i32_f32_e32 v7, v3
	s_mov_b64 s[0:1], 0
	global_store_byte v[0:1], v7, off
.LBB63_1656:
	s_andn2_b64 vcc, exec, s[0:1]
	s_cbranch_vccnz .LBB63_1658
; %bb.1657:
	v_trunc_f32_e32 v3, v3
	s_mov_b32 s0, 0x2f800000
	v_mul_f32_e64 v7, |v3|, s0
	v_floor_f32_e32 v7, v7
	s_mov_b32 s0, 0xcf800000
	v_fma_f32 v7, v7, s0, |v3|
	v_cvt_u32_f32_e32 v7, v7
	v_ashrrev_i32_e32 v3, 31, v3
	v_xor_b32_e32 v7, v7, v3
	v_sub_u32_e32 v3, v7, v3
	global_store_byte v[0:1], v3, off
.LBB63_1658:
	s_mov_b64 s[12:13], -1
.LBB63_1659:
	s_andn2_b64 vcc, exec, s[12:13]
	s_cbranch_vccnz .LBB63_1974
; %bb.1660:
	v_lshlrev_b32_e32 v0, 16, v4
	v_fma_f32 v1, |v0|, -0.5, 0.5
	v_mul_f32_e32 v3, v0, v0
	v_cmp_ge_f32_e64 vcc, |v0|, 0.5
	v_cndmask_b32_e32 v1, v3, v1, vcc
	v_mov_b32_e32 v3, 0x3c5fc5da
	v_fmac_f32_e32 v3, 0x3d1c21a7, v1
	v_mov_b32_e32 v4, 0x3d034c3c
	v_fmac_f32_e32 v4, v1, v3
	;; [unrolled: 2-line block ×4, first 2 shown]
	v_sqrt_f32_e32 v3, v1
	v_mov_b32_e32 v7, 0x3e2aaaac
	v_fmac_f32_e32 v7, v1, v4
	v_mul_f32_e32 v1, v1, v7
	v_fmac_f32_e32 v3, v3, v1
	v_add_f32_e32 v3, v3, v3
	v_sub_f32_e32 v3, 0x3fc90fdb, v3
	v_fma_f32 v1, |v0|, v1, |v0|
	v_cmp_lt_f32_e64 vcc, |v0|, 0.5
	v_cndmask_b32_e32 v1, v3, v1, vcc
	s_brev_b32 s0, -2
	v_bfi_b32 v0, s0, v1, v0
	v_bfe_u32 v1, v0, 16, 1
	s_movk_i32 s0, 0x7fff
	v_add3_u32 v1, v0, v1, s0
	s_lshl_b32 s18, s2, 7
	v_lshrrev_b32_e32 v1, 16, v1
	v_mov_b32_e32 v3, 0x7fc0
	v_cmp_o_f32_e32 vcc, v0, v0
	v_add_u32_e32 v2, s18, v2
	v_cndmask_b32_e32 v3, v3, v1, vcc
	v_ashrrev_i32_e32 v1, 31, v2
	v_mov_b32_e32 v4, s9
	v_add_co_u32_e32 v0, vcc, s8, v2
	s_cmp_lt_i32 s20, 11
	v_addc_co_u32_e32 v1, vcc, v4, v1, vcc
	s_cbranch_scc1 .LBB63_1738
; %bb.1661:
	s_and_b32 s19, 0xffff, s20
	s_mov_b64 s[12:13], -1
	s_mov_b64 s[2:3], 0
	s_cmp_gt_i32 s19, 25
	s_mov_b64 s[10:11], 0
	s_mov_b64 s[0:1], 0
	s_cbranch_scc0 .LBB63_1694
; %bb.1662:
	s_cmp_gt_i32 s19, 28
	s_cbranch_scc0 .LBB63_1677
; %bb.1663:
	s_cmp_gt_i32 s19, 43
	;; [unrolled: 3-line block ×3, first 2 shown]
	s_cbranch_scc0 .LBB63_1667
; %bb.1665:
	s_mov_b64 s[0:1], -1
	s_mov_b64 s[12:13], 0
	s_cmp_eq_u32 s19, 46
	s_cbranch_scc0 .LBB63_1667
; %bb.1666:
	v_and_b32_e32 v4, 0xffff, v3
	global_store_dword v[0:1], v4, off
	s_mov_b64 s[0:1], 0
	s_mov_b64 s[10:11], -1
.LBB63_1667:
	s_and_b64 vcc, exec, s[12:13]
	s_cbranch_vccz .LBB63_1672
; %bb.1668:
	s_cmp_eq_u32 s19, 44
	s_mov_b64 s[0:1], -1
	s_cbranch_scc0 .LBB63_1672
; %bb.1669:
	v_and_b32_e32 v7, 0xffff, v3
	v_bfe_u32 v4, v7, 7, 8
	s_movk_i32 s0, 0xff
	v_cmp_ne_u32_e32 vcc, s0, v4
	v_mov_b32_e32 v8, 0xff
	s_and_saveexec_b64 s[10:11], vcc
	s_cbranch_execz .LBB63_1671
; %bb.1670:
	v_lshlrev_b32_e32 v9, 16, v7
	s_mov_b32 s0, 0x3f0000
	v_lshrrev_b32_e32 v8, 7, v7
	v_and_b32_e32 v7, 64, v7
	v_and_or_b32 v4, v9, s0, v4
	v_cmp_ne_u32_e32 vcc, 0, v7
	v_cmp_ne_u32_e64 s[0:1], 0, v4
	s_and_b64 s[0:1], vcc, s[0:1]
	v_cndmask_b32_e64 v4, 0, 1, s[0:1]
	v_add_u32_e32 v8, v8, v4
.LBB63_1671:
	s_or_b64 exec, exec, s[10:11]
	s_mov_b64 s[0:1], 0
	s_mov_b64 s[10:11], -1
	global_store_byte v[0:1], v8, off
.LBB63_1672:
	s_mov_b64 s[12:13], 0
.LBB63_1673:
	s_and_b64 vcc, exec, s[12:13]
	s_cbranch_vccz .LBB63_1676
; %bb.1674:
	s_cmp_eq_u32 s19, 29
	s_mov_b64 s[0:1], -1
	s_cbranch_scc0 .LBB63_1676
; %bb.1675:
	v_lshlrev_b32_e32 v4, 16, v3
	v_trunc_f32_e32 v4, v4
	v_mul_f32_e32 v7, 0x2f800000, v4
	v_floor_f32_e32 v7, v7
	v_fmac_f32_e32 v4, 0xcf800000, v7
	v_cvt_u32_f32_e32 v8, v7
	v_cvt_u32_f32_e32 v7, v4
	s_mov_b64 s[0:1], 0
	s_mov_b64 s[10:11], -1
	global_store_dwordx2 v[0:1], v[7:8], off
.LBB63_1676:
	s_mov_b64 s[12:13], 0
.LBB63_1677:
	s_and_b64 vcc, exec, s[12:13]
	s_cbranch_vccz .LBB63_1693
; %bb.1678:
	s_cmp_lt_i32 s19, 27
	s_mov_b64 s[10:11], -1
	s_cbranch_scc1 .LBB63_1684
; %bb.1679:
	s_cmp_gt_i32 s19, 27
	s_cbranch_scc0 .LBB63_1681
; %bb.1680:
	v_lshlrev_b32_e32 v4, 16, v3
	v_cvt_u32_f32_e32 v4, v4
	s_mov_b64 s[10:11], 0
	global_store_dword v[0:1], v4, off
.LBB63_1681:
	s_andn2_b64 vcc, exec, s[10:11]
	s_cbranch_vccnz .LBB63_1683
; %bb.1682:
	v_lshlrev_b32_e32 v4, 16, v3
	v_cvt_u32_f32_e32 v4, v4
	global_store_short v[0:1], v4, off
.LBB63_1683:
	s_mov_b64 s[10:11], 0
.LBB63_1684:
	s_andn2_b64 vcc, exec, s[10:11]
	s_cbranch_vccnz .LBB63_1692
; %bb.1685:
	v_lshlrev_b32_e32 v8, 16, v3
	v_and_b32_e32 v7, 0x7fffffff, v8
	s_mov_b32 s10, 0x43800000
	v_cmp_gt_u32_e32 vcc, s10, v7
	v_mov_b32_e32 v9, 0x80
	s_and_saveexec_b64 s[10:11], vcc
	s_cbranch_execz .LBB63_1691
; %bb.1686:
	s_mov_b32 s12, 0x3bffffff
	v_and_b32_e32 v4, 0xffff, v3
	v_cmp_lt_u32_e32 vcc, s12, v7
	s_mov_b64 s[12:13], 0
                                        ; implicit-def: $vgpr7
	s_and_saveexec_b64 s[16:17], vcc
	s_xor_b64 s[16:17], exec, s[16:17]
	s_cbranch_execz .LBB63_2026
; %bb.1687:
	v_bfe_u32 v7, v4, 4, 1
	s_mov_b32 s21, 0x487ffff
	v_add3_u32 v7, v8, v7, s21
	s_mov_b64 s[12:13], exec
	v_lshrrev_b32_e32 v7, 20, v7
                                        ; implicit-def: $vgpr8
	s_andn2_saveexec_b64 s[16:17], s[16:17]
	s_cbranch_execnz .LBB63_2027
.LBB63_1688:
	s_or_b64 exec, exec, s[16:17]
	v_mov_b32_e32 v9, 0
	s_and_saveexec_b64 s[16:17], s[12:13]
.LBB63_1689:
	v_lshrrev_b32_e32 v4, 8, v4
	s_movk_i32 s12, 0x80
	v_and_or_b32 v9, v4, s12, v7
.LBB63_1690:
	s_or_b64 exec, exec, s[16:17]
.LBB63_1691:
	s_or_b64 exec, exec, s[10:11]
	global_store_byte v[0:1], v9, off
.LBB63_1692:
	s_mov_b64 s[10:11], -1
.LBB63_1693:
	s_mov_b64 s[12:13], 0
.LBB63_1694:
	s_and_b64 vcc, exec, s[12:13]
	s_cbranch_vccz .LBB63_1734
; %bb.1695:
	s_cmp_gt_i32 s19, 22
	s_mov_b64 s[2:3], -1
	s_cbranch_scc0 .LBB63_1727
; %bb.1696:
	s_cmp_lt_i32 s19, 24
	s_cbranch_scc1 .LBB63_1716
; %bb.1697:
	s_cmp_gt_i32 s19, 24
	s_cbranch_scc0 .LBB63_1705
; %bb.1698:
	v_lshlrev_b32_e32 v8, 16, v3
	v_and_b32_e32 v7, 0x7fffffff, v8
	s_mov_b32 s2, 0x47800000
	v_cmp_gt_u32_e32 vcc, s2, v7
	v_mov_b32_e32 v9, 0x80
	s_and_saveexec_b64 s[2:3], vcc
	s_cbranch_execz .LBB63_1704
; %bb.1699:
	s_mov_b32 s10, 0x37ffffff
	v_and_b32_e32 v4, 0xffff, v3
	v_cmp_lt_u32_e32 vcc, s10, v7
	s_mov_b64 s[10:11], 0
                                        ; implicit-def: $vgpr7
	s_and_saveexec_b64 s[12:13], vcc
	s_xor_b64 s[12:13], exec, s[12:13]
	s_cbranch_execz .LBB63_2029
; %bb.1700:
	v_bfe_u32 v7, v4, 5, 1
	s_mov_b32 s16, 0x88fffff
	v_add3_u32 v7, v8, v7, s16
	s_mov_b64 s[10:11], exec
	v_lshrrev_b32_e32 v7, 21, v7
                                        ; implicit-def: $vgpr8
	s_andn2_saveexec_b64 s[12:13], s[12:13]
	s_cbranch_execnz .LBB63_2030
.LBB63_1701:
	s_or_b64 exec, exec, s[12:13]
	v_mov_b32_e32 v9, 0
	s_and_saveexec_b64 s[12:13], s[10:11]
.LBB63_1702:
	v_lshrrev_b32_e32 v4, 8, v4
	s_movk_i32 s10, 0x80
	v_and_or_b32 v9, v4, s10, v7
.LBB63_1703:
	s_or_b64 exec, exec, s[12:13]
.LBB63_1704:
	s_or_b64 exec, exec, s[2:3]
	s_mov_b64 s[2:3], 0
	global_store_byte v[0:1], v9, off
.LBB63_1705:
	s_and_b64 vcc, exec, s[2:3]
	s_cbranch_vccz .LBB63_1715
; %bb.1706:
	v_lshlrev_b32_e32 v8, 16, v3
	v_and_b32_e32 v9, 0x7fffffff, v8
	s_mov_b32 s2, 0x43f00000
	v_and_b32_e32 v4, 0xffff, v3
	v_cmp_gt_u32_e32 vcc, s2, v9
                                        ; implicit-def: $vgpr7
	s_and_saveexec_b64 s[2:3], vcc
	s_xor_b64 s[2:3], exec, s[2:3]
	s_cbranch_execz .LBB63_1712
; %bb.1707:
	s_mov_b32 s10, 0x3c7fffff
	v_cmp_lt_u32_e32 vcc, s10, v9
                                        ; implicit-def: $vgpr7
	s_and_saveexec_b64 s[10:11], vcc
	s_xor_b64 s[10:11], exec, s[10:11]
; %bb.1708:
	v_bfe_u32 v7, v4, 4, 1
	s_mov_b32 s12, 0x407ffff
	v_add3_u32 v7, v8, v7, s12
	v_lshrrev_b32_e32 v8, 20, v7
	v_and_b32_e32 v7, 0xff00000, v7
	s_mov_b32 s12, 0x7f00000
	v_mov_b32_e32 v9, 0x7e
	v_cmp_ne_u32_e32 vcc, s12, v7
	v_cndmask_b32_e32 v7, v9, v8, vcc
                                        ; implicit-def: $vgpr8
; %bb.1709:
	s_andn2_saveexec_b64 s[10:11], s[10:11]
; %bb.1710:
	s_mov_b32 s12, 0x46800000
	v_add_f32_e64 v7, |v8|, s12
; %bb.1711:
	s_or_b64 exec, exec, s[10:11]
                                        ; implicit-def: $vgpr9
.LBB63_1712:
	s_andn2_saveexec_b64 s[2:3], s[2:3]
; %bb.1713:
	s_mov_b32 s10, 0x7f800000
	v_mov_b32_e32 v7, 0x7e
	v_mov_b32_e32 v8, 0x7f
	v_cmp_lt_u32_e32 vcc, s10, v9
	v_cndmask_b32_e32 v7, v7, v8, vcc
; %bb.1714:
	s_or_b64 exec, exec, s[2:3]
	v_lshrrev_b32_e32 v4, 8, v4
	s_movk_i32 s2, 0x80
	v_and_or_b32 v4, v4, s2, v7
	global_store_byte v[0:1], v4, off
.LBB63_1715:
	s_mov_b64 s[2:3], 0
.LBB63_1716:
	s_andn2_b64 vcc, exec, s[2:3]
	s_cbranch_vccnz .LBB63_1726
; %bb.1717:
	v_lshlrev_b32_e32 v8, 16, v3
	v_and_b32_e32 v9, 0x7fffffff, v8
	s_mov_b32 s2, 0x47800000
	v_and_b32_e32 v4, 0xffff, v3
	v_cmp_gt_u32_e32 vcc, s2, v9
                                        ; implicit-def: $vgpr7
	s_and_saveexec_b64 s[2:3], vcc
	s_xor_b64 s[2:3], exec, s[2:3]
	s_cbranch_execz .LBB63_1723
; %bb.1718:
	s_mov_b32 s10, 0x387fffff
	v_cmp_lt_u32_e32 vcc, s10, v9
                                        ; implicit-def: $vgpr7
	s_and_saveexec_b64 s[10:11], vcc
	s_xor_b64 s[10:11], exec, s[10:11]
; %bb.1719:
	v_bfe_u32 v7, v4, 5, 1
	s_mov_b32 s12, 0x80fffff
	v_add3_u32 v7, v8, v7, s12
	v_lshrrev_b32_e32 v7, 21, v7
                                        ; implicit-def: $vgpr8
; %bb.1720:
	s_andn2_saveexec_b64 s[10:11], s[10:11]
; %bb.1721:
	s_mov_b32 s12, 0x43000000
	v_add_f32_e64 v7, |v8|, s12
; %bb.1722:
	s_or_b64 exec, exec, s[10:11]
                                        ; implicit-def: $vgpr9
.LBB63_1723:
	s_andn2_saveexec_b64 s[2:3], s[2:3]
; %bb.1724:
	s_mov_b32 s10, 0x7f800000
	v_mov_b32_e32 v7, 0x7c
	v_mov_b32_e32 v8, 0x7f
	v_cmp_lt_u32_e32 vcc, s10, v9
	v_cndmask_b32_e32 v7, v7, v8, vcc
; %bb.1725:
	s_or_b64 exec, exec, s[2:3]
	v_lshrrev_b32_e32 v4, 8, v4
	s_movk_i32 s2, 0x80
	v_and_or_b32 v4, v4, s2, v7
	global_store_byte v[0:1], v4, off
.LBB63_1726:
	s_mov_b64 s[2:3], 0
	s_mov_b64 s[10:11], -1
.LBB63_1727:
	s_andn2_b64 vcc, exec, s[2:3]
	s_mov_b64 s[2:3], 0
	s_cbranch_vccnz .LBB63_1734
; %bb.1728:
	s_cmp_gt_i32 s19, 14
	s_mov_b64 s[12:13], -1
	s_cbranch_scc0 .LBB63_1732
; %bb.1729:
	s_cmp_eq_u32 s19, 15
	s_mov_b64 s[0:1], -1
	s_cbranch_scc0 .LBB63_1731
; %bb.1730:
	global_store_short v[0:1], v3, off
	s_mov_b64 s[0:1], 0
	s_mov_b64 s[10:11], -1
.LBB63_1731:
	s_mov_b64 s[12:13], 0
.LBB63_1732:
	s_and_b64 vcc, exec, s[12:13]
	s_cbranch_vccz .LBB63_1734
; %bb.1733:
	s_cmp_lg_u32 s19, 11
	s_mov_b64 s[2:3], -1
	s_cselect_b64 s[0:1], -1, 0
.LBB63_1734:
	s_and_b64 vcc, exec, s[0:1]
	s_cbranch_vccnz .LBB63_2028
; %bb.1735:
	s_andn2_b64 vcc, exec, s[2:3]
	s_cbranch_vccnz .LBB63_1737
.LBB63_1736:
	v_and_b32_e32 v4, 0x7fff, v3
	v_cmp_ne_u16_e32 vcc, 0, v4
	v_cndmask_b32_e64 v4, 0, 1, vcc
	s_mov_b64 s[10:11], -1
	global_store_byte v[0:1], v4, off
.LBB63_1737:
	s_mov_b64 s[0:1], 0
	s_branch .LBB63_1739
.LBB63_1738:
	s_mov_b64 s[0:1], -1
	s_mov_b64 s[10:11], 0
.LBB63_1739:
	s_and_b64 vcc, exec, s[0:1]
	s_cbranch_vccz .LBB63_1778
; %bb.1740:
	s_and_b32 s2, 0xffff, s20
	s_cmp_lt_i32 s2, 5
	s_mov_b64 s[0:1], -1
	s_cbranch_scc1 .LBB63_1761
; %bb.1741:
	s_cmp_lt_i32 s2, 8
	s_cbranch_scc1 .LBB63_1751
; %bb.1742:
	s_cmp_lt_i32 s2, 9
	s_cbranch_scc1 .LBB63_1748
; %bb.1743:
	s_cmp_gt_i32 s2, 9
	s_cbranch_scc0 .LBB63_1745
; %bb.1744:
	v_lshlrev_b32_e32 v4, 16, v3
	v_cvt_f64_f32_e32 v[7:8], v4
	v_mov_b32_e32 v9, 0
	v_mov_b32_e32 v10, v9
	s_mov_b64 s[0:1], 0
	global_store_dwordx4 v[0:1], v[7:10], off
.LBB63_1745:
	s_andn2_b64 vcc, exec, s[0:1]
	s_cbranch_vccnz .LBB63_1747
; %bb.1746:
	v_lshlrev_b32_e32 v7, 16, v3
	v_mov_b32_e32 v8, 0
	global_store_dwordx2 v[0:1], v[7:8], off
.LBB63_1747:
	s_mov_b64 s[0:1], 0
.LBB63_1748:
	s_andn2_b64 vcc, exec, s[0:1]
	s_cbranch_vccnz .LBB63_1750
; %bb.1749:
	v_lshlrev_b32_e32 v4, 16, v3
	v_cvt_f16_f32_e32 v4, v4
	global_store_dword v[0:1], v4, off
.LBB63_1750:
	s_mov_b64 s[0:1], 0
.LBB63_1751:
	s_andn2_b64 vcc, exec, s[0:1]
	s_cbranch_vccnz .LBB63_1760
; %bb.1752:
	s_cmp_lt_i32 s2, 6
	s_mov_b64 s[0:1], -1
	s_cbranch_scc1 .LBB63_1758
; %bb.1753:
	s_cmp_gt_i32 s2, 6
	s_cbranch_scc0 .LBB63_1755
; %bb.1754:
	v_lshlrev_b32_e32 v4, 16, v3
	v_cvt_f64_f32_e32 v[7:8], v4
	s_mov_b64 s[0:1], 0
	global_store_dwordx2 v[0:1], v[7:8], off
.LBB63_1755:
	s_andn2_b64 vcc, exec, s[0:1]
	s_cbranch_vccnz .LBB63_1757
; %bb.1756:
	v_lshlrev_b32_e32 v4, 16, v3
	global_store_dword v[0:1], v4, off
.LBB63_1757:
	s_mov_b64 s[0:1], 0
.LBB63_1758:
	s_andn2_b64 vcc, exec, s[0:1]
	s_cbranch_vccnz .LBB63_1760
; %bb.1759:
	v_lshlrev_b32_e32 v4, 16, v3
	v_cvt_f16_f32_e32 v4, v4
	global_store_short v[0:1], v4, off
.LBB63_1760:
	s_mov_b64 s[0:1], 0
.LBB63_1761:
	s_andn2_b64 vcc, exec, s[0:1]
	s_cbranch_vccnz .LBB63_1777
; %bb.1762:
	s_cmp_lt_i32 s2, 2
	s_mov_b64 s[0:1], -1
	s_cbranch_scc1 .LBB63_1772
; %bb.1763:
	s_cmp_lt_i32 s2, 3
	s_cbranch_scc1 .LBB63_1769
; %bb.1764:
	s_cmp_gt_i32 s2, 3
	s_cbranch_scc0 .LBB63_1766
; %bb.1765:
	v_lshlrev_b32_e32 v4, 16, v3
	v_trunc_f32_e32 v4, v4
	s_mov_b32 s0, 0x2f800000
	v_mul_f32_e64 v7, |v4|, s0
	v_floor_f32_e32 v7, v7
	s_mov_b32 s0, 0xcf800000
	v_cvt_u32_f32_e32 v8, v7
	v_fma_f32 v7, v7, s0, |v4|
	v_cvt_u32_f32_e32 v7, v7
	v_ashrrev_i32_e32 v4, 31, v4
	v_xor_b32_e32 v8, v8, v4
	s_mov_b64 s[0:1], 0
	v_xor_b32_e32 v7, v7, v4
	v_sub_co_u32_e32 v7, vcc, v7, v4
	v_subb_co_u32_e32 v8, vcc, v8, v4, vcc
	global_store_dwordx2 v[0:1], v[7:8], off
.LBB63_1766:
	s_andn2_b64 vcc, exec, s[0:1]
	s_cbranch_vccnz .LBB63_1768
; %bb.1767:
	v_lshlrev_b32_e32 v4, 16, v3
	v_cvt_i32_f32_e32 v4, v4
	global_store_dword v[0:1], v4, off
.LBB63_1768:
	s_mov_b64 s[0:1], 0
.LBB63_1769:
	s_andn2_b64 vcc, exec, s[0:1]
	s_cbranch_vccnz .LBB63_1771
; %bb.1770:
	v_lshlrev_b32_e32 v4, 16, v3
	v_cvt_i32_f32_e32 v4, v4
	global_store_short v[0:1], v4, off
.LBB63_1771:
	s_mov_b64 s[0:1], 0
.LBB63_1772:
	s_andn2_b64 vcc, exec, s[0:1]
	s_cbranch_vccnz .LBB63_1777
; %bb.1773:
	s_mov_b64 s[0:1], -1
	s_cmp_gt_i32 s2, 0
	v_lshlrev_b32_e32 v3, 16, v3
	s_cbranch_scc0 .LBB63_1775
; %bb.1774:
	v_cvt_i32_f32_e32 v4, v3
	s_mov_b64 s[0:1], 0
	global_store_byte v[0:1], v4, off
.LBB63_1775:
	s_andn2_b64 vcc, exec, s[0:1]
	s_cbranch_vccnz .LBB63_1777
; %bb.1776:
	v_trunc_f32_e32 v3, v3
	s_mov_b32 s0, 0x2f800000
	v_mul_f32_e64 v4, |v3|, s0
	v_floor_f32_e32 v4, v4
	s_mov_b32 s0, 0xcf800000
	v_fma_f32 v4, v4, s0, |v3|
	v_cvt_u32_f32_e32 v4, v4
	v_ashrrev_i32_e32 v3, 31, v3
	v_xor_b32_e32 v4, v4, v3
	v_sub_u32_e32 v3, v4, v3
	global_store_byte v[0:1], v3, off
.LBB63_1777:
	s_mov_b64 s[10:11], -1
.LBB63_1778:
	s_andn2_b64 vcc, exec, s[10:11]
	s_cbranch_vccnz .LBB63_1974
; %bb.1779:
	v_lshlrev_b32_e32 v0, 16, v5
	v_fma_f32 v1, |v0|, -0.5, 0.5
	v_mul_f32_e32 v3, v0, v0
	v_cmp_ge_f32_e64 vcc, |v0|, 0.5
	v_cndmask_b32_e32 v1, v3, v1, vcc
	v_mov_b32_e32 v3, 0x3c5fc5da
	v_fmac_f32_e32 v3, 0x3d1c21a7, v1
	v_mov_b32_e32 v4, 0x3d034c3c
	v_fmac_f32_e32 v4, v1, v3
	;; [unrolled: 2-line block ×4, first 2 shown]
	v_sqrt_f32_e32 v3, v1
	v_mov_b32_e32 v5, 0x3e2aaaac
	v_fmac_f32_e32 v5, v1, v4
	v_mul_f32_e32 v1, v1, v5
	v_fmac_f32_e32 v3, v3, v1
	v_add_f32_e32 v3, v3, v3
	v_sub_f32_e32 v3, 0x3fc90fdb, v3
	v_fma_f32 v1, |v0|, v1, |v0|
	v_cmp_lt_f32_e64 vcc, |v0|, 0.5
	v_cndmask_b32_e32 v1, v3, v1, vcc
	s_brev_b32 s0, -2
	v_bfi_b32 v0, s0, v1, v0
	v_bfe_u32 v1, v0, 16, 1
	s_movk_i32 s0, 0x7fff
	v_add3_u32 v1, v0, v1, s0
	v_cmp_o_f32_e32 vcc, v0, v0
	v_mov_b32_e32 v0, 0x7fc0
	v_add_u32_e32 v2, s18, v2
	v_cndmask_b32_sdwa v3, v0, v1, vcc dst_sel:DWORD dst_unused:UNUSED_PAD src0_sel:DWORD src1_sel:WORD_1
	v_ashrrev_i32_e32 v1, 31, v2
	v_mov_b32_e32 v4, s9
	v_add_co_u32_e32 v0, vcc, s8, v2
	s_cmp_lt_i32 s20, 11
	v_addc_co_u32_e32 v1, vcc, v4, v1, vcc
	s_cbranch_scc1 .LBB63_1857
; %bb.1780:
	s_and_b32 s19, 0xffff, s20
	s_mov_b64 s[12:13], -1
	s_mov_b64 s[2:3], 0
	s_cmp_gt_i32 s19, 25
	s_mov_b64 s[10:11], 0
	s_mov_b64 s[0:1], 0
	s_cbranch_scc0 .LBB63_1813
; %bb.1781:
	s_cmp_gt_i32 s19, 28
	s_cbranch_scc0 .LBB63_1796
; %bb.1782:
	s_cmp_gt_i32 s19, 43
	;; [unrolled: 3-line block ×3, first 2 shown]
	s_cbranch_scc0 .LBB63_1786
; %bb.1784:
	s_mov_b64 s[0:1], -1
	s_mov_b64 s[12:13], 0
	s_cmp_eq_u32 s19, 46
	s_cbranch_scc0 .LBB63_1786
; %bb.1785:
	v_and_b32_e32 v4, 0xffff, v3
	global_store_dword v[0:1], v4, off
	s_mov_b64 s[0:1], 0
	s_mov_b64 s[10:11], -1
.LBB63_1786:
	s_and_b64 vcc, exec, s[12:13]
	s_cbranch_vccz .LBB63_1791
; %bb.1787:
	s_cmp_eq_u32 s19, 44
	s_mov_b64 s[0:1], -1
	s_cbranch_scc0 .LBB63_1791
; %bb.1788:
	v_and_b32_e32 v5, 0xffff, v3
	v_bfe_u32 v4, v5, 7, 8
	s_movk_i32 s0, 0xff
	v_cmp_ne_u32_e32 vcc, s0, v4
	v_mov_b32_e32 v7, 0xff
	s_and_saveexec_b64 s[10:11], vcc
	s_cbranch_execz .LBB63_1790
; %bb.1789:
	v_lshlrev_b32_e32 v8, 16, v5
	s_mov_b32 s0, 0x3f0000
	v_lshrrev_b32_e32 v7, 7, v5
	v_and_b32_e32 v5, 64, v5
	v_and_or_b32 v4, v8, s0, v4
	v_cmp_ne_u32_e32 vcc, 0, v5
	v_cmp_ne_u32_e64 s[0:1], 0, v4
	s_and_b64 s[0:1], vcc, s[0:1]
	v_cndmask_b32_e64 v4, 0, 1, s[0:1]
	v_add_u32_e32 v7, v7, v4
.LBB63_1790:
	s_or_b64 exec, exec, s[10:11]
	s_mov_b64 s[0:1], 0
	s_mov_b64 s[10:11], -1
	global_store_byte v[0:1], v7, off
.LBB63_1791:
	s_mov_b64 s[12:13], 0
.LBB63_1792:
	s_and_b64 vcc, exec, s[12:13]
	s_cbranch_vccz .LBB63_1795
; %bb.1793:
	s_cmp_eq_u32 s19, 29
	s_mov_b64 s[0:1], -1
	s_cbranch_scc0 .LBB63_1795
; %bb.1794:
	v_lshlrev_b32_e32 v4, 16, v3
	v_trunc_f32_e32 v4, v4
	v_mul_f32_e32 v5, 0x2f800000, v4
	v_floor_f32_e32 v7, v5
	v_fmac_f32_e32 v4, 0xcf800000, v7
	v_cvt_u32_f32_e32 v5, v7
	v_cvt_u32_f32_e32 v4, v4
	s_mov_b64 s[0:1], 0
	s_mov_b64 s[10:11], -1
	global_store_dwordx2 v[0:1], v[4:5], off
.LBB63_1795:
	s_mov_b64 s[12:13], 0
.LBB63_1796:
	s_and_b64 vcc, exec, s[12:13]
	s_cbranch_vccz .LBB63_1812
; %bb.1797:
	s_cmp_lt_i32 s19, 27
	s_mov_b64 s[10:11], -1
	s_cbranch_scc1 .LBB63_1803
; %bb.1798:
	s_cmp_gt_i32 s19, 27
	s_cbranch_scc0 .LBB63_1800
; %bb.1799:
	v_lshlrev_b32_e32 v4, 16, v3
	v_cvt_u32_f32_e32 v4, v4
	s_mov_b64 s[10:11], 0
	global_store_dword v[0:1], v4, off
.LBB63_1800:
	s_andn2_b64 vcc, exec, s[10:11]
	s_cbranch_vccnz .LBB63_1802
; %bb.1801:
	v_lshlrev_b32_e32 v4, 16, v3
	v_cvt_u32_f32_e32 v4, v4
	global_store_short v[0:1], v4, off
.LBB63_1802:
	s_mov_b64 s[10:11], 0
.LBB63_1803:
	s_andn2_b64 vcc, exec, s[10:11]
	s_cbranch_vccnz .LBB63_1811
; %bb.1804:
	v_lshlrev_b32_e32 v7, 16, v3
	v_and_b32_e32 v5, 0x7fffffff, v7
	s_mov_b32 s10, 0x43800000
	v_cmp_gt_u32_e32 vcc, s10, v5
	v_mov_b32_e32 v8, 0x80
	s_and_saveexec_b64 s[10:11], vcc
	s_cbranch_execz .LBB63_1810
; %bb.1805:
	s_mov_b32 s12, 0x3bffffff
	v_and_b32_e32 v4, 0xffff, v3
	v_cmp_lt_u32_e32 vcc, s12, v5
	s_mov_b64 s[12:13], 0
                                        ; implicit-def: $vgpr5
	s_and_saveexec_b64 s[16:17], vcc
	s_xor_b64 s[16:17], exec, s[16:17]
	s_cbranch_execz .LBB63_2031
; %bb.1806:
	v_bfe_u32 v5, v4, 4, 1
	s_mov_b32 s21, 0x487ffff
	v_add3_u32 v5, v7, v5, s21
	s_mov_b64 s[12:13], exec
	v_lshrrev_b32_e32 v5, 20, v5
                                        ; implicit-def: $vgpr7
	s_andn2_saveexec_b64 s[16:17], s[16:17]
	s_cbranch_execnz .LBB63_2032
.LBB63_1807:
	s_or_b64 exec, exec, s[16:17]
	v_mov_b32_e32 v8, 0
	s_and_saveexec_b64 s[16:17], s[12:13]
.LBB63_1808:
	v_lshrrev_b32_e32 v4, 8, v4
	s_movk_i32 s12, 0x80
	v_and_or_b32 v8, v4, s12, v5
.LBB63_1809:
	s_or_b64 exec, exec, s[16:17]
.LBB63_1810:
	s_or_b64 exec, exec, s[10:11]
	global_store_byte v[0:1], v8, off
.LBB63_1811:
	s_mov_b64 s[10:11], -1
.LBB63_1812:
	s_mov_b64 s[12:13], 0
.LBB63_1813:
	s_and_b64 vcc, exec, s[12:13]
	s_cbranch_vccz .LBB63_1853
; %bb.1814:
	s_cmp_gt_i32 s19, 22
	s_mov_b64 s[2:3], -1
	s_cbranch_scc0 .LBB63_1846
; %bb.1815:
	s_cmp_lt_i32 s19, 24
	s_cbranch_scc1 .LBB63_1835
; %bb.1816:
	s_cmp_gt_i32 s19, 24
	s_cbranch_scc0 .LBB63_1824
; %bb.1817:
	v_lshlrev_b32_e32 v7, 16, v3
	v_and_b32_e32 v5, 0x7fffffff, v7
	s_mov_b32 s2, 0x47800000
	v_cmp_gt_u32_e32 vcc, s2, v5
	v_mov_b32_e32 v8, 0x80
	s_and_saveexec_b64 s[2:3], vcc
	s_cbranch_execz .LBB63_1823
; %bb.1818:
	s_mov_b32 s10, 0x37ffffff
	v_and_b32_e32 v4, 0xffff, v3
	v_cmp_lt_u32_e32 vcc, s10, v5
	s_mov_b64 s[10:11], 0
                                        ; implicit-def: $vgpr5
	s_and_saveexec_b64 s[12:13], vcc
	s_xor_b64 s[12:13], exec, s[12:13]
	s_cbranch_execz .LBB63_2034
; %bb.1819:
	v_bfe_u32 v5, v4, 5, 1
	s_mov_b32 s16, 0x88fffff
	v_add3_u32 v5, v7, v5, s16
	s_mov_b64 s[10:11], exec
	v_lshrrev_b32_e32 v5, 21, v5
                                        ; implicit-def: $vgpr7
	s_andn2_saveexec_b64 s[12:13], s[12:13]
	s_cbranch_execnz .LBB63_2035
.LBB63_1820:
	s_or_b64 exec, exec, s[12:13]
	v_mov_b32_e32 v8, 0
	s_and_saveexec_b64 s[12:13], s[10:11]
.LBB63_1821:
	v_lshrrev_b32_e32 v4, 8, v4
	s_movk_i32 s10, 0x80
	v_and_or_b32 v8, v4, s10, v5
.LBB63_1822:
	s_or_b64 exec, exec, s[12:13]
.LBB63_1823:
	s_or_b64 exec, exec, s[2:3]
	s_mov_b64 s[2:3], 0
	global_store_byte v[0:1], v8, off
.LBB63_1824:
	s_and_b64 vcc, exec, s[2:3]
	s_cbranch_vccz .LBB63_1834
; %bb.1825:
	v_lshlrev_b32_e32 v7, 16, v3
	v_and_b32_e32 v8, 0x7fffffff, v7
	s_mov_b32 s2, 0x43f00000
	v_and_b32_e32 v4, 0xffff, v3
	v_cmp_gt_u32_e32 vcc, s2, v8
                                        ; implicit-def: $vgpr5
	s_and_saveexec_b64 s[2:3], vcc
	s_xor_b64 s[2:3], exec, s[2:3]
	s_cbranch_execz .LBB63_1831
; %bb.1826:
	s_mov_b32 s10, 0x3c7fffff
	v_cmp_lt_u32_e32 vcc, s10, v8
                                        ; implicit-def: $vgpr5
	s_and_saveexec_b64 s[10:11], vcc
	s_xor_b64 s[10:11], exec, s[10:11]
; %bb.1827:
	v_bfe_u32 v5, v4, 4, 1
	s_mov_b32 s12, 0x407ffff
	v_add3_u32 v5, v7, v5, s12
	v_lshrrev_b32_e32 v7, 20, v5
	v_and_b32_e32 v5, 0xff00000, v5
	s_mov_b32 s12, 0x7f00000
	v_mov_b32_e32 v8, 0x7e
	v_cmp_ne_u32_e32 vcc, s12, v5
	v_cndmask_b32_e32 v5, v8, v7, vcc
                                        ; implicit-def: $vgpr7
; %bb.1828:
	s_andn2_saveexec_b64 s[10:11], s[10:11]
; %bb.1829:
	s_mov_b32 s12, 0x46800000
	v_add_f32_e64 v5, |v7|, s12
; %bb.1830:
	s_or_b64 exec, exec, s[10:11]
                                        ; implicit-def: $vgpr8
.LBB63_1831:
	s_andn2_saveexec_b64 s[2:3], s[2:3]
; %bb.1832:
	s_mov_b32 s10, 0x7f800000
	v_mov_b32_e32 v5, 0x7e
	v_mov_b32_e32 v7, 0x7f
	v_cmp_lt_u32_e32 vcc, s10, v8
	v_cndmask_b32_e32 v5, v5, v7, vcc
; %bb.1833:
	s_or_b64 exec, exec, s[2:3]
	v_lshrrev_b32_e32 v4, 8, v4
	s_movk_i32 s2, 0x80
	v_and_or_b32 v4, v4, s2, v5
	global_store_byte v[0:1], v4, off
.LBB63_1834:
	s_mov_b64 s[2:3], 0
.LBB63_1835:
	s_andn2_b64 vcc, exec, s[2:3]
	s_cbranch_vccnz .LBB63_1845
; %bb.1836:
	v_lshlrev_b32_e32 v7, 16, v3
	v_and_b32_e32 v8, 0x7fffffff, v7
	s_mov_b32 s2, 0x47800000
	v_and_b32_e32 v4, 0xffff, v3
	v_cmp_gt_u32_e32 vcc, s2, v8
                                        ; implicit-def: $vgpr5
	s_and_saveexec_b64 s[2:3], vcc
	s_xor_b64 s[2:3], exec, s[2:3]
	s_cbranch_execz .LBB63_1842
; %bb.1837:
	s_mov_b32 s10, 0x387fffff
	v_cmp_lt_u32_e32 vcc, s10, v8
                                        ; implicit-def: $vgpr5
	s_and_saveexec_b64 s[10:11], vcc
	s_xor_b64 s[10:11], exec, s[10:11]
; %bb.1838:
	v_bfe_u32 v5, v4, 5, 1
	s_mov_b32 s12, 0x80fffff
	v_add3_u32 v5, v7, v5, s12
	v_lshrrev_b32_e32 v5, 21, v5
                                        ; implicit-def: $vgpr7
; %bb.1839:
	s_andn2_saveexec_b64 s[10:11], s[10:11]
; %bb.1840:
	s_mov_b32 s12, 0x43000000
	v_add_f32_e64 v5, |v7|, s12
; %bb.1841:
	s_or_b64 exec, exec, s[10:11]
                                        ; implicit-def: $vgpr8
.LBB63_1842:
	s_andn2_saveexec_b64 s[2:3], s[2:3]
; %bb.1843:
	s_mov_b32 s10, 0x7f800000
	v_mov_b32_e32 v5, 0x7c
	v_mov_b32_e32 v7, 0x7f
	v_cmp_lt_u32_e32 vcc, s10, v8
	v_cndmask_b32_e32 v5, v5, v7, vcc
; %bb.1844:
	s_or_b64 exec, exec, s[2:3]
	v_lshrrev_b32_e32 v4, 8, v4
	s_movk_i32 s2, 0x80
	v_and_or_b32 v4, v4, s2, v5
	global_store_byte v[0:1], v4, off
.LBB63_1845:
	s_mov_b64 s[2:3], 0
	s_mov_b64 s[10:11], -1
.LBB63_1846:
	s_andn2_b64 vcc, exec, s[2:3]
	s_mov_b64 s[2:3], 0
	s_cbranch_vccnz .LBB63_1853
; %bb.1847:
	s_cmp_gt_i32 s19, 14
	s_mov_b64 s[12:13], -1
	s_cbranch_scc0 .LBB63_1851
; %bb.1848:
	s_cmp_eq_u32 s19, 15
	s_mov_b64 s[0:1], -1
	s_cbranch_scc0 .LBB63_1850
; %bb.1849:
	global_store_short v[0:1], v3, off
	s_mov_b64 s[0:1], 0
	s_mov_b64 s[10:11], -1
.LBB63_1850:
	s_mov_b64 s[12:13], 0
.LBB63_1851:
	s_and_b64 vcc, exec, s[12:13]
	s_cbranch_vccz .LBB63_1853
; %bb.1852:
	s_cmp_lg_u32 s19, 11
	s_mov_b64 s[2:3], -1
	s_cselect_b64 s[0:1], -1, 0
.LBB63_1853:
	s_and_b64 vcc, exec, s[0:1]
	s_cbranch_vccnz .LBB63_2033
; %bb.1854:
	s_andn2_b64 vcc, exec, s[2:3]
	s_cbranch_vccnz .LBB63_1856
.LBB63_1855:
	v_and_b32_e32 v4, 0x7fff, v3
	v_cmp_ne_u16_e32 vcc, 0, v4
	v_cndmask_b32_e64 v4, 0, 1, vcc
	s_mov_b64 s[10:11], -1
	global_store_byte v[0:1], v4, off
.LBB63_1856:
	s_mov_b64 s[0:1], 0
	s_branch .LBB63_1858
.LBB63_1857:
	s_mov_b64 s[0:1], -1
	s_mov_b64 s[10:11], 0
.LBB63_1858:
	s_and_b64 vcc, exec, s[0:1]
	s_cbranch_vccz .LBB63_1897
; %bb.1859:
	s_and_b32 s2, 0xffff, s20
	s_cmp_lt_i32 s2, 5
	s_mov_b64 s[0:1], -1
	s_cbranch_scc1 .LBB63_1880
; %bb.1860:
	s_cmp_lt_i32 s2, 8
	s_cbranch_scc1 .LBB63_1870
; %bb.1861:
	s_cmp_lt_i32 s2, 9
	s_cbranch_scc1 .LBB63_1867
; %bb.1862:
	s_cmp_gt_i32 s2, 9
	s_cbranch_scc0 .LBB63_1864
; %bb.1863:
	v_lshlrev_b32_e32 v4, 16, v3
	v_cvt_f64_f32_e32 v[7:8], v4
	v_mov_b32_e32 v9, 0
	v_mov_b32_e32 v10, v9
	s_mov_b64 s[0:1], 0
	global_store_dwordx4 v[0:1], v[7:10], off
.LBB63_1864:
	s_andn2_b64 vcc, exec, s[0:1]
	s_cbranch_vccnz .LBB63_1866
; %bb.1865:
	v_lshlrev_b32_e32 v4, 16, v3
	v_mov_b32_e32 v5, 0
	global_store_dwordx2 v[0:1], v[4:5], off
.LBB63_1866:
	s_mov_b64 s[0:1], 0
.LBB63_1867:
	s_andn2_b64 vcc, exec, s[0:1]
	s_cbranch_vccnz .LBB63_1869
; %bb.1868:
	v_lshlrev_b32_e32 v4, 16, v3
	v_cvt_f16_f32_e32 v4, v4
	global_store_dword v[0:1], v4, off
.LBB63_1869:
	s_mov_b64 s[0:1], 0
.LBB63_1870:
	s_andn2_b64 vcc, exec, s[0:1]
	s_cbranch_vccnz .LBB63_1879
; %bb.1871:
	s_cmp_lt_i32 s2, 6
	s_mov_b64 s[0:1], -1
	s_cbranch_scc1 .LBB63_1877
; %bb.1872:
	s_cmp_gt_i32 s2, 6
	s_cbranch_scc0 .LBB63_1874
; %bb.1873:
	v_lshlrev_b32_e32 v4, 16, v3
	v_cvt_f64_f32_e32 v[4:5], v4
	s_mov_b64 s[0:1], 0
	global_store_dwordx2 v[0:1], v[4:5], off
.LBB63_1874:
	s_andn2_b64 vcc, exec, s[0:1]
	s_cbranch_vccnz .LBB63_1876
; %bb.1875:
	v_lshlrev_b32_e32 v4, 16, v3
	global_store_dword v[0:1], v4, off
.LBB63_1876:
	s_mov_b64 s[0:1], 0
.LBB63_1877:
	s_andn2_b64 vcc, exec, s[0:1]
	s_cbranch_vccnz .LBB63_1879
; %bb.1878:
	v_lshlrev_b32_e32 v4, 16, v3
	v_cvt_f16_f32_e32 v4, v4
	global_store_short v[0:1], v4, off
.LBB63_1879:
	s_mov_b64 s[0:1], 0
.LBB63_1880:
	s_andn2_b64 vcc, exec, s[0:1]
	s_cbranch_vccnz .LBB63_1896
; %bb.1881:
	s_cmp_lt_i32 s2, 2
	s_mov_b64 s[0:1], -1
	s_cbranch_scc1 .LBB63_1891
; %bb.1882:
	s_cmp_lt_i32 s2, 3
	s_cbranch_scc1 .LBB63_1888
; %bb.1883:
	s_cmp_gt_i32 s2, 3
	s_cbranch_scc0 .LBB63_1885
; %bb.1884:
	v_lshlrev_b32_e32 v4, 16, v3
	v_trunc_f32_e32 v4, v4
	s_mov_b32 s0, 0x2f800000
	v_mul_f32_e64 v5, |v4|, s0
	v_floor_f32_e32 v5, v5
	s_mov_b32 s0, 0xcf800000
	v_cvt_u32_f32_e32 v7, v5
	v_fma_f32 v5, v5, s0, |v4|
	v_cvt_u32_f32_e32 v5, v5
	v_ashrrev_i32_e32 v8, 31, v4
	v_xor_b32_e32 v7, v7, v8
	s_mov_b64 s[0:1], 0
	v_xor_b32_e32 v4, v5, v8
	v_sub_co_u32_e32 v4, vcc, v4, v8
	v_subb_co_u32_e32 v5, vcc, v7, v8, vcc
	global_store_dwordx2 v[0:1], v[4:5], off
.LBB63_1885:
	s_andn2_b64 vcc, exec, s[0:1]
	s_cbranch_vccnz .LBB63_1887
; %bb.1886:
	v_lshlrev_b32_e32 v4, 16, v3
	v_cvt_i32_f32_e32 v4, v4
	global_store_dword v[0:1], v4, off
.LBB63_1887:
	s_mov_b64 s[0:1], 0
.LBB63_1888:
	s_andn2_b64 vcc, exec, s[0:1]
	s_cbranch_vccnz .LBB63_1890
; %bb.1889:
	v_lshlrev_b32_e32 v4, 16, v3
	v_cvt_i32_f32_e32 v4, v4
	global_store_short v[0:1], v4, off
.LBB63_1890:
	s_mov_b64 s[0:1], 0
.LBB63_1891:
	s_andn2_b64 vcc, exec, s[0:1]
	s_cbranch_vccnz .LBB63_1896
; %bb.1892:
	s_mov_b64 s[0:1], -1
	s_cmp_gt_i32 s2, 0
	v_lshlrev_b32_e32 v3, 16, v3
	s_cbranch_scc0 .LBB63_1894
; %bb.1893:
	v_cvt_i32_f32_e32 v4, v3
	s_mov_b64 s[0:1], 0
	global_store_byte v[0:1], v4, off
.LBB63_1894:
	s_andn2_b64 vcc, exec, s[0:1]
	s_cbranch_vccnz .LBB63_1896
; %bb.1895:
	v_trunc_f32_e32 v3, v3
	s_mov_b32 s0, 0x2f800000
	v_mul_f32_e64 v4, |v3|, s0
	v_floor_f32_e32 v4, v4
	s_mov_b32 s0, 0xcf800000
	v_fma_f32 v4, v4, s0, |v3|
	v_cvt_u32_f32_e32 v4, v4
	v_ashrrev_i32_e32 v3, 31, v3
	v_xor_b32_e32 v4, v4, v3
	v_sub_u32_e32 v3, v4, v3
	global_store_byte v[0:1], v3, off
.LBB63_1896:
	s_mov_b64 s[10:11], -1
.LBB63_1897:
	s_andn2_b64 vcc, exec, s[10:11]
	s_cbranch_vccnz .LBB63_1974
; %bb.1898:
	v_lshlrev_b32_e32 v0, 16, v6
	v_fma_f32 v1, |v0|, -0.5, 0.5
	v_mul_f32_e32 v3, v0, v0
	v_cmp_ge_f32_e64 vcc, |v0|, 0.5
	v_cndmask_b32_e32 v1, v3, v1, vcc
	v_mov_b32_e32 v3, 0x3c5fc5da
	v_fmac_f32_e32 v3, 0x3d1c21a7, v1
	v_mov_b32_e32 v4, 0x3d034c3c
	v_fmac_f32_e32 v4, v1, v3
	;; [unrolled: 2-line block ×4, first 2 shown]
	v_sqrt_f32_e32 v3, v1
	v_mov_b32_e32 v5, 0x3e2aaaac
	v_fmac_f32_e32 v5, v1, v4
	v_mul_f32_e32 v1, v1, v5
	v_fmac_f32_e32 v3, v3, v1
	v_add_f32_e32 v3, v3, v3
	v_sub_f32_e32 v3, 0x3fc90fdb, v3
	v_fma_f32 v1, |v0|, v1, |v0|
	v_cmp_lt_f32_e64 vcc, |v0|, 0.5
	v_cndmask_b32_e32 v1, v3, v1, vcc
	s_brev_b32 s0, -2
	v_bfi_b32 v0, s0, v1, v0
	v_bfe_u32 v1, v0, 16, 1
	s_movk_i32 s0, 0x7fff
	v_add3_u32 v1, v0, v1, s0
	v_cmp_o_f32_e32 vcc, v0, v0
	v_mov_b32_e32 v0, 0x7fc0
	v_cndmask_b32_sdwa v3, v0, v1, vcc dst_sel:DWORD dst_unused:UNUSED_PAD src0_sel:DWORD src1_sel:WORD_1
	v_add_u32_e32 v0, s18, v2
	v_ashrrev_i32_e32 v1, 31, v0
	v_mov_b32_e32 v2, s9
	v_add_co_u32_e32 v0, vcc, s8, v0
	s_cmp_lt_i32 s20, 11
	v_addc_co_u32_e32 v1, vcc, v2, v1, vcc
	s_cbranch_scc1 .LBB63_2019
; %bb.1899:
	s_and_b32 s16, 0xffff, s20
	s_mov_b64 s[8:9], -1
	s_mov_b64 s[2:3], 0
	s_cmp_gt_i32 s16, 25
	s_mov_b64 s[0:1], 0
	s_cbranch_scc0 .LBB63_1932
; %bb.1900:
	s_cmp_gt_i32 s16, 28
	s_cbranch_scc0 .LBB63_1916
; %bb.1901:
	s_cmp_gt_i32 s16, 43
	;; [unrolled: 3-line block ×3, first 2 shown]
	s_cbranch_scc0 .LBB63_1906
; %bb.1903:
	s_cmp_eq_u32 s16, 46
	s_mov_b64 s[0:1], -1
	s_cbranch_scc0 .LBB63_1905
; %bb.1904:
	v_and_b32_e32 v2, 0xffff, v3
	global_store_dword v[0:1], v2, off
	s_mov_b64 s[0:1], 0
.LBB63_1905:
	s_mov_b64 s[8:9], 0
.LBB63_1906:
	s_and_b64 vcc, exec, s[8:9]
	s_cbranch_vccz .LBB63_1911
; %bb.1907:
	s_cmp_eq_u32 s16, 44
	s_mov_b64 s[0:1], -1
	s_cbranch_scc0 .LBB63_1911
; %bb.1908:
	v_and_b32_e32 v4, 0xffff, v3
	v_bfe_u32 v2, v4, 7, 8
	s_movk_i32 s0, 0xff
	v_cmp_ne_u32_e32 vcc, s0, v2
	v_mov_b32_e32 v5, 0xff
	s_and_saveexec_b64 s[8:9], vcc
	s_cbranch_execz .LBB63_1910
; %bb.1909:
	v_lshlrev_b32_e32 v6, 16, v4
	s_mov_b32 s0, 0x3f0000
	v_lshrrev_b32_e32 v5, 7, v4
	v_and_b32_e32 v4, 64, v4
	v_and_or_b32 v2, v6, s0, v2
	v_cmp_ne_u32_e32 vcc, 0, v4
	v_cmp_ne_u32_e64 s[0:1], 0, v2
	s_and_b64 s[0:1], vcc, s[0:1]
	v_cndmask_b32_e64 v2, 0, 1, s[0:1]
	v_add_u32_e32 v5, v5, v2
.LBB63_1910:
	s_or_b64 exec, exec, s[8:9]
	s_mov_b64 s[0:1], 0
	global_store_byte v[0:1], v5, off
.LBB63_1911:
	s_mov_b64 s[8:9], 0
.LBB63_1912:
	s_and_b64 vcc, exec, s[8:9]
	s_cbranch_vccz .LBB63_1915
; %bb.1913:
	s_cmp_eq_u32 s16, 29
	s_mov_b64 s[0:1], -1
	s_cbranch_scc0 .LBB63_1915
; %bb.1914:
	v_lshlrev_b32_e32 v2, 16, v3
	v_trunc_f32_e32 v2, v2
	v_mul_f32_e32 v4, 0x2f800000, v2
	v_floor_f32_e32 v4, v4
	v_fmac_f32_e32 v2, 0xcf800000, v4
	v_cvt_u32_f32_e32 v5, v4
	v_cvt_u32_f32_e32 v4, v2
	s_mov_b64 s[0:1], 0
	global_store_dwordx2 v[0:1], v[4:5], off
.LBB63_1915:
	s_mov_b64 s[8:9], 0
.LBB63_1916:
	s_and_b64 vcc, exec, s[8:9]
	s_cbranch_vccz .LBB63_1931
; %bb.1917:
	s_cmp_lt_i32 s16, 27
	s_mov_b64 s[8:9], -1
	s_cbranch_scc1 .LBB63_1923
; %bb.1918:
	s_cmp_gt_i32 s16, 27
	s_cbranch_scc0 .LBB63_1920
; %bb.1919:
	v_lshlrev_b32_e32 v2, 16, v3
	v_cvt_u32_f32_e32 v2, v2
	s_mov_b64 s[8:9], 0
	global_store_dword v[0:1], v2, off
.LBB63_1920:
	s_andn2_b64 vcc, exec, s[8:9]
	s_cbranch_vccnz .LBB63_1922
; %bb.1921:
	v_lshlrev_b32_e32 v2, 16, v3
	v_cvt_u32_f32_e32 v2, v2
	global_store_short v[0:1], v2, off
.LBB63_1922:
	s_mov_b64 s[8:9], 0
.LBB63_1923:
	s_andn2_b64 vcc, exec, s[8:9]
	s_cbranch_vccnz .LBB63_1931
; %bb.1924:
	v_lshlrev_b32_e32 v5, 16, v3
	v_and_b32_e32 v4, 0x7fffffff, v5
	s_mov_b32 s8, 0x43800000
	v_cmp_gt_u32_e32 vcc, s8, v4
	v_mov_b32_e32 v6, 0x80
	s_and_saveexec_b64 s[8:9], vcc
	s_cbranch_execz .LBB63_1930
; %bb.1925:
	s_mov_b32 s10, 0x3bffffff
	v_and_b32_e32 v2, 0xffff, v3
	v_cmp_lt_u32_e32 vcc, s10, v4
	s_mov_b64 s[10:11], 0
                                        ; implicit-def: $vgpr4
	s_and_saveexec_b64 s[12:13], vcc
	s_xor_b64 s[12:13], exec, s[12:13]
	s_cbranch_execz .LBB63_2036
; %bb.1926:
	v_bfe_u32 v4, v2, 4, 1
	s_mov_b32 s17, 0x487ffff
	v_add3_u32 v4, v5, v4, s17
	s_mov_b64 s[10:11], exec
	v_lshrrev_b32_e32 v4, 20, v4
                                        ; implicit-def: $vgpr5
	s_andn2_saveexec_b64 s[12:13], s[12:13]
	s_cbranch_execnz .LBB63_2037
.LBB63_1927:
	s_or_b64 exec, exec, s[12:13]
	v_mov_b32_e32 v6, 0
	s_and_saveexec_b64 s[12:13], s[10:11]
.LBB63_1928:
	v_lshrrev_b32_e32 v2, 8, v2
	s_movk_i32 s10, 0x80
	v_and_or_b32 v6, v2, s10, v4
.LBB63_1929:
	s_or_b64 exec, exec, s[12:13]
.LBB63_1930:
	s_or_b64 exec, exec, s[8:9]
	global_store_byte v[0:1], v6, off
.LBB63_1931:
	s_mov_b64 s[8:9], 0
.LBB63_1932:
	s_and_b64 vcc, exec, s[8:9]
	s_cbranch_vccz .LBB63_1972
; %bb.1933:
	s_cmp_gt_i32 s16, 22
	s_mov_b64 s[2:3], -1
	s_cbranch_scc0 .LBB63_1965
; %bb.1934:
	s_cmp_lt_i32 s16, 24
	s_cbranch_scc1 .LBB63_1954
; %bb.1935:
	s_cmp_gt_i32 s16, 24
	s_cbranch_scc0 .LBB63_1943
; %bb.1936:
	v_lshlrev_b32_e32 v5, 16, v3
	v_and_b32_e32 v4, 0x7fffffff, v5
	s_mov_b32 s2, 0x47800000
	v_cmp_gt_u32_e32 vcc, s2, v4
	v_mov_b32_e32 v6, 0x80
	s_and_saveexec_b64 s[2:3], vcc
	s_cbranch_execz .LBB63_1942
; %bb.1937:
	s_mov_b32 s8, 0x37ffffff
	v_and_b32_e32 v2, 0xffff, v3
	v_cmp_lt_u32_e32 vcc, s8, v4
	s_mov_b64 s[8:9], 0
                                        ; implicit-def: $vgpr4
	s_and_saveexec_b64 s[10:11], vcc
	s_xor_b64 s[10:11], exec, s[10:11]
	s_cbranch_execz .LBB63_2039
; %bb.1938:
	v_bfe_u32 v4, v2, 5, 1
	s_mov_b32 s12, 0x88fffff
	v_add3_u32 v4, v5, v4, s12
	s_mov_b64 s[8:9], exec
	v_lshrrev_b32_e32 v4, 21, v4
                                        ; implicit-def: $vgpr5
	s_andn2_saveexec_b64 s[10:11], s[10:11]
	s_cbranch_execnz .LBB63_2040
.LBB63_1939:
	s_or_b64 exec, exec, s[10:11]
	v_mov_b32_e32 v6, 0
	s_and_saveexec_b64 s[10:11], s[8:9]
.LBB63_1940:
	v_lshrrev_b32_e32 v2, 8, v2
	s_movk_i32 s8, 0x80
	v_and_or_b32 v6, v2, s8, v4
.LBB63_1941:
	s_or_b64 exec, exec, s[10:11]
.LBB63_1942:
	s_or_b64 exec, exec, s[2:3]
	s_mov_b64 s[2:3], 0
	global_store_byte v[0:1], v6, off
.LBB63_1943:
	s_and_b64 vcc, exec, s[2:3]
	s_cbranch_vccz .LBB63_1953
; %bb.1944:
	v_lshlrev_b32_e32 v5, 16, v3
	v_and_b32_e32 v6, 0x7fffffff, v5
	s_mov_b32 s2, 0x43f00000
	v_and_b32_e32 v2, 0xffff, v3
	v_cmp_gt_u32_e32 vcc, s2, v6
                                        ; implicit-def: $vgpr4
	s_and_saveexec_b64 s[2:3], vcc
	s_xor_b64 s[2:3], exec, s[2:3]
	s_cbranch_execz .LBB63_1950
; %bb.1945:
	s_mov_b32 s8, 0x3c7fffff
	v_cmp_lt_u32_e32 vcc, s8, v6
                                        ; implicit-def: $vgpr4
	s_and_saveexec_b64 s[8:9], vcc
	s_xor_b64 s[8:9], exec, s[8:9]
; %bb.1946:
	v_bfe_u32 v4, v2, 4, 1
	s_mov_b32 s10, 0x407ffff
	v_add3_u32 v4, v5, v4, s10
	v_lshrrev_b32_e32 v5, 20, v4
	v_and_b32_e32 v4, 0xff00000, v4
	s_mov_b32 s10, 0x7f00000
	v_mov_b32_e32 v6, 0x7e
	v_cmp_ne_u32_e32 vcc, s10, v4
	v_cndmask_b32_e32 v4, v6, v5, vcc
                                        ; implicit-def: $vgpr5
; %bb.1947:
	s_andn2_saveexec_b64 s[8:9], s[8:9]
; %bb.1948:
	s_mov_b32 s10, 0x46800000
	v_add_f32_e64 v4, |v5|, s10
; %bb.1949:
	s_or_b64 exec, exec, s[8:9]
                                        ; implicit-def: $vgpr6
.LBB63_1950:
	s_andn2_saveexec_b64 s[2:3], s[2:3]
; %bb.1951:
	s_mov_b32 s8, 0x7f800000
	v_mov_b32_e32 v4, 0x7e
	v_mov_b32_e32 v5, 0x7f
	v_cmp_lt_u32_e32 vcc, s8, v6
	v_cndmask_b32_e32 v4, v4, v5, vcc
; %bb.1952:
	s_or_b64 exec, exec, s[2:3]
	v_lshrrev_b32_e32 v2, 8, v2
	s_movk_i32 s2, 0x80
	v_and_or_b32 v2, v2, s2, v4
	global_store_byte v[0:1], v2, off
.LBB63_1953:
	s_mov_b64 s[2:3], 0
.LBB63_1954:
	s_andn2_b64 vcc, exec, s[2:3]
	s_cbranch_vccnz .LBB63_1964
; %bb.1955:
	v_lshlrev_b32_e32 v5, 16, v3
	v_and_b32_e32 v6, 0x7fffffff, v5
	s_mov_b32 s2, 0x47800000
	v_and_b32_e32 v2, 0xffff, v3
	v_cmp_gt_u32_e32 vcc, s2, v6
                                        ; implicit-def: $vgpr4
	s_and_saveexec_b64 s[2:3], vcc
	s_xor_b64 s[2:3], exec, s[2:3]
	s_cbranch_execz .LBB63_1961
; %bb.1956:
	s_mov_b32 s8, 0x387fffff
	v_cmp_lt_u32_e32 vcc, s8, v6
                                        ; implicit-def: $vgpr4
	s_and_saveexec_b64 s[8:9], vcc
	s_xor_b64 s[8:9], exec, s[8:9]
; %bb.1957:
	v_bfe_u32 v4, v2, 5, 1
	s_mov_b32 s10, 0x80fffff
	v_add3_u32 v4, v5, v4, s10
	v_lshrrev_b32_e32 v4, 21, v4
                                        ; implicit-def: $vgpr5
; %bb.1958:
	s_andn2_saveexec_b64 s[8:9], s[8:9]
; %bb.1959:
	s_mov_b32 s10, 0x43000000
	v_add_f32_e64 v4, |v5|, s10
; %bb.1960:
	s_or_b64 exec, exec, s[8:9]
                                        ; implicit-def: $vgpr6
.LBB63_1961:
	s_andn2_saveexec_b64 s[2:3], s[2:3]
; %bb.1962:
	s_mov_b32 s8, 0x7f800000
	v_mov_b32_e32 v4, 0x7c
	v_mov_b32_e32 v5, 0x7f
	v_cmp_lt_u32_e32 vcc, s8, v6
	v_cndmask_b32_e32 v4, v4, v5, vcc
; %bb.1963:
	s_or_b64 exec, exec, s[2:3]
	v_lshrrev_b32_e32 v2, 8, v2
	s_movk_i32 s2, 0x80
	v_and_or_b32 v2, v2, s2, v4
	global_store_byte v[0:1], v2, off
.LBB63_1964:
	s_mov_b64 s[2:3], 0
.LBB63_1965:
	s_andn2_b64 vcc, exec, s[2:3]
	s_mov_b64 s[2:3], 0
	s_cbranch_vccnz .LBB63_1972
; %bb.1966:
	s_cmp_gt_i32 s16, 14
	s_mov_b64 s[8:9], -1
	s_cbranch_scc0 .LBB63_1970
; %bb.1967:
	s_cmp_eq_u32 s16, 15
	s_mov_b64 s[0:1], -1
	s_cbranch_scc0 .LBB63_1969
; %bb.1968:
	global_store_short v[0:1], v3, off
	s_mov_b64 s[0:1], 0
.LBB63_1969:
	s_mov_b64 s[8:9], 0
.LBB63_1970:
	s_and_b64 vcc, exec, s[8:9]
	s_cbranch_vccz .LBB63_1972
; %bb.1971:
	s_cmp_lg_u32 s16, 11
	s_mov_b64 s[2:3], -1
	s_cselect_b64 s[0:1], -1, 0
.LBB63_1972:
	s_and_b64 vcc, exec, s[0:1]
	s_cbranch_vccnz .LBB63_2038
.LBB63_1973:
	s_mov_b64 s[0:1], 0
	s_branch .LBB63_1975
.LBB63_1974:
	s_mov_b64 s[0:1], 0
	s_mov_b64 s[2:3], 0
                                        ; implicit-def: $sgpr20
                                        ; implicit-def: $vgpr0_vgpr1
                                        ; implicit-def: $vgpr3
.LBB63_1975:
	s_and_b64 s[12:13], s[2:3], exec
	s_andn2_b64 s[2:3], s[6:7], exec
	s_and_b64 s[6:7], s[14:15], exec
	s_and_b64 s[0:1], s[0:1], exec
	s_or_b64 s[6:7], s[2:3], s[6:7]
.LBB63_1976:
	s_or_b64 exec, exec, s[4:5]
	s_and_saveexec_b64 s[2:3], s[6:7]
	s_cbranch_execz .LBB63_1979
; %bb.1977:
	; divergent unreachable
	s_or_b64 exec, exec, s[2:3]
	s_and_saveexec_b64 s[2:3], s[12:13]
	s_xor_b64 s[2:3], exec, s[2:3]
	s_cbranch_execnz .LBB63_1980
.LBB63_1978:
	s_or_b64 exec, exec, s[2:3]
	s_and_saveexec_b64 s[2:3], s[0:1]
	s_cbranch_execnz .LBB63_1981
	s_branch .LBB63_2018
.LBB63_1979:
	s_or_b64 exec, exec, s[2:3]
	s_and_saveexec_b64 s[2:3], s[12:13]
	s_xor_b64 s[2:3], exec, s[2:3]
	s_cbranch_execz .LBB63_1978
.LBB63_1980:
	s_waitcnt vmcnt(0)
	v_and_b32_e32 v2, 0x7fff, v3
	v_cmp_ne_u16_e32 vcc, 0, v2
	v_cndmask_b32_e64 v2, 0, 1, vcc
	global_store_byte v[0:1], v2, off
	s_or_b64 exec, exec, s[2:3]
	s_and_saveexec_b64 s[2:3], s[0:1]
	s_cbranch_execz .LBB63_2018
.LBB63_1981:
	s_sext_i32_i16 s2, s20
	s_cmp_lt_i32 s2, 5
	s_mov_b64 s[0:1], -1
	s_cbranch_scc1 .LBB63_2002
; %bb.1982:
	s_cmp_lt_i32 s2, 8
	s_cbranch_scc1 .LBB63_1992
; %bb.1983:
	s_cmp_lt_i32 s2, 9
	s_cbranch_scc1 .LBB63_1989
; %bb.1984:
	s_cmp_gt_i32 s2, 9
	s_cbranch_scc0 .LBB63_1986
; %bb.1985:
	s_waitcnt vmcnt(0)
	v_lshlrev_b32_e32 v2, 16, v3
	v_cvt_f64_f32_e32 v[4:5], v2
	v_mov_b32_e32 v6, 0
	v_mov_b32_e32 v7, v6
	s_mov_b64 s[0:1], 0
	global_store_dwordx4 v[0:1], v[4:7], off
.LBB63_1986:
	s_andn2_b64 vcc, exec, s[0:1]
	s_cbranch_vccnz .LBB63_1988
; %bb.1987:
	s_waitcnt vmcnt(0)
	v_lshlrev_b32_e32 v4, 16, v3
	v_mov_b32_e32 v5, 0
	global_store_dwordx2 v[0:1], v[4:5], off
.LBB63_1988:
	s_mov_b64 s[0:1], 0
.LBB63_1989:
	s_andn2_b64 vcc, exec, s[0:1]
	s_cbranch_vccnz .LBB63_1991
; %bb.1990:
	s_waitcnt vmcnt(0)
	v_lshlrev_b32_e32 v2, 16, v3
	v_cvt_f16_f32_e32 v2, v2
	global_store_dword v[0:1], v2, off
.LBB63_1991:
	s_mov_b64 s[0:1], 0
.LBB63_1992:
	s_andn2_b64 vcc, exec, s[0:1]
	s_cbranch_vccnz .LBB63_2001
; %bb.1993:
	s_sext_i32_i16 s2, s20
	s_cmp_lt_i32 s2, 6
	s_mov_b64 s[0:1], -1
	s_cbranch_scc1 .LBB63_1999
; %bb.1994:
	s_cmp_gt_i32 s2, 6
	s_cbranch_scc0 .LBB63_1996
; %bb.1995:
	s_waitcnt vmcnt(0)
	v_lshlrev_b32_e32 v2, 16, v3
	v_cvt_f64_f32_e32 v[4:5], v2
	s_mov_b64 s[0:1], 0
	global_store_dwordx2 v[0:1], v[4:5], off
.LBB63_1996:
	s_andn2_b64 vcc, exec, s[0:1]
	s_cbranch_vccnz .LBB63_1998
; %bb.1997:
	s_waitcnt vmcnt(0)
	v_lshlrev_b32_e32 v2, 16, v3
	global_store_dword v[0:1], v2, off
.LBB63_1998:
	s_mov_b64 s[0:1], 0
.LBB63_1999:
	s_andn2_b64 vcc, exec, s[0:1]
	s_cbranch_vccnz .LBB63_2001
; %bb.2000:
	s_waitcnt vmcnt(0)
	v_lshlrev_b32_e32 v2, 16, v3
	v_cvt_f16_f32_e32 v2, v2
	global_store_short v[0:1], v2, off
.LBB63_2001:
	s_mov_b64 s[0:1], 0
.LBB63_2002:
	s_andn2_b64 vcc, exec, s[0:1]
	s_cbranch_vccnz .LBB63_2018
; %bb.2003:
	s_sext_i32_i16 s2, s20
	s_cmp_lt_i32 s2, 2
	s_mov_b64 s[0:1], -1
	s_cbranch_scc1 .LBB63_2013
; %bb.2004:
	s_cmp_lt_i32 s2, 3
	s_cbranch_scc1 .LBB63_2010
; %bb.2005:
	s_cmp_gt_i32 s2, 3
	s_cbranch_scc0 .LBB63_2007
; %bb.2006:
	s_waitcnt vmcnt(0)
	v_lshlrev_b32_e32 v2, 16, v3
	v_trunc_f32_e32 v2, v2
	s_mov_b32 s0, 0x2f800000
	v_mul_f32_e64 v4, |v2|, s0
	v_floor_f32_e32 v4, v4
	s_mov_b32 s0, 0xcf800000
	v_cvt_u32_f32_e32 v5, v4
	v_fma_f32 v4, v4, s0, |v2|
	v_cvt_u32_f32_e32 v4, v4
	v_ashrrev_i32_e32 v2, 31, v2
	v_xor_b32_e32 v5, v5, v2
	s_mov_b64 s[0:1], 0
	v_xor_b32_e32 v4, v4, v2
	v_sub_co_u32_e32 v4, vcc, v4, v2
	v_subb_co_u32_e32 v5, vcc, v5, v2, vcc
	global_store_dwordx2 v[0:1], v[4:5], off
.LBB63_2007:
	s_andn2_b64 vcc, exec, s[0:1]
	s_cbranch_vccnz .LBB63_2009
; %bb.2008:
	s_waitcnt vmcnt(0)
	v_lshlrev_b32_e32 v2, 16, v3
	v_cvt_i32_f32_e32 v2, v2
	global_store_dword v[0:1], v2, off
.LBB63_2009:
	s_mov_b64 s[0:1], 0
.LBB63_2010:
	s_andn2_b64 vcc, exec, s[0:1]
	s_cbranch_vccnz .LBB63_2012
; %bb.2011:
	s_waitcnt vmcnt(0)
	v_lshlrev_b32_e32 v2, 16, v3
	v_cvt_i32_f32_e32 v2, v2
	global_store_short v[0:1], v2, off
.LBB63_2012:
	s_mov_b64 s[0:1], 0
.LBB63_2013:
	s_andn2_b64 vcc, exec, s[0:1]
	s_cbranch_vccnz .LBB63_2018
; %bb.2014:
	s_sext_i32_i16 s2, s20
	s_mov_b64 s[0:1], -1
	s_cmp_gt_i32 s2, 0
	s_waitcnt vmcnt(0)
	v_lshlrev_b32_e32 v2, 16, v3
	s_cbranch_scc0 .LBB63_2016
; %bb.2015:
	v_cvt_i32_f32_e32 v3, v2
	s_mov_b64 s[0:1], 0
	global_store_byte v[0:1], v3, off
.LBB63_2016:
	s_andn2_b64 vcc, exec, s[0:1]
	s_cbranch_vccnz .LBB63_2018
; %bb.2017:
	v_trunc_f32_e32 v2, v2
	s_mov_b32 s0, 0x2f800000
	v_mul_f32_e64 v3, |v2|, s0
	v_floor_f32_e32 v3, v3
	s_mov_b32 s0, 0xcf800000
	v_fma_f32 v3, v3, s0, |v2|
	v_cvt_u32_f32_e32 v3, v3
	v_ashrrev_i32_e32 v2, 31, v2
	v_xor_b32_e32 v3, v3, v2
	v_sub_u32_e32 v2, v3, v2
	global_store_byte v[0:1], v2, off
	s_endpgm
.LBB63_2018:
	s_endpgm
.LBB63_2019:
	s_mov_b64 s[2:3], 0
	s_mov_b64 s[0:1], -1
	s_branch .LBB63_1975
.LBB63_2020:
	s_trap 2
	s_or_b64 s[14:15], s[14:15], exec
	s_cbranch_execz .LBB63_1489
	s_branch .LBB63_1490
.LBB63_2021:
	s_andn2_saveexec_b64 s[18:19], s[18:19]
	s_cbranch_execz .LBB63_1569
.LBB63_2022:
	s_mov_b32 s21, 0x46000000
	v_add_f32_e64 v8, |v9|, s21
	v_and_b32_e32 v8, 0xff, v8
	v_cmp_ne_u32_e32 vcc, 0, v8
	s_andn2_b64 s[16:17], s[16:17], exec
	s_and_b64 s[22:23], vcc, exec
	s_or_b64 s[16:17], s[16:17], s[22:23]
	s_or_b64 exec, exec, s[18:19]
	v_mov_b32_e32 v10, 0
	s_and_saveexec_b64 s[18:19], s[16:17]
	s_cbranch_execnz .LBB63_1570
	s_branch .LBB63_1571
.LBB63_2023:
	s_trap 2
	s_or_b64 s[14:15], s[14:15], exec
	s_cbranch_execz .LBB63_1617
	s_branch .LBB63_1618
.LBB63_2024:
	s_andn2_saveexec_b64 s[16:17], s[16:17]
	s_cbranch_execz .LBB63_1582
.LBB63_2025:
	s_mov_b32 s18, 0x42800000
	v_add_f32_e64 v8, |v9|, s18
	v_and_b32_e32 v8, 0xff, v8
	v_cmp_ne_u32_e32 vcc, 0, v8
	s_andn2_b64 s[12:13], s[12:13], exec
	s_and_b64 s[18:19], vcc, exec
	s_or_b64 s[12:13], s[12:13], s[18:19]
	s_or_b64 exec, exec, s[16:17]
	v_mov_b32_e32 v10, 0
	s_and_saveexec_b64 s[16:17], s[12:13]
	s_cbranch_execnz .LBB63_1583
	s_branch .LBB63_1584
.LBB63_2026:
	s_andn2_saveexec_b64 s[16:17], s[16:17]
	s_cbranch_execz .LBB63_1688
.LBB63_2027:
	s_mov_b32 s21, 0x46000000
	v_add_f32_e64 v7, |v8|, s21
	v_and_b32_e32 v7, 0xff, v7
	v_cmp_ne_u32_e32 vcc, 0, v7
	s_andn2_b64 s[12:13], s[12:13], exec
	s_and_b64 s[22:23], vcc, exec
	s_or_b64 s[12:13], s[12:13], s[22:23]
	s_or_b64 exec, exec, s[16:17]
	v_mov_b32_e32 v9, 0
	s_and_saveexec_b64 s[16:17], s[12:13]
	s_cbranch_execnz .LBB63_1689
	s_branch .LBB63_1690
.LBB63_2028:
	s_trap 2
	s_or_b64 s[14:15], s[14:15], exec
	s_cbranch_execz .LBB63_1736
	s_branch .LBB63_1737
.LBB63_2029:
	s_andn2_saveexec_b64 s[12:13], s[12:13]
	s_cbranch_execz .LBB63_1701
.LBB63_2030:
	s_mov_b32 s16, 0x42800000
	v_add_f32_e64 v7, |v8|, s16
	v_and_b32_e32 v7, 0xff, v7
	v_cmp_ne_u32_e32 vcc, 0, v7
	s_andn2_b64 s[10:11], s[10:11], exec
	s_and_b64 s[16:17], vcc, exec
	s_or_b64 s[10:11], s[10:11], s[16:17]
	s_or_b64 exec, exec, s[12:13]
	v_mov_b32_e32 v9, 0
	s_and_saveexec_b64 s[12:13], s[10:11]
	s_cbranch_execnz .LBB63_1702
	s_branch .LBB63_1703
.LBB63_2031:
	s_andn2_saveexec_b64 s[16:17], s[16:17]
	s_cbranch_execz .LBB63_1807
.LBB63_2032:
	s_mov_b32 s21, 0x46000000
	v_add_f32_e64 v5, |v7|, s21
	v_and_b32_e32 v5, 0xff, v5
	v_cmp_ne_u32_e32 vcc, 0, v5
	s_andn2_b64 s[12:13], s[12:13], exec
	s_and_b64 s[22:23], vcc, exec
	s_or_b64 s[12:13], s[12:13], s[22:23]
	s_or_b64 exec, exec, s[16:17]
	v_mov_b32_e32 v8, 0
	s_and_saveexec_b64 s[16:17], s[12:13]
	s_cbranch_execnz .LBB63_1808
	s_branch .LBB63_1809
.LBB63_2033:
	s_trap 2
	s_or_b64 s[14:15], s[14:15], exec
	s_cbranch_execz .LBB63_1855
	s_branch .LBB63_1856
.LBB63_2034:
	s_andn2_saveexec_b64 s[12:13], s[12:13]
	s_cbranch_execz .LBB63_1820
.LBB63_2035:
	s_mov_b32 s16, 0x42800000
	v_add_f32_e64 v5, |v7|, s16
	v_and_b32_e32 v5, 0xff, v5
	v_cmp_ne_u32_e32 vcc, 0, v5
	s_andn2_b64 s[10:11], s[10:11], exec
	s_and_b64 s[16:17], vcc, exec
	s_or_b64 s[10:11], s[10:11], s[16:17]
	s_or_b64 exec, exec, s[12:13]
	v_mov_b32_e32 v8, 0
	s_and_saveexec_b64 s[12:13], s[10:11]
	s_cbranch_execnz .LBB63_1821
	s_branch .LBB63_1822
.LBB63_2036:
	s_andn2_saveexec_b64 s[12:13], s[12:13]
	s_cbranch_execz .LBB63_1927
.LBB63_2037:
	s_mov_b32 s17, 0x46000000
	v_add_f32_e64 v4, |v5|, s17
	v_and_b32_e32 v4, 0xff, v4
	v_cmp_ne_u32_e32 vcc, 0, v4
	s_andn2_b64 s[10:11], s[10:11], exec
	s_and_b64 s[18:19], vcc, exec
	s_or_b64 s[10:11], s[10:11], s[18:19]
	s_or_b64 exec, exec, s[12:13]
	v_mov_b32_e32 v6, 0
	s_and_saveexec_b64 s[12:13], s[10:11]
	s_cbranch_execnz .LBB63_1928
	s_branch .LBB63_1929
.LBB63_2038:
	s_mov_b64 s[2:3], 0
	s_or_b64 s[14:15], s[14:15], exec
	s_trap 2
	s_branch .LBB63_1973
.LBB63_2039:
	s_andn2_saveexec_b64 s[10:11], s[10:11]
	s_cbranch_execz .LBB63_1939
.LBB63_2040:
	s_mov_b32 s12, 0x42800000
	v_add_f32_e64 v4, |v5|, s12
	v_and_b32_e32 v4, 0xff, v4
	v_cmp_ne_u32_e32 vcc, 0, v4
	s_andn2_b64 s[8:9], s[8:9], exec
	s_and_b64 s[12:13], vcc, exec
	s_or_b64 s[8:9], s[8:9], s[12:13]
	s_or_b64 exec, exec, s[10:11]
	v_mov_b32_e32 v6, 0
	s_and_saveexec_b64 s[10:11], s[8:9]
	s_cbranch_execnz .LBB63_1940
	s_branch .LBB63_1941
	.section	.rodata,"a",@progbits
	.p2align	6, 0x0
	.amdhsa_kernel _ZN2at6native32elementwise_kernel_manual_unrollILi128ELi4EZNS0_15gpu_kernel_implIZZZNS0_16asin_kernel_cudaERNS_18TensorIteratorBaseEENKUlvE0_clEvENKUlvE2_clEvEUlN3c108BFloat16EE_EEvS4_RKT_EUlibE_EEviT1_
		.amdhsa_group_segment_fixed_size 0
		.amdhsa_private_segment_fixed_size 0
		.amdhsa_kernarg_size 40
		.amdhsa_user_sgpr_count 6
		.amdhsa_user_sgpr_private_segment_buffer 1
		.amdhsa_user_sgpr_dispatch_ptr 0
		.amdhsa_user_sgpr_queue_ptr 0
		.amdhsa_user_sgpr_kernarg_segment_ptr 1
		.amdhsa_user_sgpr_dispatch_id 0
		.amdhsa_user_sgpr_flat_scratch_init 0
		.amdhsa_user_sgpr_private_segment_size 0
		.amdhsa_uses_dynamic_stack 0
		.amdhsa_system_sgpr_private_segment_wavefront_offset 0
		.amdhsa_system_sgpr_workgroup_id_x 1
		.amdhsa_system_sgpr_workgroup_id_y 0
		.amdhsa_system_sgpr_workgroup_id_z 0
		.amdhsa_system_sgpr_workgroup_info 0
		.amdhsa_system_vgpr_workitem_id 0
		.amdhsa_next_free_vgpr 12
		.amdhsa_next_free_sgpr 44
		.amdhsa_reserve_vcc 1
		.amdhsa_reserve_flat_scratch 0
		.amdhsa_float_round_mode_32 0
		.amdhsa_float_round_mode_16_64 0
		.amdhsa_float_denorm_mode_32 3
		.amdhsa_float_denorm_mode_16_64 3
		.amdhsa_dx10_clamp 1
		.amdhsa_ieee_mode 1
		.amdhsa_fp16_overflow 0
		.amdhsa_exception_fp_ieee_invalid_op 0
		.amdhsa_exception_fp_denorm_src 0
		.amdhsa_exception_fp_ieee_div_zero 0
		.amdhsa_exception_fp_ieee_overflow 0
		.amdhsa_exception_fp_ieee_underflow 0
		.amdhsa_exception_fp_ieee_inexact 0
		.amdhsa_exception_int_div_zero 0
	.end_amdhsa_kernel
	.section	.text._ZN2at6native32elementwise_kernel_manual_unrollILi128ELi4EZNS0_15gpu_kernel_implIZZZNS0_16asin_kernel_cudaERNS_18TensorIteratorBaseEENKUlvE0_clEvENKUlvE2_clEvEUlN3c108BFloat16EE_EEvS4_RKT_EUlibE_EEviT1_,"axG",@progbits,_ZN2at6native32elementwise_kernel_manual_unrollILi128ELi4EZNS0_15gpu_kernel_implIZZZNS0_16asin_kernel_cudaERNS_18TensorIteratorBaseEENKUlvE0_clEvENKUlvE2_clEvEUlN3c108BFloat16EE_EEvS4_RKT_EUlibE_EEviT1_,comdat
.Lfunc_end63:
	.size	_ZN2at6native32elementwise_kernel_manual_unrollILi128ELi4EZNS0_15gpu_kernel_implIZZZNS0_16asin_kernel_cudaERNS_18TensorIteratorBaseEENKUlvE0_clEvENKUlvE2_clEvEUlN3c108BFloat16EE_EEvS4_RKT_EUlibE_EEviT1_, .Lfunc_end63-_ZN2at6native32elementwise_kernel_manual_unrollILi128ELi4EZNS0_15gpu_kernel_implIZZZNS0_16asin_kernel_cudaERNS_18TensorIteratorBaseEENKUlvE0_clEvENKUlvE2_clEvEUlN3c108BFloat16EE_EEvS4_RKT_EUlibE_EEviT1_
                                        ; -- End function
	.set _ZN2at6native32elementwise_kernel_manual_unrollILi128ELi4EZNS0_15gpu_kernel_implIZZZNS0_16asin_kernel_cudaERNS_18TensorIteratorBaseEENKUlvE0_clEvENKUlvE2_clEvEUlN3c108BFloat16EE_EEvS4_RKT_EUlibE_EEviT1_.num_vgpr, 12
	.set _ZN2at6native32elementwise_kernel_manual_unrollILi128ELi4EZNS0_15gpu_kernel_implIZZZNS0_16asin_kernel_cudaERNS_18TensorIteratorBaseEENKUlvE0_clEvENKUlvE2_clEvEUlN3c108BFloat16EE_EEvS4_RKT_EUlibE_EEviT1_.num_agpr, 0
	.set _ZN2at6native32elementwise_kernel_manual_unrollILi128ELi4EZNS0_15gpu_kernel_implIZZZNS0_16asin_kernel_cudaERNS_18TensorIteratorBaseEENKUlvE0_clEvENKUlvE2_clEvEUlN3c108BFloat16EE_EEvS4_RKT_EUlibE_EEviT1_.numbered_sgpr, 44
	.set _ZN2at6native32elementwise_kernel_manual_unrollILi128ELi4EZNS0_15gpu_kernel_implIZZZNS0_16asin_kernel_cudaERNS_18TensorIteratorBaseEENKUlvE0_clEvENKUlvE2_clEvEUlN3c108BFloat16EE_EEvS4_RKT_EUlibE_EEviT1_.num_named_barrier, 0
	.set _ZN2at6native32elementwise_kernel_manual_unrollILi128ELi4EZNS0_15gpu_kernel_implIZZZNS0_16asin_kernel_cudaERNS_18TensorIteratorBaseEENKUlvE0_clEvENKUlvE2_clEvEUlN3c108BFloat16EE_EEvS4_RKT_EUlibE_EEviT1_.private_seg_size, 0
	.set _ZN2at6native32elementwise_kernel_manual_unrollILi128ELi4EZNS0_15gpu_kernel_implIZZZNS0_16asin_kernel_cudaERNS_18TensorIteratorBaseEENKUlvE0_clEvENKUlvE2_clEvEUlN3c108BFloat16EE_EEvS4_RKT_EUlibE_EEviT1_.uses_vcc, 1
	.set _ZN2at6native32elementwise_kernel_manual_unrollILi128ELi4EZNS0_15gpu_kernel_implIZZZNS0_16asin_kernel_cudaERNS_18TensorIteratorBaseEENKUlvE0_clEvENKUlvE2_clEvEUlN3c108BFloat16EE_EEvS4_RKT_EUlibE_EEviT1_.uses_flat_scratch, 0
	.set _ZN2at6native32elementwise_kernel_manual_unrollILi128ELi4EZNS0_15gpu_kernel_implIZZZNS0_16asin_kernel_cudaERNS_18TensorIteratorBaseEENKUlvE0_clEvENKUlvE2_clEvEUlN3c108BFloat16EE_EEvS4_RKT_EUlibE_EEviT1_.has_dyn_sized_stack, 0
	.set _ZN2at6native32elementwise_kernel_manual_unrollILi128ELi4EZNS0_15gpu_kernel_implIZZZNS0_16asin_kernel_cudaERNS_18TensorIteratorBaseEENKUlvE0_clEvENKUlvE2_clEvEUlN3c108BFloat16EE_EEvS4_RKT_EUlibE_EEviT1_.has_recursion, 0
	.set _ZN2at6native32elementwise_kernel_manual_unrollILi128ELi4EZNS0_15gpu_kernel_implIZZZNS0_16asin_kernel_cudaERNS_18TensorIteratorBaseEENKUlvE0_clEvENKUlvE2_clEvEUlN3c108BFloat16EE_EEvS4_RKT_EUlibE_EEviT1_.has_indirect_call, 0
	.section	.AMDGPU.csdata,"",@progbits
; Kernel info:
; codeLenInByte = 39020
; TotalNumSgprs: 48
; NumVgprs: 12
; ScratchSize: 0
; MemoryBound: 0
; FloatMode: 240
; IeeeMode: 1
; LDSByteSize: 0 bytes/workgroup (compile time only)
; SGPRBlocks: 5
; VGPRBlocks: 2
; NumSGPRsForWavesPerEU: 48
; NumVGPRsForWavesPerEU: 12
; Occupancy: 10
; WaveLimiterHint : 0
; COMPUTE_PGM_RSRC2:SCRATCH_EN: 0
; COMPUTE_PGM_RSRC2:USER_SGPR: 6
; COMPUTE_PGM_RSRC2:TRAP_HANDLER: 0
; COMPUTE_PGM_RSRC2:TGID_X_EN: 1
; COMPUTE_PGM_RSRC2:TGID_Y_EN: 0
; COMPUTE_PGM_RSRC2:TGID_Z_EN: 0
; COMPUTE_PGM_RSRC2:TIDIG_COMP_CNT: 0
	.section	.text._ZN2at6native32elementwise_kernel_manual_unrollILi128ELi4EZNS0_15gpu_kernel_implIZZZNS0_16asin_kernel_cudaERNS_18TensorIteratorBaseEENKUlvE0_clEvENKUlvE2_clEvEUlN3c108BFloat16EE_EEvS4_RKT_EUlibE0_EEviT1_,"axG",@progbits,_ZN2at6native32elementwise_kernel_manual_unrollILi128ELi4EZNS0_15gpu_kernel_implIZZZNS0_16asin_kernel_cudaERNS_18TensorIteratorBaseEENKUlvE0_clEvENKUlvE2_clEvEUlN3c108BFloat16EE_EEvS4_RKT_EUlibE0_EEviT1_,comdat
	.globl	_ZN2at6native32elementwise_kernel_manual_unrollILi128ELi4EZNS0_15gpu_kernel_implIZZZNS0_16asin_kernel_cudaERNS_18TensorIteratorBaseEENKUlvE0_clEvENKUlvE2_clEvEUlN3c108BFloat16EE_EEvS4_RKT_EUlibE0_EEviT1_ ; -- Begin function _ZN2at6native32elementwise_kernel_manual_unrollILi128ELi4EZNS0_15gpu_kernel_implIZZZNS0_16asin_kernel_cudaERNS_18TensorIteratorBaseEENKUlvE0_clEvENKUlvE2_clEvEUlN3c108BFloat16EE_EEvS4_RKT_EUlibE0_EEviT1_
	.p2align	8
	.type	_ZN2at6native32elementwise_kernel_manual_unrollILi128ELi4EZNS0_15gpu_kernel_implIZZZNS0_16asin_kernel_cudaERNS_18TensorIteratorBaseEENKUlvE0_clEvENKUlvE2_clEvEUlN3c108BFloat16EE_EEvS4_RKT_EUlibE0_EEviT1_,@function
_ZN2at6native32elementwise_kernel_manual_unrollILi128ELi4EZNS0_15gpu_kernel_implIZZZNS0_16asin_kernel_cudaERNS_18TensorIteratorBaseEENKUlvE0_clEvENKUlvE2_clEvEUlN3c108BFloat16EE_EEvS4_RKT_EUlibE0_EEviT1_: ; @_ZN2at6native32elementwise_kernel_manual_unrollILi128ELi4EZNS0_15gpu_kernel_implIZZZNS0_16asin_kernel_cudaERNS_18TensorIteratorBaseEENKUlvE0_clEvENKUlvE2_clEvEUlN3c108BFloat16EE_EEvS4_RKT_EUlibE0_EEviT1_
; %bb.0:
	s_load_dword s70, s[4:5], 0x0
	s_load_dword s33, s[4:5], 0x8
	s_add_u32 s34, s4, 8
	s_addc_u32 s35, s5, 0
	v_lshl_or_b32 v8, s6, 9, v0
	v_or_b32_e32 v15, 0x180, v8
	s_waitcnt lgkmcnt(0)
	s_add_i32 s72, s33, -1
	s_cmp_gt_u32 s72, 1
	v_cmp_le_i32_e32 vcc, s70, v15
	s_cselect_b64 s[40:41], -1, 0
	s_mov_b64 s[6:7], 0
	s_mov_b64 s[28:29], 0
	s_and_saveexec_b64 s[0:1], vcc
	s_xor_b64 s[42:43], exec, s[0:1]
	s_cbranch_execz .LBB64_1086
; %bb.1:
	v_mov_b32_e32 v0, 0
	global_load_ushort v0, v0, s[34:35] offset:345
	s_load_dwordx4 s[36:39], s[34:35], 0x4
	s_load_dwordx2 s[44:45], s[34:35], 0x14
	s_load_dwordx4 s[28:31], s[34:35], 0xc4
	s_load_dwordx4 s[24:27], s[34:35], 0x148
	s_cmp_lg_u32 s33, 0
	s_cselect_b64 s[50:51], -1, 0
	s_add_u32 s48, s34, 0xc4
	s_addc_u32 s49, s35, 0
	s_min_u32 s75, s72, 15
	s_cmp_gt_u32 s33, 1
	s_cselect_b64 s[46:47], -1, 0
	v_cmp_gt_i32_e32 vcc, s70, v8
	s_mov_b64 s[2:3], -1
	s_mov_b64 s[60:61], 0
	s_mov_b64 s[54:55], 0
	;; [unrolled: 1-line block ×3, first 2 shown]
	s_waitcnt vmcnt(0)
	v_readfirstlane_b32 s73, v0
	s_and_b32 s0, 0xffff, s73
	s_lshr_b32 s74, s0, 8
	s_and_saveexec_b64 s[56:57], vcc
	s_cbranch_execz .LBB64_266
; %bb.2:
	s_andn2_b64 vcc, exec, s[40:41]
	s_cbranch_vccnz .LBB64_7
; %bb.3:
	s_andn2_b64 vcc, exec, s[50:51]
	s_cbranch_vccnz .LBB64_8
; %bb.4:
	s_add_i32 s59, s75, 1
	s_cmp_eq_u32 s72, 2
	s_cbranch_scc1 .LBB64_9
; %bb.5:
	s_and_b32 s58, s59, 28
	v_mov_b32_e32 v2, 0
	s_mov_b32 s62, 0
	s_mov_b64 s[52:53], s[34:35]
	s_mov_b64 s[54:55], s[48:49]
	v_mov_b32_e32 v0, 0
	v_mov_b32_e32 v1, v8
.LBB64_6:                               ; =>This Inner Loop Header: Depth=1
	s_load_dwordx8 s[16:23], s[52:53], 0x4
	s_load_dwordx4 s[0:3], s[52:53], 0x24
	s_load_dwordx8 s[8:15], s[54:55], 0x0
	s_add_u32 s52, s52, 48
	s_addc_u32 s53, s53, 0
	s_waitcnt lgkmcnt(0)
	v_mul_hi_u32 v3, s17, v1
	s_add_i32 s62, s62, 4
	s_add_u32 s54, s54, 32
	s_addc_u32 s55, s55, 0
	v_add_u32_e32 v3, v1, v3
	v_lshrrev_b32_e32 v3, s18, v3
	v_mul_lo_u32 v4, v3, s16
	v_mul_hi_u32 v5, s20, v3
	s_cmp_lg_u32 s58, s62
	v_sub_u32_e32 v1, v1, v4
	v_add_u32_e32 v4, v3, v5
	v_mul_lo_u32 v5, v1, s8
	v_mul_lo_u32 v6, v1, s9
	v_lshrrev_b32_e32 v1, s21, v4
	v_mul_lo_u32 v4, v1, s19
	v_mul_hi_u32 v7, s23, v1
	v_sub_u32_e32 v3, v3, v4
	v_add_u32_e32 v4, v1, v7
	v_lshrrev_b32_e32 v4, s0, v4
	v_mul_hi_u32 v9, s2, v4
	v_mul_lo_u32 v10, v4, s22
	v_mul_lo_u32 v7, v3, s10
	;; [unrolled: 1-line block ×3, first 2 shown]
	v_sub_u32_e32 v10, v1, v10
	v_add_u32_e32 v1, v4, v9
	v_lshrrev_b32_e32 v1, s3, v1
	v_mul_lo_u32 v9, v1, s1
	v_mul_lo_u32 v11, v10, s12
	;; [unrolled: 1-line block ×3, first 2 shown]
	v_add3_u32 v0, v5, v0, v7
	v_sub_u32_e32 v4, v4, v9
	v_mul_lo_u32 v9, v4, s14
	v_mul_lo_u32 v4, v4, s15
	v_add3_u32 v2, v6, v2, v3
	v_add3_u32 v0, v11, v0, v9
	v_add3_u32 v2, v10, v2, v4
	s_cbranch_scc1 .LBB64_6
	s_branch .LBB64_10
.LBB64_7:
                                        ; implicit-def: $vgpr0
                                        ; implicit-def: $vgpr2
	s_branch .LBB64_14
.LBB64_8:
	v_mov_b32_e32 v0, 0
	v_mov_b32_e32 v2, 0
	s_branch .LBB64_13
.LBB64_9:
	s_mov_b32 s58, 0
	v_mov_b32_e32 v0, 0
	v_mov_b32_e32 v2, 0
	;; [unrolled: 1-line block ×3, first 2 shown]
.LBB64_10:
	s_and_b32 s8, s59, 3
	s_cmp_eq_u32 s8, 0
	s_cbranch_scc1 .LBB64_13
; %bb.11:
	s_lshl_b32 s0, s58, 3
	s_add_u32 s0, s34, s0
	s_addc_u32 s1, s35, 0
	s_add_u32 s0, s0, 0xc4
	s_addc_u32 s1, s1, 0
	s_mul_i32 s2, s58, 12
	s_add_u32 s2, s34, s2
	s_addc_u32 s3, s35, 0
.LBB64_12:                              ; =>This Inner Loop Header: Depth=1
	s_load_dwordx2 s[10:11], s[2:3], 0x4
	s_load_dword s9, s[2:3], 0xc
	s_load_dwordx2 s[12:13], s[0:1], 0x0
	s_add_u32 s2, s2, 12
	s_addc_u32 s3, s3, 0
	s_waitcnt lgkmcnt(0)
	v_mul_hi_u32 v3, s11, v1
	s_add_u32 s0, s0, 8
	s_addc_u32 s1, s1, 0
	s_add_i32 s8, s8, -1
	v_add_u32_e32 v3, v1, v3
	v_lshrrev_b32_e32 v4, s9, v3
	v_mul_lo_u32 v3, v4, s10
	s_cmp_lg_u32 s8, 0
	v_sub_u32_e32 v3, v1, v3
	v_mad_u64_u32 v[0:1], s[10:11], v3, s12, v[0:1]
	v_mad_u64_u32 v[2:3], s[10:11], v3, s13, v[2:3]
	v_mov_b32_e32 v1, v4
	s_cbranch_scc1 .LBB64_12
.LBB64_13:
	s_cbranch_execnz .LBB64_16
.LBB64_14:
	s_waitcnt lgkmcnt(0)
	v_mul_hi_u32 v0, s37, v8
	s_andn2_b64 vcc, exec, s[46:47]
	v_add_u32_e32 v0, v8, v0
	v_lshrrev_b32_e32 v1, s38, v0
	v_mul_lo_u32 v0, v1, s36
	v_sub_u32_e32 v2, v8, v0
	v_mul_lo_u32 v0, v2, s28
	v_mul_lo_u32 v2, v2, s29
	s_cbranch_vccnz .LBB64_16
; %bb.15:
	v_mul_hi_u32 v3, s44, v1
	v_add_u32_e32 v3, v1, v3
	v_lshrrev_b32_e32 v3, s45, v3
	v_mul_lo_u32 v3, v3, s39
	v_sub_u32_e32 v3, v1, v3
	v_mad_u64_u32 v[0:1], s[0:1], v3, s30, v[0:1]
	v_mad_u64_u32 v[2:3], s[0:1], v3, s31, v[2:3]
.LBB64_16:
	s_waitcnt lgkmcnt(0)
	v_mov_b32_e32 v3, s27
	s_and_b32 s12, 0xffff, s74
	v_add_co_u32_e32 v1, vcc, s26, v2
	s_cmp_lt_i32 s12, 11
	v_addc_co_u32_e32 v2, vcc, 0, v3, vcc
	s_cbranch_scc1 .LBB64_23
; %bb.17:
	s_cmp_gt_i32 s12, 25
	s_cbranch_scc0 .LBB64_32
; %bb.18:
	s_cmp_gt_i32 s12, 28
	s_cbranch_scc0 .LBB64_35
	;; [unrolled: 3-line block ×4, first 2 shown]
; %bb.21:
	s_cmp_eq_u32 s12, 46
	s_mov_b64 s[8:9], 0
	s_cbranch_scc0 .LBB64_41
; %bb.22:
	global_load_dword v3, v[1:2], off
	s_mov_b64 s[0:1], -1
	s_mov_b64 s[2:3], 0
	s_branch .LBB64_43
.LBB64_23:
	s_mov_b64 s[2:3], 0
                                        ; implicit-def: $vgpr3
	s_mov_b64 s[0:1], 0
	s_cbranch_execnz .LBB64_216
.LBB64_24:
	s_andn2_b64 vcc, exec, s[0:1]
	s_cbranch_vccnz .LBB64_263
.LBB64_25:
	s_waitcnt vmcnt(0)
	v_lshlrev_b32_e32 v1, 16, v3
	v_fma_f32 v2, |v1|, -0.5, 0.5
	v_mul_f32_e32 v3, v1, v1
	v_cmp_ge_f32_e64 vcc, |v1|, 0.5
	v_cndmask_b32_e32 v2, v3, v2, vcc
	v_mov_b32_e32 v3, 0x3c5fc5da
	v_fmac_f32_e32 v3, 0x3d1c21a7, v2
	v_mov_b32_e32 v4, 0x3d034c3c
	v_fmac_f32_e32 v4, v2, v3
	;; [unrolled: 2-line block ×4, first 2 shown]
	v_sqrt_f32_e32 v3, v2
	v_mov_b32_e32 v5, 0x3e2aaaac
	v_fmac_f32_e32 v5, v2, v4
	v_mul_f32_e32 v2, v2, v5
	v_fmac_f32_e32 v3, v3, v2
	v_add_f32_e32 v3, v3, v3
	v_sub_f32_e32 v3, 0x3fc90fdb, v3
	v_fma_f32 v2, |v1|, v2, |v1|
	v_cmp_lt_f32_e64 vcc, |v1|, 0.5
	v_cndmask_b32_e32 v2, v3, v2, vcc
	s_brev_b32 s0, -2
	v_bfi_b32 v1, s0, v2, v1
	v_bfe_u32 v2, v1, 16, 1
	s_movk_i32 s0, 0x7fff
	v_add3_u32 v2, v1, v2, s0
	v_cmp_o_f32_e32 vcc, v1, v1
	v_mov_b32_e32 v1, 0x7fc0
	v_cndmask_b32_sdwa v2, v1, v2, vcc dst_sel:DWORD dst_unused:UNUSED_PAD src0_sel:DWORD src1_sel:WORD_1
	v_mov_b32_e32 v1, s25
	s_and_b32 s14, s73, 0xff
	v_add_co_u32_e32 v0, vcc, s24, v0
	s_cmp_lt_i32 s14, 11
	v_addc_co_u32_e32 v1, vcc, 0, v1, vcc
	s_cbranch_scc1 .LBB64_33
; %bb.26:
	s_and_b32 s15, 0xffff, s14
	s_cmp_gt_i32 s15, 25
	s_cbranch_scc0 .LBB64_36
; %bb.27:
	s_cmp_gt_i32 s15, 28
	s_cbranch_scc0 .LBB64_38
; %bb.28:
	;; [unrolled: 3-line block ×4, first 2 shown]
	s_mov_b64 s[10:11], 0
	s_mov_b64 s[0:1], -1
	s_cmp_eq_u32 s15, 46
	s_mov_b64 s[8:9], 0
	s_cbranch_scc0 .LBB64_47
; %bb.31:
	v_and_b32_e32 v3, 0xffff, v2
	global_store_dword v[0:1], v3, off
	s_mov_b64 s[8:9], -1
	s_mov_b64 s[0:1], 0
	s_branch .LBB64_47
.LBB64_32:
	s_mov_b64 s[2:3], 0
	s_mov_b64 s[0:1], 0
                                        ; implicit-def: $vgpr3
	s_cbranch_execnz .LBB64_181
	s_branch .LBB64_215
.LBB64_33:
	s_mov_b64 s[0:1], 0
	s_mov_b64 s[8:9], 0
	s_cbranch_execnz .LBB64_116
.LBB64_34:
	s_andn2_b64 vcc, exec, s[8:9]
	s_cbranch_vccnz .LBB64_264
	s_branch .LBB64_154
.LBB64_35:
	s_mov_b64 s[8:9], -1
	s_mov_b64 s[2:3], 0
	s_mov_b64 s[0:1], 0
                                        ; implicit-def: $vgpr3
	s_branch .LBB64_162
.LBB64_36:
	s_mov_b64 s[10:11], -1
	s_mov_b64 s[0:1], 0
	s_mov_b64 s[8:9], 0
	s_branch .LBB64_74
.LBB64_37:
	s_mov_b64 s[8:9], -1
	s_mov_b64 s[2:3], 0
	s_mov_b64 s[0:1], 0
                                        ; implicit-def: $vgpr3
	s_branch .LBB64_157
.LBB64_38:
	s_mov_b64 s[10:11], -1
	s_mov_b64 s[0:1], 0
	s_mov_b64 s[8:9], 0
	s_branch .LBB64_57
.LBB64_39:
	s_mov_b64 s[8:9], -1
	s_mov_b64 s[2:3], 0
	s_branch .LBB64_42
.LBB64_40:
	s_mov_b64 s[10:11], -1
	s_mov_b64 s[0:1], 0
	s_mov_b64 s[8:9], 0
	s_branch .LBB64_53
.LBB64_41:
	s_mov_b64 s[2:3], -1
.LBB64_42:
	s_mov_b64 s[0:1], 0
                                        ; implicit-def: $vgpr3
.LBB64_43:
	s_and_b64 vcc, exec, s[8:9]
	s_cbranch_vccz .LBB64_156
; %bb.44:
	s_cmp_eq_u32 s12, 44
	s_cbranch_scc0 .LBB64_155
; %bb.45:
	global_load_ubyte v3, v[1:2], off
	s_movk_i32 s2, 0xff
	v_mov_b32_e32 v4, 0x7f800001
	v_mov_b32_e32 v5, 0x400000
	;; [unrolled: 1-line block ×3, first 2 shown]
	s_mov_b64 s[0:1], -1
	s_waitcnt vmcnt(0)
	v_lshlrev_b32_e32 v7, 23, v3
	v_cmp_ne_u32_e32 vcc, s2, v3
	v_cndmask_b32_e32 v4, v4, v7, vcc
	v_cmp_ne_u32_e32 vcc, 0, v3
	v_cndmask_b32_e32 v3, v5, v4, vcc
	v_add_u32_e32 v4, 0x7fff, v3
	v_cmp_o_f32_e32 vcc, v3, v3
	v_cndmask_b32_sdwa v3, v6, v4, vcc dst_sel:DWORD dst_unused:UNUSED_PAD src0_sel:DWORD src1_sel:WORD_1
	s_mov_b64 s[2:3], 0
	s_branch .LBB64_156
.LBB64_46:
	s_mov_b64 s[10:11], -1
	s_mov_b64 s[0:1], 0
	s_mov_b64 s[8:9], 0
.LBB64_47:
	s_and_b64 vcc, exec, s[10:11]
	s_cbranch_vccz .LBB64_52
; %bb.48:
	s_cmp_eq_u32 s15, 44
	s_mov_b64 s[0:1], -1
	s_cbranch_scc0 .LBB64_52
; %bb.49:
	v_and_b32_e32 v4, 0xffff, v2
	v_bfe_u32 v3, v4, 7, 8
	s_movk_i32 s0, 0xff
	v_cmp_ne_u32_e32 vcc, s0, v3
	v_mov_b32_e32 v5, 0xff
	s_and_saveexec_b64 s[8:9], vcc
	s_cbranch_execz .LBB64_51
; %bb.50:
	v_lshlrev_b32_e32 v6, 16, v4
	s_mov_b32 s0, 0x3f0000
	v_lshrrev_b32_e32 v5, 7, v4
	v_and_b32_e32 v4, 64, v4
	v_and_or_b32 v3, v6, s0, v3
	v_cmp_ne_u32_e32 vcc, 0, v4
	v_cmp_ne_u32_e64 s[0:1], 0, v3
	s_and_b64 s[0:1], vcc, s[0:1]
	v_cndmask_b32_e64 v3, 0, 1, s[0:1]
	v_add_u32_e32 v5, v5, v3
.LBB64_51:
	s_or_b64 exec, exec, s[8:9]
	s_mov_b64 s[8:9], -1
	s_mov_b64 s[0:1], 0
	global_store_byte v[0:1], v5, off
.LBB64_52:
	s_mov_b64 s[10:11], 0
.LBB64_53:
	s_and_b64 vcc, exec, s[10:11]
	s_cbranch_vccz .LBB64_56
; %bb.54:
	s_cmp_eq_u32 s15, 29
	s_mov_b64 s[0:1], -1
	s_cbranch_scc0 .LBB64_56
; %bb.55:
	v_lshlrev_b32_e32 v3, 16, v2
	v_trunc_f32_e32 v3, v3
	v_mul_f32_e32 v4, 0x2f800000, v3
	v_floor_f32_e32 v5, v4
	v_fmac_f32_e32 v3, 0xcf800000, v5
	v_cvt_u32_f32_e32 v4, v5
	v_cvt_u32_f32_e32 v3, v3
	s_mov_b64 s[8:9], -1
	s_mov_b64 s[0:1], 0
	s_mov_b64 s[10:11], 0
	global_store_dwordx2 v[0:1], v[3:4], off
	s_branch .LBB64_57
.LBB64_56:
	s_mov_b64 s[10:11], 0
.LBB64_57:
	s_and_b64 vcc, exec, s[10:11]
	s_cbranch_vccz .LBB64_73
; %bb.58:
	s_cmp_lt_i32 s15, 27
	s_mov_b64 s[8:9], -1
	s_cbranch_scc1 .LBB64_64
; %bb.59:
	s_cmp_gt_i32 s15, 27
	s_cbranch_scc0 .LBB64_61
; %bb.60:
	v_lshlrev_b32_e32 v3, 16, v2
	v_cvt_u32_f32_e32 v3, v3
	s_mov_b64 s[8:9], 0
	global_store_dword v[0:1], v3, off
.LBB64_61:
	s_andn2_b64 vcc, exec, s[8:9]
	s_cbranch_vccnz .LBB64_63
; %bb.62:
	v_lshlrev_b32_e32 v3, 16, v2
	v_cvt_u32_f32_e32 v3, v3
	global_store_short v[0:1], v3, off
.LBB64_63:
	s_mov_b64 s[8:9], 0
.LBB64_64:
	s_andn2_b64 vcc, exec, s[8:9]
	s_cbranch_vccnz .LBB64_72
; %bb.65:
	v_lshlrev_b32_e32 v5, 16, v2
	v_and_b32_e32 v4, 0x7fffffff, v5
	s_mov_b32 s8, 0x43800000
	v_cmp_gt_u32_e32 vcc, s8, v4
	v_mov_b32_e32 v6, 0x80
	s_and_saveexec_b64 s[8:9], vcc
	s_cbranch_execz .LBB64_71
; %bb.66:
	s_mov_b32 s10, 0x3bffffff
	v_and_b32_e32 v3, 0xffff, v2
	v_cmp_lt_u32_e32 vcc, s10, v4
	s_mov_b64 s[10:11], 0
                                        ; implicit-def: $vgpr4
	s_and_saveexec_b64 s[12:13], vcc
	s_xor_b64 s[12:13], exec, s[12:13]
	s_cbranch_execz .LBB64_307
; %bb.67:
	v_bfe_u32 v4, v3, 4, 1
	s_mov_b32 s16, 0x487ffff
	v_add3_u32 v4, v5, v4, s16
	s_mov_b64 s[10:11], exec
	v_lshrrev_b32_e32 v4, 20, v4
                                        ; implicit-def: $vgpr5
	s_andn2_saveexec_b64 s[12:13], s[12:13]
	s_cbranch_execnz .LBB64_308
.LBB64_68:
	s_or_b64 exec, exec, s[12:13]
	v_mov_b32_e32 v6, 0
	s_and_saveexec_b64 s[12:13], s[10:11]
.LBB64_69:
	v_lshrrev_b32_e32 v3, 8, v3
	s_movk_i32 s10, 0x80
	v_and_or_b32 v6, v3, s10, v4
.LBB64_70:
	s_or_b64 exec, exec, s[12:13]
.LBB64_71:
	s_or_b64 exec, exec, s[8:9]
	global_store_byte v[0:1], v6, off
.LBB64_72:
	s_mov_b64 s[8:9], -1
.LBB64_73:
	s_mov_b64 s[10:11], 0
.LBB64_74:
	s_and_b64 vcc, exec, s[10:11]
	s_cbranch_vccz .LBB64_115
; %bb.75:
	s_cmp_gt_i32 s15, 22
	s_mov_b64 s[10:11], -1
	s_cbranch_scc0 .LBB64_107
; %bb.76:
	s_cmp_lt_i32 s15, 24
	s_mov_b64 s[8:9], -1
	s_cbranch_scc1 .LBB64_96
; %bb.77:
	s_cmp_gt_i32 s15, 24
	s_cbranch_scc0 .LBB64_85
; %bb.78:
	v_lshlrev_b32_e32 v5, 16, v2
	v_and_b32_e32 v4, 0x7fffffff, v5
	s_mov_b32 s8, 0x47800000
	v_cmp_gt_u32_e32 vcc, s8, v4
	v_mov_b32_e32 v6, 0x80
	s_and_saveexec_b64 s[8:9], vcc
	s_cbranch_execz .LBB64_84
; %bb.79:
	s_mov_b32 s10, 0x37ffffff
	v_and_b32_e32 v3, 0xffff, v2
	v_cmp_lt_u32_e32 vcc, s10, v4
	s_mov_b64 s[10:11], 0
                                        ; implicit-def: $vgpr4
	s_and_saveexec_b64 s[12:13], vcc
	s_xor_b64 s[12:13], exec, s[12:13]
	s_cbranch_execz .LBB64_311
; %bb.80:
	v_bfe_u32 v4, v3, 5, 1
	s_mov_b32 s16, 0x88fffff
	v_add3_u32 v4, v5, v4, s16
	s_mov_b64 s[10:11], exec
	v_lshrrev_b32_e32 v4, 21, v4
                                        ; implicit-def: $vgpr5
	s_andn2_saveexec_b64 s[12:13], s[12:13]
	s_cbranch_execnz .LBB64_312
.LBB64_81:
	s_or_b64 exec, exec, s[12:13]
	v_mov_b32_e32 v6, 0
	s_and_saveexec_b64 s[12:13], s[10:11]
.LBB64_82:
	v_lshrrev_b32_e32 v3, 8, v3
	s_movk_i32 s10, 0x80
	v_and_or_b32 v6, v3, s10, v4
.LBB64_83:
	s_or_b64 exec, exec, s[12:13]
.LBB64_84:
	s_or_b64 exec, exec, s[8:9]
	s_mov_b64 s[8:9], 0
	global_store_byte v[0:1], v6, off
.LBB64_85:
	s_and_b64 vcc, exec, s[8:9]
	s_cbranch_vccz .LBB64_95
; %bb.86:
	v_lshlrev_b32_e32 v5, 16, v2
	v_and_b32_e32 v6, 0x7fffffff, v5
	s_mov_b32 s8, 0x43f00000
	v_and_b32_e32 v3, 0xffff, v2
	v_cmp_gt_u32_e32 vcc, s8, v6
                                        ; implicit-def: $vgpr4
	s_and_saveexec_b64 s[8:9], vcc
	s_xor_b64 s[8:9], exec, s[8:9]
	s_cbranch_execz .LBB64_92
; %bb.87:
	s_mov_b32 s10, 0x3c7fffff
	v_cmp_lt_u32_e32 vcc, s10, v6
                                        ; implicit-def: $vgpr4
	s_and_saveexec_b64 s[10:11], vcc
	s_xor_b64 s[10:11], exec, s[10:11]
; %bb.88:
	v_bfe_u32 v4, v3, 4, 1
	s_mov_b32 s12, 0x407ffff
	v_add3_u32 v4, v5, v4, s12
	v_lshrrev_b32_e32 v5, 20, v4
	v_and_b32_e32 v4, 0xff00000, v4
	s_mov_b32 s12, 0x7f00000
	v_mov_b32_e32 v6, 0x7e
	v_cmp_ne_u32_e32 vcc, s12, v4
	v_cndmask_b32_e32 v4, v6, v5, vcc
                                        ; implicit-def: $vgpr5
; %bb.89:
	s_andn2_saveexec_b64 s[10:11], s[10:11]
; %bb.90:
	s_mov_b32 s12, 0x46800000
	v_add_f32_e64 v4, |v5|, s12
; %bb.91:
	s_or_b64 exec, exec, s[10:11]
                                        ; implicit-def: $vgpr6
.LBB64_92:
	s_andn2_saveexec_b64 s[8:9], s[8:9]
; %bb.93:
	s_mov_b32 s10, 0x7f800000
	v_mov_b32_e32 v4, 0x7e
	v_mov_b32_e32 v5, 0x7f
	v_cmp_lt_u32_e32 vcc, s10, v6
	v_cndmask_b32_e32 v4, v4, v5, vcc
; %bb.94:
	s_or_b64 exec, exec, s[8:9]
	v_lshrrev_b32_e32 v3, 8, v3
	s_movk_i32 s8, 0x80
	v_and_or_b32 v3, v3, s8, v4
	global_store_byte v[0:1], v3, off
.LBB64_95:
	s_mov_b64 s[8:9], 0
.LBB64_96:
	s_andn2_b64 vcc, exec, s[8:9]
	s_cbranch_vccnz .LBB64_106
; %bb.97:
	v_lshlrev_b32_e32 v5, 16, v2
	v_and_b32_e32 v6, 0x7fffffff, v5
	s_mov_b32 s8, 0x47800000
	v_and_b32_e32 v3, 0xffff, v2
	v_cmp_gt_u32_e32 vcc, s8, v6
                                        ; implicit-def: $vgpr4
	s_and_saveexec_b64 s[8:9], vcc
	s_xor_b64 s[8:9], exec, s[8:9]
	s_cbranch_execz .LBB64_103
; %bb.98:
	s_mov_b32 s10, 0x387fffff
	v_cmp_lt_u32_e32 vcc, s10, v6
                                        ; implicit-def: $vgpr4
	s_and_saveexec_b64 s[10:11], vcc
	s_xor_b64 s[10:11], exec, s[10:11]
; %bb.99:
	v_bfe_u32 v4, v3, 5, 1
	s_mov_b32 s12, 0x80fffff
	v_add3_u32 v4, v5, v4, s12
	v_lshrrev_b32_e32 v4, 21, v4
                                        ; implicit-def: $vgpr5
; %bb.100:
	s_andn2_saveexec_b64 s[10:11], s[10:11]
; %bb.101:
	s_mov_b32 s12, 0x43000000
	v_add_f32_e64 v4, |v5|, s12
; %bb.102:
	s_or_b64 exec, exec, s[10:11]
                                        ; implicit-def: $vgpr6
.LBB64_103:
	s_andn2_saveexec_b64 s[8:9], s[8:9]
; %bb.104:
	s_mov_b32 s10, 0x7f800000
	v_mov_b32_e32 v4, 0x7c
	v_mov_b32_e32 v5, 0x7f
	v_cmp_lt_u32_e32 vcc, s10, v6
	v_cndmask_b32_e32 v4, v4, v5, vcc
; %bb.105:
	s_or_b64 exec, exec, s[8:9]
	v_lshrrev_b32_e32 v3, 8, v3
	s_movk_i32 s8, 0x80
	v_and_or_b32 v3, v3, s8, v4
	global_store_byte v[0:1], v3, off
.LBB64_106:
	s_mov_b64 s[10:11], 0
	s_mov_b64 s[8:9], -1
.LBB64_107:
	s_andn2_b64 vcc, exec, s[10:11]
	s_cbranch_vccnz .LBB64_115
; %bb.108:
	s_cmp_gt_i32 s15, 14
	s_mov_b64 s[10:11], -1
	s_cbranch_scc0 .LBB64_112
; %bb.109:
	s_cmp_eq_u32 s15, 15
	s_mov_b64 s[0:1], -1
	s_cbranch_scc0 .LBB64_111
; %bb.110:
	global_store_short v[0:1], v2, off
	s_mov_b64 s[8:9], -1
	s_mov_b64 s[0:1], 0
.LBB64_111:
	s_mov_b64 s[10:11], 0
.LBB64_112:
	s_and_b64 vcc, exec, s[10:11]
	s_cbranch_vccz .LBB64_115
; %bb.113:
	s_cmp_eq_u32 s15, 11
	s_mov_b64 s[0:1], -1
	s_cbranch_scc0 .LBB64_115
; %bb.114:
	v_and_b32_e32 v3, 0x7fff, v2
	v_cmp_ne_u16_e32 vcc, 0, v3
	v_cndmask_b32_e64 v3, 0, 1, vcc
	s_mov_b64 s[8:9], -1
	s_mov_b64 s[0:1], 0
	global_store_byte v[0:1], v3, off
.LBB64_115:
	s_branch .LBB64_34
.LBB64_116:
	s_and_b32 s10, 0xffff, s14
	s_cmp_lt_i32 s10, 5
	s_mov_b64 s[8:9], -1
	s_cbranch_scc1 .LBB64_137
; %bb.117:
	s_cmp_lt_i32 s10, 8
	s_cbranch_scc1 .LBB64_127
; %bb.118:
	s_cmp_lt_i32 s10, 9
	s_cbranch_scc1 .LBB64_124
; %bb.119:
	s_cmp_gt_i32 s10, 9
	s_cbranch_scc0 .LBB64_121
; %bb.120:
	v_lshlrev_b32_e32 v3, 16, v2
	v_cvt_f64_f32_e32 v[3:4], v3
	v_mov_b32_e32 v5, 0
	v_mov_b32_e32 v6, v5
	s_mov_b64 s[8:9], 0
	global_store_dwordx4 v[0:1], v[3:6], off
.LBB64_121:
	s_andn2_b64 vcc, exec, s[8:9]
	s_cbranch_vccnz .LBB64_123
; %bb.122:
	v_lshlrev_b32_e32 v3, 16, v2
	v_mov_b32_e32 v4, 0
	global_store_dwordx2 v[0:1], v[3:4], off
.LBB64_123:
	s_mov_b64 s[8:9], 0
.LBB64_124:
	s_andn2_b64 vcc, exec, s[8:9]
	s_cbranch_vccnz .LBB64_126
; %bb.125:
	v_lshlrev_b32_e32 v3, 16, v2
	v_cvt_f16_f32_e32 v3, v3
	global_store_dword v[0:1], v3, off
.LBB64_126:
	s_mov_b64 s[8:9], 0
.LBB64_127:
	s_andn2_b64 vcc, exec, s[8:9]
	s_cbranch_vccnz .LBB64_136
; %bb.128:
	s_cmp_lt_i32 s10, 6
	s_mov_b64 s[8:9], -1
	s_cbranch_scc1 .LBB64_134
; %bb.129:
	s_cmp_gt_i32 s10, 6
	s_cbranch_scc0 .LBB64_131
; %bb.130:
	v_lshlrev_b32_e32 v3, 16, v2
	v_cvt_f64_f32_e32 v[3:4], v3
	s_mov_b64 s[8:9], 0
	global_store_dwordx2 v[0:1], v[3:4], off
.LBB64_131:
	s_andn2_b64 vcc, exec, s[8:9]
	s_cbranch_vccnz .LBB64_133
; %bb.132:
	v_lshlrev_b32_e32 v3, 16, v2
	global_store_dword v[0:1], v3, off
.LBB64_133:
	s_mov_b64 s[8:9], 0
.LBB64_134:
	s_andn2_b64 vcc, exec, s[8:9]
	s_cbranch_vccnz .LBB64_136
; %bb.135:
	v_lshlrev_b32_e32 v3, 16, v2
	v_cvt_f16_f32_e32 v3, v3
	global_store_short v[0:1], v3, off
.LBB64_136:
	s_mov_b64 s[8:9], 0
.LBB64_137:
	s_andn2_b64 vcc, exec, s[8:9]
	s_cbranch_vccnz .LBB64_153
; %bb.138:
	s_cmp_lt_i32 s10, 2
	s_mov_b64 s[8:9], -1
	s_cbranch_scc1 .LBB64_148
; %bb.139:
	s_cmp_lt_i32 s10, 3
	s_cbranch_scc1 .LBB64_145
; %bb.140:
	s_cmp_gt_i32 s10, 3
	s_cbranch_scc0 .LBB64_142
; %bb.141:
	v_lshlrev_b32_e32 v3, 16, v2
	v_trunc_f32_e32 v3, v3
	s_mov_b32 s8, 0x2f800000
	v_mul_f32_e64 v4, |v3|, s8
	v_floor_f32_e32 v4, v4
	s_mov_b32 s8, 0xcf800000
	v_cvt_u32_f32_e32 v5, v4
	v_fma_f32 v4, v4, s8, |v3|
	v_cvt_u32_f32_e32 v4, v4
	v_ashrrev_i32_e32 v6, 31, v3
	v_xor_b32_e32 v5, v5, v6
	s_mov_b64 s[8:9], 0
	v_xor_b32_e32 v3, v4, v6
	v_sub_co_u32_e32 v3, vcc, v3, v6
	v_subb_co_u32_e32 v4, vcc, v5, v6, vcc
	global_store_dwordx2 v[0:1], v[3:4], off
.LBB64_142:
	s_andn2_b64 vcc, exec, s[8:9]
	s_cbranch_vccnz .LBB64_144
; %bb.143:
	v_lshlrev_b32_e32 v3, 16, v2
	v_cvt_i32_f32_e32 v3, v3
	global_store_dword v[0:1], v3, off
.LBB64_144:
	s_mov_b64 s[8:9], 0
.LBB64_145:
	s_andn2_b64 vcc, exec, s[8:9]
	s_cbranch_vccnz .LBB64_147
; %bb.146:
	v_lshlrev_b32_e32 v3, 16, v2
	v_cvt_i32_f32_e32 v3, v3
	global_store_short v[0:1], v3, off
.LBB64_147:
	s_mov_b64 s[8:9], 0
.LBB64_148:
	s_andn2_b64 vcc, exec, s[8:9]
	s_cbranch_vccnz .LBB64_153
; %bb.149:
	s_cmp_gt_i32 s10, 0
	s_mov_b64 s[8:9], -1
	s_cbranch_scc0 .LBB64_151
; %bb.150:
	v_lshlrev_b32_e32 v3, 16, v2
	v_cvt_i32_f32_e32 v3, v3
	s_mov_b64 s[8:9], 0
	global_store_byte v[0:1], v3, off
.LBB64_151:
	s_andn2_b64 vcc, exec, s[8:9]
	s_cbranch_vccnz .LBB64_153
; %bb.152:
	v_lshlrev_b32_e32 v2, 16, v2
	v_trunc_f32_e32 v2, v2
	s_mov_b32 s8, 0x2f800000
	v_mul_f32_e64 v3, |v2|, s8
	v_floor_f32_e32 v3, v3
	s_mov_b32 s8, 0xcf800000
	v_fma_f32 v3, v3, s8, |v2|
	v_cvt_u32_f32_e32 v3, v3
	v_ashrrev_i32_e32 v2, 31, v2
	v_xor_b32_e32 v3, v3, v2
	v_sub_u32_e32 v2, v3, v2
	global_store_byte v[0:1], v2, off
.LBB64_153:
.LBB64_154:
	v_add_u32_e32 v8, 0x80, v8
	s_mov_b64 s[8:9], -1
	s_branch .LBB64_265
.LBB64_155:
	s_mov_b64 s[2:3], -1
                                        ; implicit-def: $vgpr3
.LBB64_156:
	s_mov_b64 s[8:9], 0
.LBB64_157:
	s_and_b64 vcc, exec, s[8:9]
	s_cbranch_vccz .LBB64_161
; %bb.158:
	s_cmp_eq_u32 s12, 29
	s_cbranch_scc0 .LBB64_160
; %bb.159:
	global_load_dwordx2 v[3:4], v[1:2], off
	s_movk_i32 s2, 0x7fff
	s_mov_b64 s[0:1], -1
	s_mov_b64 s[8:9], 0
	s_waitcnt vmcnt(0)
	v_ffbh_u32_e32 v5, v4
	v_min_u32_e32 v5, 32, v5
	v_lshlrev_b64 v[3:4], v5, v[3:4]
	v_min_u32_e32 v3, 1, v3
	v_or_b32_e32 v3, v4, v3
	v_cvt_f32_u32_e32 v3, v3
	v_sub_u32_e32 v4, 32, v5
	v_ldexp_f32 v3, v3, v4
	v_bfe_u32 v4, v3, 16, 1
	v_add3_u32 v3, v3, v4, s2
	v_lshrrev_b32_e32 v3, 16, v3
	s_mov_b64 s[2:3], 0
	s_branch .LBB64_162
.LBB64_160:
	s_mov_b64 s[2:3], -1
                                        ; implicit-def: $vgpr3
.LBB64_161:
	s_mov_b64 s[8:9], 0
.LBB64_162:
	s_and_b64 vcc, exec, s[8:9]
	s_cbranch_vccz .LBB64_180
; %bb.163:
	s_cmp_lt_i32 s12, 27
	s_cbranch_scc1 .LBB64_166
; %bb.164:
	s_cmp_gt_i32 s12, 27
	s_cbranch_scc0 .LBB64_167
; %bb.165:
	global_load_dword v3, v[1:2], off
	s_movk_i32 s0, 0x7fff
	s_waitcnt vmcnt(0)
	v_cvt_f32_u32_e32 v3, v3
	v_bfe_u32 v4, v3, 16, 1
	v_add3_u32 v3, v3, v4, s0
	v_lshrrev_b32_e32 v3, 16, v3
	s_mov_b64 s[0:1], 0
	s_branch .LBB64_168
.LBB64_166:
	s_mov_b64 s[0:1], -1
                                        ; implicit-def: $vgpr3
	s_branch .LBB64_171
.LBB64_167:
	s_mov_b64 s[0:1], -1
                                        ; implicit-def: $vgpr3
.LBB64_168:
	s_andn2_b64 vcc, exec, s[0:1]
	s_cbranch_vccnz .LBB64_170
; %bb.169:
	global_load_ushort v3, v[1:2], off
	s_movk_i32 s0, 0x7fff
	s_waitcnt vmcnt(0)
	v_cvt_f32_u32_e32 v3, v3
	v_bfe_u32 v4, v3, 16, 1
	v_add3_u32 v3, v3, v4, s0
	v_lshrrev_b32_e32 v3, 16, v3
.LBB64_170:
	s_mov_b64 s[0:1], 0
.LBB64_171:
	s_andn2_b64 vcc, exec, s[0:1]
	s_cbranch_vccnz .LBB64_179
; %bb.172:
	global_load_ubyte v3, v[1:2], off
	s_movk_i32 s0, 0x7f
	s_waitcnt vmcnt(0)
	v_cmp_lt_i16_e32 vcc, s0, v3
	s_mov_b64 s[0:1], 0
	s_and_saveexec_b64 s[8:9], vcc
	s_xor_b64 s[8:9], exec, s[8:9]
	s_cbranch_execz .LBB64_192
; %bb.173:
	s_movk_i32 s0, 0x80
	v_cmp_eq_u16_e32 vcc, s0, v3
	s_mov_b64 s[0:1], -1
	s_and_saveexec_b64 s[10:11], vcc
; %bb.174:
	s_xor_b64 s[0:1], exec, -1
; %bb.175:
	s_or_b64 exec, exec, s[10:11]
	s_and_b64 s[0:1], s[0:1], exec
	s_or_saveexec_b64 s[8:9], s[8:9]
	v_mov_b32_e32 v4, 0x7f800001
	s_xor_b64 exec, exec, s[8:9]
	s_cbranch_execnz .LBB64_193
.LBB64_176:
	s_or_b64 exec, exec, s[8:9]
	s_and_saveexec_b64 s[8:9], s[0:1]
	s_cbranch_execz .LBB64_178
.LBB64_177:
	v_lshlrev_b32_e32 v4, 24, v3
	v_and_b32_e32 v3, 0xffff, v3
	v_and_b32_e32 v5, 7, v3
	v_ffbh_u32_e32 v7, v5
	v_min_u32_e32 v7, 32, v7
	v_subrev_u32_e32 v9, 28, v7
	v_bfe_u32 v6, v3, 3, 4
	v_lshlrev_b32_e32 v3, v9, v3
	v_sub_u32_e32 v7, 29, v7
	v_and_b32_e32 v3, 7, v3
	v_cmp_eq_u32_e32 vcc, 0, v6
	v_cndmask_b32_e32 v6, v6, v7, vcc
	v_cndmask_b32_e32 v3, v5, v3, vcc
	v_mov_b32_e32 v5, 0x3b800000
	v_lshlrev_b32_e32 v3, 20, v3
	v_and_b32_e32 v4, 0x80000000, v4
	v_lshl_add_u32 v5, v6, 23, v5
	v_or3_b32 v4, v4, v5, v3
.LBB64_178:
	s_or_b64 exec, exec, s[8:9]
	v_bfe_u32 v3, v4, 16, 1
	s_movk_i32 s0, 0x7fff
	v_add3_u32 v3, v4, v3, s0
	v_cmp_o_f32_e32 vcc, v4, v4
	v_mov_b32_e32 v4, 0x7fc0
	v_cndmask_b32_sdwa v3, v4, v3, vcc dst_sel:DWORD dst_unused:UNUSED_PAD src0_sel:DWORD src1_sel:WORD_1
.LBB64_179:
	s_mov_b64 s[0:1], -1
.LBB64_180:
	s_branch .LBB64_215
.LBB64_181:
	s_cmp_gt_i32 s12, 22
	s_cbranch_scc0 .LBB64_191
; %bb.182:
	s_cmp_lt_i32 s12, 24
	s_cbranch_scc1 .LBB64_194
; %bb.183:
	s_cmp_gt_i32 s12, 24
	s_cbranch_scc0 .LBB64_195
; %bb.184:
	global_load_ubyte v3, v[1:2], off
	s_movk_i32 s0, 0x7f
	s_waitcnt vmcnt(0)
	v_cmp_lt_i16_e32 vcc, s0, v3
	s_mov_b64 s[0:1], 0
	s_and_saveexec_b64 s[8:9], vcc
	s_xor_b64 s[8:9], exec, s[8:9]
	s_cbranch_execz .LBB64_207
; %bb.185:
	s_movk_i32 s0, 0x80
	v_cmp_eq_u16_e32 vcc, s0, v3
	s_mov_b64 s[0:1], -1
	s_and_saveexec_b64 s[10:11], vcc
; %bb.186:
	s_xor_b64 s[0:1], exec, -1
; %bb.187:
	s_or_b64 exec, exec, s[10:11]
	s_and_b64 s[0:1], s[0:1], exec
	s_or_saveexec_b64 s[8:9], s[8:9]
	v_mov_b32_e32 v4, 0x7f800001
	s_xor_b64 exec, exec, s[8:9]
	s_cbranch_execnz .LBB64_208
.LBB64_188:
	s_or_b64 exec, exec, s[8:9]
	s_and_saveexec_b64 s[8:9], s[0:1]
	s_cbranch_execz .LBB64_190
.LBB64_189:
	v_lshlrev_b32_e32 v4, 24, v3
	v_and_b32_e32 v3, 0xffff, v3
	v_and_b32_e32 v5, 3, v3
	v_ffbh_u32_e32 v7, v5
	v_min_u32_e32 v7, 32, v7
	v_subrev_u32_e32 v9, 29, v7
	v_bfe_u32 v6, v3, 2, 5
	v_lshlrev_b32_e32 v3, v9, v3
	v_sub_u32_e32 v7, 30, v7
	v_and_b32_e32 v3, 3, v3
	v_cmp_eq_u32_e32 vcc, 0, v6
	v_cndmask_b32_e32 v6, v6, v7, vcc
	v_cndmask_b32_e32 v3, v5, v3, vcc
	v_mov_b32_e32 v5, 0x37800000
	v_lshlrev_b32_e32 v3, 21, v3
	v_and_b32_e32 v4, 0x80000000, v4
	v_lshl_add_u32 v5, v6, 23, v5
	v_or3_b32 v4, v4, v5, v3
.LBB64_190:
	s_or_b64 exec, exec, s[8:9]
	v_bfe_u32 v3, v4, 16, 1
	s_movk_i32 s0, 0x7fff
	v_add3_u32 v3, v4, v3, s0
	v_cmp_o_f32_e32 vcc, v4, v4
	v_mov_b32_e32 v4, 0x7fc0
	v_cndmask_b32_sdwa v3, v4, v3, vcc dst_sel:DWORD dst_unused:UNUSED_PAD src0_sel:DWORD src1_sel:WORD_1
	s_mov_b64 s[0:1], 0
	s_branch .LBB64_196
.LBB64_191:
	s_mov_b64 s[8:9], -1
                                        ; implicit-def: $vgpr3
	s_branch .LBB64_202
.LBB64_192:
	s_or_saveexec_b64 s[8:9], s[8:9]
	v_mov_b32_e32 v4, 0x7f800001
	s_xor_b64 exec, exec, s[8:9]
	s_cbranch_execz .LBB64_176
.LBB64_193:
	v_cmp_ne_u16_e32 vcc, 0, v3
	s_andn2_b64 s[0:1], s[0:1], exec
	s_and_b64 s[10:11], vcc, exec
	v_mov_b32_e32 v4, 0
	s_or_b64 s[0:1], s[0:1], s[10:11]
	s_or_b64 exec, exec, s[8:9]
	s_and_saveexec_b64 s[8:9], s[0:1]
	s_cbranch_execnz .LBB64_177
	s_branch .LBB64_178
.LBB64_194:
	s_mov_b64 s[0:1], -1
                                        ; implicit-def: $vgpr3
	s_branch .LBB64_199
.LBB64_195:
	s_mov_b64 s[0:1], -1
                                        ; implicit-def: $vgpr3
.LBB64_196:
	s_and_b64 vcc, exec, s[0:1]
	s_cbranch_vccz .LBB64_198
; %bb.197:
	global_load_ubyte v3, v[1:2], off
	s_mov_b32 s0, 0x7f800000
	s_brev_b32 s1, 1
	s_movk_i32 s8, 0x7fff
	s_waitcnt vmcnt(0)
	v_lshlrev_b32_e32 v3, 24, v3
	v_and_b32_e32 v4, 0x7f000000, v3
	v_ffbh_u32_e32 v5, v4
	v_min_u32_e32 v5, 32, v5
	v_sub_u32_e64 v5, v5, 4 clamp
	v_lshlrev_b32_e32 v7, v5, v4
	v_lshlrev_b32_e32 v5, 23, v5
	v_lshrrev_b32_e32 v7, 4, v7
	v_add_u32_e32 v6, 0x1000000, v4
	v_sub_u32_e32 v5, v7, v5
	v_ashrrev_i32_e32 v6, 8, v6
	v_add_u32_e32 v5, 0x3c000000, v5
	v_and_or_b32 v5, v6, s0, v5
	v_cmp_ne_u32_e32 vcc, 0, v4
	v_cndmask_b32_e32 v4, 0, v5, vcc
	v_and_or_b32 v3, v3, s1, v4
	v_bfe_u32 v4, v4, 16, 1
	v_add3_u32 v4, v3, v4, s8
	v_cmp_o_f32_e32 vcc, v3, v3
	v_mov_b32_e32 v3, 0x7fc0
	v_cndmask_b32_sdwa v3, v3, v4, vcc dst_sel:DWORD dst_unused:UNUSED_PAD src0_sel:DWORD src1_sel:WORD_1
.LBB64_198:
	s_mov_b64 s[0:1], 0
.LBB64_199:
	s_andn2_b64 vcc, exec, s[0:1]
	s_cbranch_vccnz .LBB64_201
; %bb.200:
	global_load_ubyte v3, v[1:2], off
	s_movk_i32 s0, 0x7f00
	s_brev_b32 s1, 16
	s_brev_b32 s8, 1
	s_movk_i32 s9, 0x7fff
	s_waitcnt vmcnt(0)
	v_lshlrev_b16_e32 v4, 8, v3
	v_lshlrev_b32_e32 v3, 25, v3
	v_lshrrev_b32_e32 v5, 4, v3
	v_and_or_b32 v6, v4, s0, 0.5
	v_or_b32_e32 v5, 0x70000000, v5
	v_add_f32_e32 v6, -0.5, v6
	v_mul_f32_e32 v5, 0x7800000, v5
	v_cmp_gt_u32_e32 vcc, s1, v3
	v_bfe_i32 v4, v4, 0, 16
	v_cndmask_b32_e32 v3, v5, v6, vcc
	v_and_or_b32 v4, v4, s8, v3
	v_bfe_u32 v3, v3, 16, 1
	v_add3_u32 v3, v4, v3, s9
	v_cmp_o_f32_e32 vcc, v4, v4
	v_mov_b32_e32 v4, 0x7fc0
	v_cndmask_b32_sdwa v3, v4, v3, vcc dst_sel:DWORD dst_unused:UNUSED_PAD src0_sel:DWORD src1_sel:WORD_1
.LBB64_201:
	s_mov_b64 s[8:9], 0
	s_mov_b64 s[0:1], -1
.LBB64_202:
	s_andn2_b64 vcc, exec, s[8:9]
	s_cbranch_vccnz .LBB64_215
; %bb.203:
	s_cmp_gt_i32 s12, 14
	s_cbranch_scc0 .LBB64_206
; %bb.204:
	s_cmp_eq_u32 s12, 15
	s_cbranch_scc0 .LBB64_209
; %bb.205:
	global_load_ushort v3, v[1:2], off
	s_mov_b64 s[0:1], -1
	s_mov_b64 s[2:3], 0
	s_branch .LBB64_210
.LBB64_206:
	s_mov_b64 s[8:9], -1
                                        ; implicit-def: $vgpr3
	s_branch .LBB64_211
.LBB64_207:
	s_or_saveexec_b64 s[8:9], s[8:9]
	v_mov_b32_e32 v4, 0x7f800001
	s_xor_b64 exec, exec, s[8:9]
	s_cbranch_execz .LBB64_188
.LBB64_208:
	v_cmp_ne_u16_e32 vcc, 0, v3
	s_andn2_b64 s[0:1], s[0:1], exec
	s_and_b64 s[10:11], vcc, exec
	v_mov_b32_e32 v4, 0
	s_or_b64 s[0:1], s[0:1], s[10:11]
	s_or_b64 exec, exec, s[8:9]
	s_and_saveexec_b64 s[8:9], s[0:1]
	s_cbranch_execnz .LBB64_189
	s_branch .LBB64_190
.LBB64_209:
	s_mov_b64 s[2:3], -1
                                        ; implicit-def: $vgpr3
.LBB64_210:
	s_mov_b64 s[8:9], 0
.LBB64_211:
	s_and_b64 vcc, exec, s[8:9]
	s_cbranch_vccz .LBB64_215
; %bb.212:
	s_cmp_eq_u32 s12, 11
	s_cbranch_scc0 .LBB64_214
; %bb.213:
	global_load_ubyte v3, v[1:2], off
	s_mov_b64 s[0:1], -1
	s_mov_b64 s[2:3], 0
	s_waitcnt vmcnt(0)
	v_cmp_ne_u16_e32 vcc, 0, v3
	v_cndmask_b32_e64 v3, 0, 1.0, vcc
	v_lshrrev_b32_e32 v3, 16, v3
	s_branch .LBB64_215
.LBB64_214:
	s_mov_b64 s[2:3], -1
                                        ; implicit-def: $vgpr3
.LBB64_215:
	s_branch .LBB64_24
.LBB64_216:
	s_cmp_lt_i32 s12, 5
	s_cbranch_scc1 .LBB64_221
; %bb.217:
	s_cmp_lt_i32 s12, 8
	s_cbranch_scc1 .LBB64_222
; %bb.218:
	;; [unrolled: 3-line block ×3, first 2 shown]
	s_cmp_gt_i32 s12, 9
	s_cbranch_scc0 .LBB64_224
; %bb.220:
	global_load_dwordx2 v[3:4], v[1:2], off
	s_movk_i32 s0, 0x7fff
	s_waitcnt vmcnt(0)
	v_cvt_f32_f64_e32 v3, v[3:4]
	v_mov_b32_e32 v4, 0x7fc0
	v_bfe_u32 v5, v3, 16, 1
	v_cmp_o_f32_e32 vcc, v3, v3
	v_add3_u32 v3, v3, v5, s0
	v_cndmask_b32_sdwa v3, v4, v3, vcc dst_sel:DWORD dst_unused:UNUSED_PAD src0_sel:DWORD src1_sel:WORD_1
	s_mov_b64 s[0:1], 0
	s_branch .LBB64_225
.LBB64_221:
                                        ; implicit-def: $vgpr3
	s_branch .LBB64_243
.LBB64_222:
	s_mov_b64 s[0:1], -1
                                        ; implicit-def: $vgpr3
	s_branch .LBB64_231
.LBB64_223:
	s_mov_b64 s[0:1], -1
                                        ; implicit-def: $vgpr3
	s_branch .LBB64_228
.LBB64_224:
	s_mov_b64 s[0:1], -1
                                        ; implicit-def: $vgpr3
.LBB64_225:
	s_andn2_b64 vcc, exec, s[0:1]
	s_cbranch_vccnz .LBB64_227
; %bb.226:
	global_load_dword v3, v[1:2], off
	s_movk_i32 s0, 0x7fff
	v_mov_b32_e32 v4, 0x7fc0
	s_waitcnt vmcnt(0)
	v_bfe_u32 v5, v3, 16, 1
	v_cmp_o_f32_e32 vcc, v3, v3
	v_add3_u32 v3, v3, v5, s0
	v_cndmask_b32_sdwa v3, v4, v3, vcc dst_sel:DWORD dst_unused:UNUSED_PAD src0_sel:DWORD src1_sel:WORD_1
.LBB64_227:
	s_mov_b64 s[0:1], 0
.LBB64_228:
	s_andn2_b64 vcc, exec, s[0:1]
	s_cbranch_vccnz .LBB64_230
; %bb.229:
	global_load_dword v3, v[1:2], off
	s_movk_i32 s0, 0x7fff
	v_mov_b32_e32 v5, 0x7fc0
	s_waitcnt vmcnt(0)
	v_cvt_f32_f16_e32 v4, v3
	v_cmp_o_f16_e32 vcc, v3, v3
	v_bfe_u32 v3, v4, 16, 1
	v_add3_u32 v3, v4, v3, s0
	v_cndmask_b32_sdwa v3, v5, v3, vcc dst_sel:DWORD dst_unused:UNUSED_PAD src0_sel:DWORD src1_sel:WORD_1
.LBB64_230:
	s_mov_b64 s[0:1], 0
.LBB64_231:
	s_andn2_b64 vcc, exec, s[0:1]
	s_cbranch_vccnz .LBB64_242
; %bb.232:
	s_cmp_lt_i32 s12, 6
	s_cbranch_scc1 .LBB64_235
; %bb.233:
	s_cmp_gt_i32 s12, 6
	s_cbranch_scc0 .LBB64_236
; %bb.234:
	global_load_dwordx2 v[3:4], v[1:2], off
	s_movk_i32 s0, 0x7fff
	s_waitcnt vmcnt(0)
	v_cvt_f32_f64_e32 v3, v[3:4]
	v_mov_b32_e32 v4, 0x7fc0
	v_bfe_u32 v5, v3, 16, 1
	v_cmp_o_f32_e32 vcc, v3, v3
	v_add3_u32 v3, v3, v5, s0
	v_cndmask_b32_sdwa v3, v4, v3, vcc dst_sel:DWORD dst_unused:UNUSED_PAD src0_sel:DWORD src1_sel:WORD_1
	s_mov_b64 s[0:1], 0
	s_branch .LBB64_237
.LBB64_235:
	s_mov_b64 s[0:1], -1
                                        ; implicit-def: $vgpr3
	s_branch .LBB64_240
.LBB64_236:
	s_mov_b64 s[0:1], -1
                                        ; implicit-def: $vgpr3
.LBB64_237:
	s_andn2_b64 vcc, exec, s[0:1]
	s_cbranch_vccnz .LBB64_239
; %bb.238:
	global_load_dword v3, v[1:2], off
	s_movk_i32 s0, 0x7fff
	v_mov_b32_e32 v4, 0x7fc0
	s_waitcnt vmcnt(0)
	v_bfe_u32 v5, v3, 16, 1
	v_cmp_o_f32_e32 vcc, v3, v3
	v_add3_u32 v3, v3, v5, s0
	v_cndmask_b32_sdwa v3, v4, v3, vcc dst_sel:DWORD dst_unused:UNUSED_PAD src0_sel:DWORD src1_sel:WORD_1
.LBB64_239:
	s_mov_b64 s[0:1], 0
.LBB64_240:
	s_andn2_b64 vcc, exec, s[0:1]
	s_cbranch_vccnz .LBB64_242
; %bb.241:
	global_load_ushort v3, v[1:2], off
	s_movk_i32 s0, 0x7fff
	v_mov_b32_e32 v5, 0x7fc0
	s_waitcnt vmcnt(0)
	v_cvt_f32_f16_e32 v4, v3
	v_cmp_o_f16_e32 vcc, v3, v3
	v_bfe_u32 v3, v4, 16, 1
	v_add3_u32 v3, v4, v3, s0
	v_cndmask_b32_sdwa v3, v5, v3, vcc dst_sel:DWORD dst_unused:UNUSED_PAD src0_sel:DWORD src1_sel:WORD_1
.LBB64_242:
	s_cbranch_execnz .LBB64_262
.LBB64_243:
	s_cmp_lt_i32 s12, 2
	s_cbranch_scc1 .LBB64_247
; %bb.244:
	s_cmp_lt_i32 s12, 3
	s_cbranch_scc1 .LBB64_248
; %bb.245:
	s_cmp_gt_i32 s12, 3
	s_cbranch_scc0 .LBB64_249
; %bb.246:
	global_load_dwordx2 v[3:4], v[1:2], off
	s_movk_i32 s0, 0x7fff
	s_waitcnt vmcnt(0)
	v_xor_b32_e32 v6, v3, v4
	v_ffbh_i32_e32 v5, v4
	v_ashrrev_i32_e32 v6, 31, v6
	v_add_u32_e32 v5, -1, v5
	v_add_u32_e32 v6, 32, v6
	v_min_u32_e32 v5, v5, v6
	v_lshlrev_b64 v[3:4], v5, v[3:4]
	v_min_u32_e32 v3, 1, v3
	v_or_b32_e32 v3, v4, v3
	v_cvt_f32_i32_e32 v3, v3
	v_sub_u32_e32 v4, 32, v5
	v_ldexp_f32 v3, v3, v4
	v_bfe_u32 v4, v3, 16, 1
	v_add3_u32 v3, v3, v4, s0
	v_lshrrev_b32_e32 v3, 16, v3
	s_mov_b64 s[0:1], 0
	s_branch .LBB64_250
.LBB64_247:
	s_mov_b64 s[0:1], -1
                                        ; implicit-def: $vgpr3
	s_branch .LBB64_256
.LBB64_248:
	s_mov_b64 s[0:1], -1
                                        ; implicit-def: $vgpr3
	s_branch .LBB64_253
.LBB64_249:
	s_mov_b64 s[0:1], -1
                                        ; implicit-def: $vgpr3
.LBB64_250:
	s_andn2_b64 vcc, exec, s[0:1]
	s_cbranch_vccnz .LBB64_252
; %bb.251:
	global_load_dword v3, v[1:2], off
	s_movk_i32 s0, 0x7fff
	s_waitcnt vmcnt(0)
	v_cvt_f32_i32_e32 v3, v3
	v_bfe_u32 v4, v3, 16, 1
	v_add3_u32 v3, v3, v4, s0
	v_lshrrev_b32_e32 v3, 16, v3
.LBB64_252:
	s_mov_b64 s[0:1], 0
.LBB64_253:
	s_andn2_b64 vcc, exec, s[0:1]
	s_cbranch_vccnz .LBB64_255
; %bb.254:
	global_load_sshort v3, v[1:2], off
	s_movk_i32 s0, 0x7fff
	s_waitcnt vmcnt(0)
	v_cvt_f32_i32_e32 v3, v3
	v_bfe_u32 v4, v3, 16, 1
	v_add3_u32 v3, v3, v4, s0
	v_lshrrev_b32_e32 v3, 16, v3
.LBB64_255:
	s_mov_b64 s[0:1], 0
.LBB64_256:
	s_andn2_b64 vcc, exec, s[0:1]
	s_cbranch_vccnz .LBB64_262
; %bb.257:
	s_cmp_gt_i32 s12, 0
	s_cbranch_scc0 .LBB64_259
; %bb.258:
	global_load_sbyte v3, v[1:2], off
	s_movk_i32 s0, 0x7fff
	s_waitcnt vmcnt(0)
	v_cvt_f32_i32_e32 v3, v3
	v_bfe_u32 v4, v3, 16, 1
	v_add3_u32 v3, v3, v4, s0
	v_lshrrev_b32_e32 v3, 16, v3
	s_mov_b64 s[0:1], 0
	s_branch .LBB64_260
.LBB64_259:
	s_mov_b64 s[0:1], -1
                                        ; implicit-def: $vgpr3
.LBB64_260:
	s_andn2_b64 vcc, exec, s[0:1]
	s_cbranch_vccnz .LBB64_262
; %bb.261:
	global_load_ubyte v1, v[1:2], off
	s_movk_i32 s0, 0x7fff
	s_waitcnt vmcnt(0)
	v_cvt_f32_ubyte0_e32 v1, v1
	v_bfe_u32 v2, v1, 16, 1
	v_add3_u32 v1, v1, v2, s0
	v_lshrrev_b32_e32 v3, 16, v1
.LBB64_262:
	s_branch .LBB64_25
.LBB64_263:
	s_mov_b64 s[0:1], 0
.LBB64_264:
	s_mov_b64 s[8:9], 0
                                        ; implicit-def: $vgpr8
.LBB64_265:
	s_and_b64 s[52:53], s[0:1], exec
	s_and_b64 s[54:55], s[2:3], exec
	s_orn2_b64 s[2:3], s[8:9], exec
.LBB64_266:
	s_or_b64 exec, exec, s[56:57]
	s_mov_b64 s[10:11], 0
	s_mov_b64 s[0:1], 0
                                        ; implicit-def: $vgpr1_vgpr2
                                        ; implicit-def: $vgpr0
                                        ; implicit-def: $vgpr4
	s_and_saveexec_b64 s[56:57], s[2:3]
	s_cbranch_execz .LBB64_273
; %bb.267:
	v_cmp_gt_i32_e32 vcc, s70, v8
	s_mov_b64 s[0:1], -1
	s_mov_b64 s[58:59], s[54:55]
	s_mov_b64 s[60:61], s[52:53]
	s_and_saveexec_b64 s[62:63], vcc
	s_cbranch_execz .LBB64_542
; %bb.268:
	s_andn2_b64 vcc, exec, s[40:41]
	s_cbranch_vccnz .LBB64_276
; %bb.269:
	s_andn2_b64 vcc, exec, s[50:51]
	s_cbranch_vccnz .LBB64_277
; %bb.270:
	s_add_i32 s65, s75, 1
	s_cmp_eq_u32 s72, 2
	s_cbranch_scc1 .LBB64_278
; %bb.271:
	s_and_b32 s64, s65, 28
	v_mov_b32_e32 v2, 0
	s_mov_b32 s66, 0
	s_mov_b64 s[58:59], s[34:35]
	s_mov_b64 s[60:61], s[48:49]
	v_mov_b32_e32 v0, 0
	v_mov_b32_e32 v1, v8
.LBB64_272:                             ; =>This Inner Loop Header: Depth=1
	s_load_dwordx8 s[16:23], s[58:59], 0x4
	s_load_dwordx4 s[0:3], s[58:59], 0x24
	s_load_dwordx8 s[8:15], s[60:61], 0x0
	s_add_u32 s58, s58, 48
	s_addc_u32 s59, s59, 0
	s_waitcnt vmcnt(0) lgkmcnt(0)
	v_mul_hi_u32 v3, s17, v1
	s_add_i32 s66, s66, 4
	s_add_u32 s60, s60, 32
	s_addc_u32 s61, s61, 0
	v_add_u32_e32 v3, v1, v3
	v_lshrrev_b32_e32 v3, s18, v3
	v_mul_lo_u32 v4, v3, s16
	v_mul_hi_u32 v5, s20, v3
	s_cmp_eq_u32 s64, s66
	v_sub_u32_e32 v1, v1, v4
	v_add_u32_e32 v4, v3, v5
	v_mul_lo_u32 v5, v1, s8
	v_mul_lo_u32 v6, v1, s9
	v_lshrrev_b32_e32 v1, s21, v4
	v_mul_lo_u32 v4, v1, s19
	v_mul_hi_u32 v7, s23, v1
	v_sub_u32_e32 v3, v3, v4
	v_add_u32_e32 v4, v1, v7
	v_lshrrev_b32_e32 v4, s0, v4
	v_mul_hi_u32 v9, s2, v4
	v_mul_lo_u32 v10, v4, s22
	v_mul_lo_u32 v7, v3, s10
	;; [unrolled: 1-line block ×3, first 2 shown]
	v_sub_u32_e32 v10, v1, v10
	v_add_u32_e32 v1, v4, v9
	v_lshrrev_b32_e32 v1, s3, v1
	v_mul_lo_u32 v9, v1, s1
	v_mul_lo_u32 v11, v10, s12
	v_mul_lo_u32 v10, v10, s13
	v_add3_u32 v0, v5, v0, v7
	v_sub_u32_e32 v4, v4, v9
	v_mul_lo_u32 v9, v4, s14
	v_mul_lo_u32 v4, v4, s15
	v_add3_u32 v2, v6, v2, v3
	v_add3_u32 v0, v11, v0, v9
	v_add3_u32 v2, v10, v2, v4
	s_cbranch_scc0 .LBB64_272
	s_branch .LBB64_279
.LBB64_273:
	s_or_b64 exec, exec, s[56:57]
	s_mov_b64 s[2:3], 0
	s_and_saveexec_b64 s[8:9], s[54:55]
	s_cbranch_execnz .LBB64_918
.LBB64_274:
	s_or_b64 exec, exec, s[8:9]
	s_and_saveexec_b64 s[8:9], s[60:61]
	s_xor_b64 s[8:9], exec, s[8:9]
	s_cbranch_execz .LBB64_919
.LBB64_275:
	global_load_ubyte v3, v[1:2], off
	s_or_b64 s[0:1], s[0:1], exec
	s_waitcnt vmcnt(0)
	v_cmp_ne_u16_e32 vcc, 0, v3
	v_cndmask_b32_e64 v3, 0, 1.0, vcc
	v_lshrrev_b32_e32 v4, 16, v3
	s_or_b64 exec, exec, s[8:9]
	s_and_saveexec_b64 s[8:9], s[10:11]
	s_cbranch_execz .LBB64_965
	s_branch .LBB64_920
.LBB64_276:
                                        ; implicit-def: $vgpr0
                                        ; implicit-def: $vgpr2
	s_andn2_b64 vcc, exec, s[0:1]
	s_cbranch_vccz .LBB64_283
	s_branch .LBB64_285
.LBB64_277:
	v_mov_b32_e32 v0, 0
	v_mov_b32_e32 v2, 0
	s_branch .LBB64_282
.LBB64_278:
	s_mov_b32 s64, 0
	v_mov_b32_e32 v0, 0
	v_mov_b32_e32 v2, 0
	;; [unrolled: 1-line block ×3, first 2 shown]
.LBB64_279:
	s_and_b32 s8, s65, 3
	s_cmp_eq_u32 s8, 0
	s_cbranch_scc1 .LBB64_282
; %bb.280:
	s_lshl_b32 s0, s64, 3
	s_add_u32 s0, s34, s0
	s_addc_u32 s1, s35, 0
	s_add_u32 s0, s0, 0xc4
	s_addc_u32 s1, s1, 0
	s_mul_i32 s2, s64, 12
	s_add_u32 s2, s34, s2
	s_addc_u32 s3, s35, 0
.LBB64_281:                             ; =>This Inner Loop Header: Depth=1
	s_load_dwordx2 s[10:11], s[2:3], 0x4
	s_load_dword s9, s[2:3], 0xc
	s_load_dwordx2 s[12:13], s[0:1], 0x0
	s_add_u32 s2, s2, 12
	s_addc_u32 s3, s3, 0
	s_waitcnt vmcnt(0) lgkmcnt(0)
	v_mul_hi_u32 v3, s11, v1
	s_add_u32 s0, s0, 8
	s_addc_u32 s1, s1, 0
	s_add_i32 s8, s8, -1
	v_add_u32_e32 v3, v1, v3
	v_lshrrev_b32_e32 v4, s9, v3
	v_mul_lo_u32 v3, v4, s10
	s_cmp_lg_u32 s8, 0
	v_sub_u32_e32 v3, v1, v3
	v_mad_u64_u32 v[0:1], s[10:11], v3, s12, v[0:1]
	v_mad_u64_u32 v[2:3], s[10:11], v3, s13, v[2:3]
	v_mov_b32_e32 v1, v4
	s_cbranch_scc1 .LBB64_281
.LBB64_282:
	s_cbranch_execnz .LBB64_285
.LBB64_283:
	s_waitcnt lgkmcnt(0)
	v_mul_hi_u32 v0, s37, v8
	s_andn2_b64 vcc, exec, s[46:47]
	v_add_u32_e32 v0, v8, v0
	v_lshrrev_b32_e32 v1, s38, v0
	v_mul_lo_u32 v0, v1, s36
	v_sub_u32_e32 v2, v8, v0
	v_mul_lo_u32 v0, v2, s28
	v_mul_lo_u32 v2, v2, s29
	s_cbranch_vccnz .LBB64_285
; %bb.284:
	s_waitcnt vmcnt(0)
	v_mul_hi_u32 v3, s44, v1
	v_add_u32_e32 v3, v1, v3
	v_lshrrev_b32_e32 v3, s45, v3
	v_mul_lo_u32 v3, v3, s39
	v_sub_u32_e32 v3, v1, v3
	v_mad_u64_u32 v[0:1], s[0:1], v3, s30, v[0:1]
	v_mad_u64_u32 v[2:3], s[0:1], v3, s31, v[2:3]
.LBB64_285:
	s_waitcnt vmcnt(0) lgkmcnt(0)
	v_mov_b32_e32 v3, s27
	s_and_b32 s12, 0xffff, s74
	v_add_co_u32_e32 v1, vcc, s26, v2
	s_cmp_lt_i32 s12, 11
	v_addc_co_u32_e32 v2, vcc, 0, v3, vcc
	s_cbranch_scc1 .LBB64_292
; %bb.286:
	s_cmp_gt_i32 s12, 25
	s_cbranch_scc0 .LBB64_301
; %bb.287:
	s_cmp_gt_i32 s12, 28
	s_cbranch_scc0 .LBB64_303
; %bb.288:
	s_cmp_gt_i32 s12, 43
	s_cbranch_scc0 .LBB64_305
; %bb.289:
	s_cmp_gt_i32 s12, 45
	s_cbranch_scc0 .LBB64_309
; %bb.290:
	s_cmp_eq_u32 s12, 46
	s_mov_b64 s[8:9], 0
	s_cbranch_scc0 .LBB64_313
; %bb.291:
	global_load_dword v3, v[1:2], off
	s_mov_b64 s[0:1], -1
	s_mov_b64 s[2:3], 0
	s_branch .LBB64_314
.LBB64_292:
	s_mov_b64 s[0:1], 0
                                        ; implicit-def: $vgpr3
	s_mov_b64 s[2:3], s[54:55]
	s_cbranch_execnz .LBB64_491
.LBB64_293:
	s_andn2_b64 vcc, exec, s[0:1]
	s_cbranch_vccnz .LBB64_539
.LBB64_294:
	s_waitcnt vmcnt(0)
	v_lshlrev_b32_e32 v1, 16, v3
	v_fma_f32 v2, |v1|, -0.5, 0.5
	v_mul_f32_e32 v3, v1, v1
	v_cmp_ge_f32_e64 vcc, |v1|, 0.5
	v_cndmask_b32_e32 v2, v3, v2, vcc
	v_mov_b32_e32 v3, 0x3c5fc5da
	v_fmac_f32_e32 v3, 0x3d1c21a7, v2
	v_mov_b32_e32 v4, 0x3d034c3c
	v_fmac_f32_e32 v4, v2, v3
	;; [unrolled: 2-line block ×4, first 2 shown]
	v_sqrt_f32_e32 v3, v2
	v_mov_b32_e32 v5, 0x3e2aaaac
	v_fmac_f32_e32 v5, v2, v4
	v_mul_f32_e32 v2, v2, v5
	v_fmac_f32_e32 v3, v3, v2
	v_add_f32_e32 v3, v3, v3
	v_sub_f32_e32 v3, 0x3fc90fdb, v3
	v_fma_f32 v2, |v1|, v2, |v1|
	v_cmp_lt_f32_e64 vcc, |v1|, 0.5
	v_cndmask_b32_e32 v2, v3, v2, vcc
	s_brev_b32 s0, -2
	v_bfi_b32 v1, s0, v2, v1
	v_bfe_u32 v2, v1, 16, 1
	s_movk_i32 s0, 0x7fff
	v_add3_u32 v2, v1, v2, s0
	v_cmp_o_f32_e32 vcc, v1, v1
	v_mov_b32_e32 v1, 0x7fc0
	v_cndmask_b32_sdwa v2, v1, v2, vcc dst_sel:DWORD dst_unused:UNUSED_PAD src0_sel:DWORD src1_sel:WORD_1
	v_mov_b32_e32 v1, s25
	s_and_b32 s14, s73, 0xff
	v_add_co_u32_e32 v0, vcc, s24, v0
	s_cmp_lt_i32 s14, 11
	v_addc_co_u32_e32 v1, vcc, 0, v1, vcc
	s_cbranch_scc1 .LBB64_302
; %bb.295:
	s_and_b32 s15, 0xffff, s14
	s_cmp_gt_i32 s15, 25
	s_cbranch_scc0 .LBB64_304
; %bb.296:
	s_cmp_gt_i32 s15, 28
	s_cbranch_scc0 .LBB64_306
; %bb.297:
	;; [unrolled: 3-line block ×4, first 2 shown]
	s_mov_b64 s[10:11], 0
	s_mov_b64 s[0:1], -1
	s_cmp_eq_u32 s15, 46
	s_mov_b64 s[8:9], 0
	s_cbranch_scc0 .LBB64_318
; %bb.300:
	v_and_b32_e32 v3, 0xffff, v2
	global_store_dword v[0:1], v3, off
	s_mov_b64 s[8:9], -1
	s_mov_b64 s[0:1], 0
	s_branch .LBB64_318
.LBB64_301:
	s_mov_b64 s[8:9], -1
	s_mov_b64 s[0:1], 0
	s_mov_b64 s[2:3], s[54:55]
                                        ; implicit-def: $vgpr3
	s_branch .LBB64_455
.LBB64_302:
	s_mov_b64 s[10:11], -1
	s_mov_b64 s[8:9], 0
	s_mov_b64 s[0:1], s[52:53]
	s_branch .LBB64_387
.LBB64_303:
	s_mov_b64 s[8:9], -1
	s_mov_b64 s[0:1], 0
	s_mov_b64 s[2:3], s[54:55]
                                        ; implicit-def: $vgpr3
	s_branch .LBB64_436
.LBB64_304:
	s_mov_b64 s[10:11], -1
	s_mov_b64 s[8:9], 0
	s_mov_b64 s[0:1], s[52:53]
	s_branch .LBB64_345
.LBB64_305:
	s_mov_b64 s[8:9], -1
	s_mov_b64 s[0:1], 0
	s_mov_b64 s[2:3], s[54:55]
                                        ; implicit-def: $vgpr3
	s_branch .LBB64_431
.LBB64_306:
	s_mov_b64 s[10:11], -1
	s_mov_b64 s[8:9], 0
	s_mov_b64 s[0:1], s[52:53]
	s_branch .LBB64_328
.LBB64_307:
	s_andn2_saveexec_b64 s[12:13], s[12:13]
	s_cbranch_execz .LBB64_68
.LBB64_308:
	s_mov_b32 s16, 0x46000000
	v_add_f32_e64 v4, |v5|, s16
	v_and_b32_e32 v4, 0xff, v4
	v_cmp_ne_u32_e32 vcc, 0, v4
	s_andn2_b64 s[10:11], s[10:11], exec
	s_and_b64 s[16:17], vcc, exec
	s_or_b64 s[10:11], s[10:11], s[16:17]
	s_or_b64 exec, exec, s[12:13]
	v_mov_b32_e32 v6, 0
	s_and_saveexec_b64 s[12:13], s[10:11]
	s_cbranch_execnz .LBB64_69
	s_branch .LBB64_70
.LBB64_309:
	s_mov_b64 s[8:9], -1
	s_mov_b64 s[0:1], 0
	s_mov_b64 s[2:3], s[54:55]
                                        ; implicit-def: $vgpr3
	s_branch .LBB64_314
.LBB64_310:
	s_mov_b64 s[10:11], -1
	s_mov_b64 s[8:9], 0
	s_mov_b64 s[0:1], s[52:53]
	s_branch .LBB64_324
.LBB64_311:
	s_andn2_saveexec_b64 s[12:13], s[12:13]
	s_cbranch_execz .LBB64_81
.LBB64_312:
	s_mov_b32 s16, 0x42800000
	v_add_f32_e64 v4, |v5|, s16
	v_and_b32_e32 v4, 0xff, v4
	v_cmp_ne_u32_e32 vcc, 0, v4
	s_andn2_b64 s[10:11], s[10:11], exec
	s_and_b64 s[16:17], vcc, exec
	s_or_b64 s[10:11], s[10:11], s[16:17]
	s_or_b64 exec, exec, s[12:13]
	v_mov_b32_e32 v6, 0
	s_and_saveexec_b64 s[12:13], s[10:11]
	s_cbranch_execnz .LBB64_82
	s_branch .LBB64_83
.LBB64_313:
	s_mov_b64 s[2:3], -1
                                        ; implicit-def: $vgpr3
	s_mov_b64 s[0:1], 0
.LBB64_314:
	s_and_b64 vcc, exec, s[8:9]
	s_cbranch_vccz .LBB64_430
; %bb.315:
	s_cmp_eq_u32 s12, 44
	s_cbranch_scc0 .LBB64_429
; %bb.316:
	global_load_ubyte v3, v[1:2], off
	s_movk_i32 s2, 0xff
	v_mov_b32_e32 v4, 0x7f800001
	v_mov_b32_e32 v5, 0x400000
	;; [unrolled: 1-line block ×3, first 2 shown]
	s_mov_b64 s[0:1], -1
	s_waitcnt vmcnt(0)
	v_lshlrev_b32_e32 v7, 23, v3
	v_cmp_ne_u32_e32 vcc, s2, v3
	v_cndmask_b32_e32 v4, v4, v7, vcc
	v_cmp_ne_u32_e32 vcc, 0, v3
	v_cndmask_b32_e32 v3, v5, v4, vcc
	v_add_u32_e32 v4, 0x7fff, v3
	v_cmp_o_f32_e32 vcc, v3, v3
	v_cndmask_b32_sdwa v3, v6, v4, vcc dst_sel:DWORD dst_unused:UNUSED_PAD src0_sel:DWORD src1_sel:WORD_1
	s_mov_b64 s[2:3], 0
	s_branch .LBB64_430
.LBB64_317:
	s_mov_b64 s[10:11], -1
	s_mov_b64 s[8:9], 0
	s_mov_b64 s[0:1], s[52:53]
.LBB64_318:
	s_and_b64 vcc, exec, s[10:11]
	s_cbranch_vccz .LBB64_323
; %bb.319:
	s_cmp_eq_u32 s15, 44
	s_mov_b64 s[0:1], -1
	s_cbranch_scc0 .LBB64_323
; %bb.320:
	v_and_b32_e32 v4, 0xffff, v2
	v_bfe_u32 v3, v4, 7, 8
	s_movk_i32 s0, 0xff
	v_cmp_ne_u32_e32 vcc, s0, v3
	v_mov_b32_e32 v5, 0xff
	s_and_saveexec_b64 s[8:9], vcc
	s_cbranch_execz .LBB64_322
; %bb.321:
	v_lshlrev_b32_e32 v6, 16, v4
	s_mov_b32 s0, 0x3f0000
	v_lshrrev_b32_e32 v5, 7, v4
	v_and_b32_e32 v4, 64, v4
	v_and_or_b32 v3, v6, s0, v3
	v_cmp_ne_u32_e32 vcc, 0, v4
	v_cmp_ne_u32_e64 s[0:1], 0, v3
	s_and_b64 s[0:1], vcc, s[0:1]
	v_cndmask_b32_e64 v3, 0, 1, s[0:1]
	v_add_u32_e32 v5, v5, v3
.LBB64_322:
	s_or_b64 exec, exec, s[8:9]
	s_mov_b64 s[8:9], -1
	s_mov_b64 s[0:1], 0
	global_store_byte v[0:1], v5, off
.LBB64_323:
	s_mov_b64 s[10:11], 0
.LBB64_324:
	s_and_b64 vcc, exec, s[10:11]
	s_cbranch_vccz .LBB64_327
; %bb.325:
	s_cmp_eq_u32 s15, 29
	s_mov_b64 s[0:1], -1
	s_cbranch_scc0 .LBB64_327
; %bb.326:
	v_lshlrev_b32_e32 v3, 16, v2
	v_trunc_f32_e32 v3, v3
	v_mul_f32_e32 v4, 0x2f800000, v3
	v_floor_f32_e32 v5, v4
	v_fmac_f32_e32 v3, 0xcf800000, v5
	v_cvt_u32_f32_e32 v4, v5
	v_cvt_u32_f32_e32 v3, v3
	s_mov_b64 s[8:9], -1
	s_mov_b64 s[0:1], 0
	s_mov_b64 s[10:11], 0
	global_store_dwordx2 v[0:1], v[3:4], off
	s_branch .LBB64_328
.LBB64_327:
	s_mov_b64 s[10:11], 0
.LBB64_328:
	s_and_b64 vcc, exec, s[10:11]
	s_cbranch_vccz .LBB64_344
; %bb.329:
	s_cmp_lt_i32 s15, 27
	s_mov_b64 s[8:9], -1
	s_cbranch_scc1 .LBB64_335
; %bb.330:
	s_cmp_gt_i32 s15, 27
	s_cbranch_scc0 .LBB64_332
; %bb.331:
	v_lshlrev_b32_e32 v3, 16, v2
	v_cvt_u32_f32_e32 v3, v3
	s_mov_b64 s[8:9], 0
	global_store_dword v[0:1], v3, off
.LBB64_332:
	s_andn2_b64 vcc, exec, s[8:9]
	s_cbranch_vccnz .LBB64_334
; %bb.333:
	v_lshlrev_b32_e32 v3, 16, v2
	v_cvt_u32_f32_e32 v3, v3
	global_store_short v[0:1], v3, off
.LBB64_334:
	s_mov_b64 s[8:9], 0
.LBB64_335:
	s_andn2_b64 vcc, exec, s[8:9]
	s_cbranch_vccnz .LBB64_343
; %bb.336:
	v_lshlrev_b32_e32 v5, 16, v2
	v_and_b32_e32 v4, 0x7fffffff, v5
	s_mov_b32 s8, 0x43800000
	v_cmp_gt_u32_e32 vcc, s8, v4
	v_mov_b32_e32 v6, 0x80
	s_and_saveexec_b64 s[8:9], vcc
	s_cbranch_execz .LBB64_342
; %bb.337:
	s_mov_b32 s10, 0x3bffffff
	v_and_b32_e32 v3, 0xffff, v2
	v_cmp_lt_u32_e32 vcc, s10, v4
	s_mov_b64 s[10:11], 0
                                        ; implicit-def: $vgpr4
	s_and_saveexec_b64 s[12:13], vcc
	s_xor_b64 s[12:13], exec, s[12:13]
	s_cbranch_execz .LBB64_570
; %bb.338:
	v_bfe_u32 v4, v3, 4, 1
	s_mov_b32 s16, 0x487ffff
	v_add3_u32 v4, v5, v4, s16
	s_mov_b64 s[10:11], exec
	v_lshrrev_b32_e32 v4, 20, v4
                                        ; implicit-def: $vgpr5
	s_andn2_saveexec_b64 s[12:13], s[12:13]
	s_cbranch_execnz .LBB64_571
.LBB64_339:
	s_or_b64 exec, exec, s[12:13]
	v_mov_b32_e32 v6, 0
	s_and_saveexec_b64 s[12:13], s[10:11]
.LBB64_340:
	v_lshrrev_b32_e32 v3, 8, v3
	s_movk_i32 s10, 0x80
	v_and_or_b32 v6, v3, s10, v4
.LBB64_341:
	s_or_b64 exec, exec, s[12:13]
.LBB64_342:
	s_or_b64 exec, exec, s[8:9]
	global_store_byte v[0:1], v6, off
.LBB64_343:
	s_mov_b64 s[8:9], -1
.LBB64_344:
	s_mov_b64 s[10:11], 0
.LBB64_345:
	s_and_b64 vcc, exec, s[10:11]
	s_cbranch_vccz .LBB64_386
; %bb.346:
	s_cmp_gt_i32 s15, 22
	s_mov_b64 s[10:11], -1
	s_cbranch_scc0 .LBB64_378
; %bb.347:
	s_cmp_lt_i32 s15, 24
	s_mov_b64 s[8:9], -1
	s_cbranch_scc1 .LBB64_367
; %bb.348:
	s_cmp_gt_i32 s15, 24
	s_cbranch_scc0 .LBB64_356
; %bb.349:
	v_lshlrev_b32_e32 v5, 16, v2
	v_and_b32_e32 v4, 0x7fffffff, v5
	s_mov_b32 s8, 0x47800000
	v_cmp_gt_u32_e32 vcc, s8, v4
	v_mov_b32_e32 v6, 0x80
	s_and_saveexec_b64 s[8:9], vcc
	s_cbranch_execz .LBB64_355
; %bb.350:
	s_mov_b32 s10, 0x37ffffff
	v_and_b32_e32 v3, 0xffff, v2
	v_cmp_lt_u32_e32 vcc, s10, v4
	s_mov_b64 s[10:11], 0
                                        ; implicit-def: $vgpr4
	s_and_saveexec_b64 s[12:13], vcc
	s_xor_b64 s[12:13], exec, s[12:13]
	s_cbranch_execz .LBB64_573
; %bb.351:
	v_bfe_u32 v4, v3, 5, 1
	s_mov_b32 s16, 0x88fffff
	v_add3_u32 v4, v5, v4, s16
	s_mov_b64 s[10:11], exec
	v_lshrrev_b32_e32 v4, 21, v4
                                        ; implicit-def: $vgpr5
	s_andn2_saveexec_b64 s[12:13], s[12:13]
	s_cbranch_execnz .LBB64_574
.LBB64_352:
	s_or_b64 exec, exec, s[12:13]
	v_mov_b32_e32 v6, 0
	s_and_saveexec_b64 s[12:13], s[10:11]
.LBB64_353:
	v_lshrrev_b32_e32 v3, 8, v3
	s_movk_i32 s10, 0x80
	v_and_or_b32 v6, v3, s10, v4
.LBB64_354:
	s_or_b64 exec, exec, s[12:13]
.LBB64_355:
	s_or_b64 exec, exec, s[8:9]
	s_mov_b64 s[8:9], 0
	global_store_byte v[0:1], v6, off
.LBB64_356:
	s_and_b64 vcc, exec, s[8:9]
	s_cbranch_vccz .LBB64_366
; %bb.357:
	v_lshlrev_b32_e32 v5, 16, v2
	v_and_b32_e32 v6, 0x7fffffff, v5
	s_mov_b32 s8, 0x43f00000
	v_and_b32_e32 v3, 0xffff, v2
	v_cmp_gt_u32_e32 vcc, s8, v6
                                        ; implicit-def: $vgpr4
	s_and_saveexec_b64 s[8:9], vcc
	s_xor_b64 s[8:9], exec, s[8:9]
	s_cbranch_execz .LBB64_363
; %bb.358:
	s_mov_b32 s10, 0x3c7fffff
	v_cmp_lt_u32_e32 vcc, s10, v6
                                        ; implicit-def: $vgpr4
	s_and_saveexec_b64 s[10:11], vcc
	s_xor_b64 s[10:11], exec, s[10:11]
; %bb.359:
	v_bfe_u32 v4, v3, 4, 1
	s_mov_b32 s12, 0x407ffff
	v_add3_u32 v4, v5, v4, s12
	v_lshrrev_b32_e32 v5, 20, v4
	v_and_b32_e32 v4, 0xff00000, v4
	s_mov_b32 s12, 0x7f00000
	v_mov_b32_e32 v6, 0x7e
	v_cmp_ne_u32_e32 vcc, s12, v4
	v_cndmask_b32_e32 v4, v6, v5, vcc
                                        ; implicit-def: $vgpr5
; %bb.360:
	s_andn2_saveexec_b64 s[10:11], s[10:11]
; %bb.361:
	s_mov_b32 s12, 0x46800000
	v_add_f32_e64 v4, |v5|, s12
; %bb.362:
	s_or_b64 exec, exec, s[10:11]
                                        ; implicit-def: $vgpr6
.LBB64_363:
	s_andn2_saveexec_b64 s[8:9], s[8:9]
; %bb.364:
	s_mov_b32 s10, 0x7f800000
	v_mov_b32_e32 v4, 0x7e
	v_mov_b32_e32 v5, 0x7f
	v_cmp_lt_u32_e32 vcc, s10, v6
	v_cndmask_b32_e32 v4, v4, v5, vcc
; %bb.365:
	s_or_b64 exec, exec, s[8:9]
	v_lshrrev_b32_e32 v3, 8, v3
	s_movk_i32 s8, 0x80
	v_and_or_b32 v3, v3, s8, v4
	global_store_byte v[0:1], v3, off
.LBB64_366:
	s_mov_b64 s[8:9], 0
.LBB64_367:
	s_andn2_b64 vcc, exec, s[8:9]
	s_cbranch_vccnz .LBB64_377
; %bb.368:
	v_lshlrev_b32_e32 v5, 16, v2
	v_and_b32_e32 v6, 0x7fffffff, v5
	s_mov_b32 s8, 0x47800000
	v_and_b32_e32 v3, 0xffff, v2
	v_cmp_gt_u32_e32 vcc, s8, v6
                                        ; implicit-def: $vgpr4
	s_and_saveexec_b64 s[8:9], vcc
	s_xor_b64 s[8:9], exec, s[8:9]
	s_cbranch_execz .LBB64_374
; %bb.369:
	s_mov_b32 s10, 0x387fffff
	v_cmp_lt_u32_e32 vcc, s10, v6
                                        ; implicit-def: $vgpr4
	s_and_saveexec_b64 s[10:11], vcc
	s_xor_b64 s[10:11], exec, s[10:11]
; %bb.370:
	v_bfe_u32 v4, v3, 5, 1
	s_mov_b32 s12, 0x80fffff
	v_add3_u32 v4, v5, v4, s12
	v_lshrrev_b32_e32 v4, 21, v4
                                        ; implicit-def: $vgpr5
; %bb.371:
	s_andn2_saveexec_b64 s[10:11], s[10:11]
; %bb.372:
	s_mov_b32 s12, 0x43000000
	v_add_f32_e64 v4, |v5|, s12
; %bb.373:
	s_or_b64 exec, exec, s[10:11]
                                        ; implicit-def: $vgpr6
.LBB64_374:
	s_andn2_saveexec_b64 s[8:9], s[8:9]
; %bb.375:
	s_mov_b32 s10, 0x7f800000
	v_mov_b32_e32 v4, 0x7c
	v_mov_b32_e32 v5, 0x7f
	v_cmp_lt_u32_e32 vcc, s10, v6
	v_cndmask_b32_e32 v4, v4, v5, vcc
; %bb.376:
	s_or_b64 exec, exec, s[8:9]
	v_lshrrev_b32_e32 v3, 8, v3
	s_movk_i32 s8, 0x80
	v_and_or_b32 v3, v3, s8, v4
	global_store_byte v[0:1], v3, off
.LBB64_377:
	s_mov_b64 s[10:11], 0
	s_mov_b64 s[8:9], -1
.LBB64_378:
	s_andn2_b64 vcc, exec, s[10:11]
	s_cbranch_vccnz .LBB64_386
; %bb.379:
	s_cmp_gt_i32 s15, 14
	s_mov_b64 s[10:11], -1
	s_cbranch_scc0 .LBB64_383
; %bb.380:
	s_cmp_eq_u32 s15, 15
	s_mov_b64 s[0:1], -1
	s_cbranch_scc0 .LBB64_382
; %bb.381:
	global_store_short v[0:1], v2, off
	s_mov_b64 s[8:9], -1
	s_mov_b64 s[0:1], 0
.LBB64_382:
	s_mov_b64 s[10:11], 0
.LBB64_383:
	s_and_b64 vcc, exec, s[10:11]
	s_cbranch_vccz .LBB64_386
; %bb.384:
	s_cmp_eq_u32 s15, 11
	s_mov_b64 s[0:1], -1
	s_cbranch_scc0 .LBB64_386
; %bb.385:
	v_and_b32_e32 v3, 0x7fff, v2
	v_cmp_ne_u16_e32 vcc, 0, v3
	v_cndmask_b32_e64 v3, 0, 1, vcc
	s_mov_b64 s[8:9], -1
	s_mov_b64 s[0:1], 0
	global_store_byte v[0:1], v3, off
.LBB64_386:
	s_mov_b64 s[10:11], 0
.LBB64_387:
	s_and_b64 vcc, exec, s[10:11]
	s_cbranch_vccz .LBB64_426
; %bb.388:
	s_and_b32 s10, 0xffff, s14
	s_cmp_lt_i32 s10, 5
	s_mov_b64 s[8:9], -1
	s_cbranch_scc1 .LBB64_409
; %bb.389:
	s_cmp_lt_i32 s10, 8
	s_cbranch_scc1 .LBB64_399
; %bb.390:
	s_cmp_lt_i32 s10, 9
	s_cbranch_scc1 .LBB64_396
; %bb.391:
	s_cmp_gt_i32 s10, 9
	s_cbranch_scc0 .LBB64_393
; %bb.392:
	v_lshlrev_b32_e32 v3, 16, v2
	v_cvt_f64_f32_e32 v[3:4], v3
	v_mov_b32_e32 v5, 0
	v_mov_b32_e32 v6, v5
	s_mov_b64 s[8:9], 0
	global_store_dwordx4 v[0:1], v[3:6], off
.LBB64_393:
	s_andn2_b64 vcc, exec, s[8:9]
	s_cbranch_vccnz .LBB64_395
; %bb.394:
	v_lshlrev_b32_e32 v3, 16, v2
	v_mov_b32_e32 v4, 0
	global_store_dwordx2 v[0:1], v[3:4], off
.LBB64_395:
	s_mov_b64 s[8:9], 0
.LBB64_396:
	s_andn2_b64 vcc, exec, s[8:9]
	s_cbranch_vccnz .LBB64_398
; %bb.397:
	v_lshlrev_b32_e32 v3, 16, v2
	v_cvt_f16_f32_e32 v3, v3
	global_store_dword v[0:1], v3, off
.LBB64_398:
	s_mov_b64 s[8:9], 0
.LBB64_399:
	s_andn2_b64 vcc, exec, s[8:9]
	s_cbranch_vccnz .LBB64_408
; %bb.400:
	s_cmp_lt_i32 s10, 6
	s_mov_b64 s[8:9], -1
	s_cbranch_scc1 .LBB64_406
; %bb.401:
	s_cmp_gt_i32 s10, 6
	s_cbranch_scc0 .LBB64_403
; %bb.402:
	v_lshlrev_b32_e32 v3, 16, v2
	v_cvt_f64_f32_e32 v[3:4], v3
	s_mov_b64 s[8:9], 0
	global_store_dwordx2 v[0:1], v[3:4], off
.LBB64_403:
	s_andn2_b64 vcc, exec, s[8:9]
	s_cbranch_vccnz .LBB64_405
; %bb.404:
	v_lshlrev_b32_e32 v3, 16, v2
	global_store_dword v[0:1], v3, off
.LBB64_405:
	s_mov_b64 s[8:9], 0
.LBB64_406:
	s_andn2_b64 vcc, exec, s[8:9]
	s_cbranch_vccnz .LBB64_408
; %bb.407:
	v_lshlrev_b32_e32 v3, 16, v2
	v_cvt_f16_f32_e32 v3, v3
	global_store_short v[0:1], v3, off
.LBB64_408:
	s_mov_b64 s[8:9], 0
.LBB64_409:
	s_andn2_b64 vcc, exec, s[8:9]
	s_cbranch_vccnz .LBB64_425
; %bb.410:
	s_cmp_lt_i32 s10, 2
	s_mov_b64 s[8:9], -1
	s_cbranch_scc1 .LBB64_420
; %bb.411:
	s_cmp_lt_i32 s10, 3
	s_cbranch_scc1 .LBB64_417
; %bb.412:
	s_cmp_gt_i32 s10, 3
	s_cbranch_scc0 .LBB64_414
; %bb.413:
	v_lshlrev_b32_e32 v3, 16, v2
	v_trunc_f32_e32 v3, v3
	s_mov_b32 s8, 0x2f800000
	v_mul_f32_e64 v4, |v3|, s8
	v_floor_f32_e32 v4, v4
	s_mov_b32 s8, 0xcf800000
	v_cvt_u32_f32_e32 v5, v4
	v_fma_f32 v4, v4, s8, |v3|
	v_cvt_u32_f32_e32 v4, v4
	v_ashrrev_i32_e32 v6, 31, v3
	v_xor_b32_e32 v5, v5, v6
	s_mov_b64 s[8:9], 0
	v_xor_b32_e32 v3, v4, v6
	v_sub_co_u32_e32 v3, vcc, v3, v6
	v_subb_co_u32_e32 v4, vcc, v5, v6, vcc
	global_store_dwordx2 v[0:1], v[3:4], off
.LBB64_414:
	s_andn2_b64 vcc, exec, s[8:9]
	s_cbranch_vccnz .LBB64_416
; %bb.415:
	v_lshlrev_b32_e32 v3, 16, v2
	v_cvt_i32_f32_e32 v3, v3
	global_store_dword v[0:1], v3, off
.LBB64_416:
	s_mov_b64 s[8:9], 0
.LBB64_417:
	s_andn2_b64 vcc, exec, s[8:9]
	s_cbranch_vccnz .LBB64_419
; %bb.418:
	v_lshlrev_b32_e32 v3, 16, v2
	v_cvt_i32_f32_e32 v3, v3
	global_store_short v[0:1], v3, off
.LBB64_419:
	s_mov_b64 s[8:9], 0
.LBB64_420:
	s_andn2_b64 vcc, exec, s[8:9]
	s_cbranch_vccnz .LBB64_425
; %bb.421:
	s_mov_b64 s[8:9], -1
	s_cmp_gt_i32 s10, 0
	v_lshlrev_b32_e32 v2, 16, v2
	s_cbranch_scc0 .LBB64_423
; %bb.422:
	v_cvt_i32_f32_e32 v3, v2
	s_mov_b64 s[8:9], 0
	global_store_byte v[0:1], v3, off
.LBB64_423:
	s_andn2_b64 vcc, exec, s[8:9]
	s_cbranch_vccnz .LBB64_425
; %bb.424:
	v_trunc_f32_e32 v2, v2
	s_mov_b32 s8, 0x2f800000
	v_mul_f32_e64 v3, |v2|, s8
	v_floor_f32_e32 v3, v3
	s_mov_b32 s8, 0xcf800000
	v_fma_f32 v3, v3, s8, |v2|
	v_cvt_u32_f32_e32 v3, v3
	v_ashrrev_i32_e32 v2, 31, v2
	v_xor_b32_e32 v3, v3, v2
	v_sub_u32_e32 v2, v3, v2
	global_store_byte v[0:1], v2, off
.LBB64_425:
	s_mov_b64 s[8:9], -1
.LBB64_426:
	s_andn2_b64 vcc, exec, s[8:9]
	s_cbranch_vccnz .LBB64_428
; %bb.427:
	v_add_u32_e32 v8, 0x80, v8
	s_mov_b64 s[8:9], -1
	s_branch .LBB64_541
.LBB64_428:
	s_mov_b64 s[8:9], 0
	s_branch .LBB64_540
.LBB64_429:
	s_mov_b64 s[2:3], -1
                                        ; implicit-def: $vgpr3
.LBB64_430:
	s_mov_b64 s[8:9], 0
.LBB64_431:
	s_and_b64 vcc, exec, s[8:9]
	s_cbranch_vccz .LBB64_435
; %bb.432:
	s_cmp_eq_u32 s12, 29
	s_cbranch_scc0 .LBB64_434
; %bb.433:
	global_load_dwordx2 v[3:4], v[1:2], off
	s_movk_i32 s2, 0x7fff
	s_mov_b64 s[0:1], -1
	s_mov_b64 s[8:9], 0
	s_waitcnt vmcnt(0)
	v_ffbh_u32_e32 v5, v4
	v_min_u32_e32 v5, 32, v5
	v_lshlrev_b64 v[3:4], v5, v[3:4]
	v_min_u32_e32 v3, 1, v3
	v_or_b32_e32 v3, v4, v3
	v_cvt_f32_u32_e32 v3, v3
	v_sub_u32_e32 v4, 32, v5
	v_ldexp_f32 v3, v3, v4
	v_bfe_u32 v4, v3, 16, 1
	v_add3_u32 v3, v3, v4, s2
	v_lshrrev_b32_e32 v3, 16, v3
	s_mov_b64 s[2:3], 0
	s_branch .LBB64_436
.LBB64_434:
	s_mov_b64 s[2:3], -1
                                        ; implicit-def: $vgpr3
.LBB64_435:
	s_mov_b64 s[8:9], 0
.LBB64_436:
	s_and_b64 vcc, exec, s[8:9]
	s_cbranch_vccz .LBB64_454
; %bb.437:
	s_cmp_lt_i32 s12, 27
	s_cbranch_scc1 .LBB64_440
; %bb.438:
	s_cmp_gt_i32 s12, 27
	s_cbranch_scc0 .LBB64_441
; %bb.439:
	global_load_dword v3, v[1:2], off
	s_movk_i32 s0, 0x7fff
	s_waitcnt vmcnt(0)
	v_cvt_f32_u32_e32 v3, v3
	v_bfe_u32 v4, v3, 16, 1
	v_add3_u32 v3, v3, v4, s0
	v_lshrrev_b32_e32 v3, 16, v3
	s_mov_b64 s[0:1], 0
	s_branch .LBB64_442
.LBB64_440:
	s_mov_b64 s[0:1], -1
                                        ; implicit-def: $vgpr3
	s_branch .LBB64_445
.LBB64_441:
	s_mov_b64 s[0:1], -1
                                        ; implicit-def: $vgpr3
.LBB64_442:
	s_andn2_b64 vcc, exec, s[0:1]
	s_cbranch_vccnz .LBB64_444
; %bb.443:
	global_load_ushort v3, v[1:2], off
	s_movk_i32 s0, 0x7fff
	s_waitcnt vmcnt(0)
	v_cvt_f32_u32_e32 v3, v3
	v_bfe_u32 v4, v3, 16, 1
	v_add3_u32 v3, v3, v4, s0
	v_lshrrev_b32_e32 v3, 16, v3
.LBB64_444:
	s_mov_b64 s[0:1], 0
.LBB64_445:
	s_andn2_b64 vcc, exec, s[0:1]
	s_cbranch_vccnz .LBB64_453
; %bb.446:
	global_load_ubyte v3, v[1:2], off
	s_movk_i32 s0, 0x7f
	s_waitcnt vmcnt(0)
	v_cmp_lt_i16_e32 vcc, s0, v3
	s_mov_b64 s[0:1], 0
	s_and_saveexec_b64 s[8:9], vcc
	s_xor_b64 s[8:9], exec, s[8:9]
	s_cbranch_execz .LBB64_467
; %bb.447:
	s_movk_i32 s0, 0x80
	v_cmp_eq_u16_e32 vcc, s0, v3
	s_mov_b64 s[0:1], -1
	s_and_saveexec_b64 s[10:11], vcc
; %bb.448:
	s_xor_b64 s[0:1], exec, -1
; %bb.449:
	s_or_b64 exec, exec, s[10:11]
	s_and_b64 s[0:1], s[0:1], exec
	s_or_saveexec_b64 s[8:9], s[8:9]
	v_mov_b32_e32 v4, 0x7f800001
	s_xor_b64 exec, exec, s[8:9]
	s_cbranch_execnz .LBB64_468
.LBB64_450:
	s_or_b64 exec, exec, s[8:9]
	s_and_saveexec_b64 s[8:9], s[0:1]
	s_cbranch_execz .LBB64_452
.LBB64_451:
	v_lshlrev_b32_e32 v4, 24, v3
	v_and_b32_e32 v3, 0xffff, v3
	v_and_b32_e32 v5, 7, v3
	v_ffbh_u32_e32 v7, v5
	v_min_u32_e32 v7, 32, v7
	v_subrev_u32_e32 v9, 28, v7
	v_bfe_u32 v6, v3, 3, 4
	v_lshlrev_b32_e32 v3, v9, v3
	v_sub_u32_e32 v7, 29, v7
	v_and_b32_e32 v3, 7, v3
	v_cmp_eq_u32_e32 vcc, 0, v6
	v_cndmask_b32_e32 v6, v6, v7, vcc
	v_cndmask_b32_e32 v3, v5, v3, vcc
	v_mov_b32_e32 v5, 0x3b800000
	v_lshlrev_b32_e32 v3, 20, v3
	v_and_b32_e32 v4, 0x80000000, v4
	v_lshl_add_u32 v5, v6, 23, v5
	v_or3_b32 v4, v4, v5, v3
.LBB64_452:
	s_or_b64 exec, exec, s[8:9]
	v_bfe_u32 v3, v4, 16, 1
	s_movk_i32 s0, 0x7fff
	v_add3_u32 v3, v4, v3, s0
	v_cmp_o_f32_e32 vcc, v4, v4
	v_mov_b32_e32 v4, 0x7fc0
	v_cndmask_b32_sdwa v3, v4, v3, vcc dst_sel:DWORD dst_unused:UNUSED_PAD src0_sel:DWORD src1_sel:WORD_1
.LBB64_453:
	s_mov_b64 s[0:1], -1
.LBB64_454:
	s_mov_b64 s[8:9], 0
.LBB64_455:
	s_and_b64 vcc, exec, s[8:9]
	s_cbranch_vccz .LBB64_490
; %bb.456:
	s_cmp_gt_i32 s12, 22
	s_cbranch_scc0 .LBB64_466
; %bb.457:
	s_cmp_lt_i32 s12, 24
	s_cbranch_scc1 .LBB64_469
; %bb.458:
	s_cmp_gt_i32 s12, 24
	s_cbranch_scc0 .LBB64_470
; %bb.459:
	global_load_ubyte v3, v[1:2], off
	s_movk_i32 s0, 0x7f
	s_waitcnt vmcnt(0)
	v_cmp_lt_i16_e32 vcc, s0, v3
	s_mov_b64 s[0:1], 0
	s_and_saveexec_b64 s[8:9], vcc
	s_xor_b64 s[8:9], exec, s[8:9]
	s_cbranch_execz .LBB64_482
; %bb.460:
	s_movk_i32 s0, 0x80
	v_cmp_eq_u16_e32 vcc, s0, v3
	s_mov_b64 s[0:1], -1
	s_and_saveexec_b64 s[10:11], vcc
; %bb.461:
	s_xor_b64 s[0:1], exec, -1
; %bb.462:
	s_or_b64 exec, exec, s[10:11]
	s_and_b64 s[0:1], s[0:1], exec
	s_or_saveexec_b64 s[8:9], s[8:9]
	v_mov_b32_e32 v4, 0x7f800001
	s_xor_b64 exec, exec, s[8:9]
	s_cbranch_execnz .LBB64_483
.LBB64_463:
	s_or_b64 exec, exec, s[8:9]
	s_and_saveexec_b64 s[8:9], s[0:1]
	s_cbranch_execz .LBB64_465
.LBB64_464:
	v_lshlrev_b32_e32 v4, 24, v3
	v_and_b32_e32 v3, 0xffff, v3
	v_and_b32_e32 v5, 3, v3
	v_ffbh_u32_e32 v7, v5
	v_min_u32_e32 v7, 32, v7
	v_subrev_u32_e32 v9, 29, v7
	v_bfe_u32 v6, v3, 2, 5
	v_lshlrev_b32_e32 v3, v9, v3
	v_sub_u32_e32 v7, 30, v7
	v_and_b32_e32 v3, 3, v3
	v_cmp_eq_u32_e32 vcc, 0, v6
	v_cndmask_b32_e32 v6, v6, v7, vcc
	v_cndmask_b32_e32 v3, v5, v3, vcc
	v_mov_b32_e32 v5, 0x37800000
	v_lshlrev_b32_e32 v3, 21, v3
	v_and_b32_e32 v4, 0x80000000, v4
	v_lshl_add_u32 v5, v6, 23, v5
	v_or3_b32 v4, v4, v5, v3
.LBB64_465:
	s_or_b64 exec, exec, s[8:9]
	v_bfe_u32 v3, v4, 16, 1
	s_movk_i32 s0, 0x7fff
	v_add3_u32 v3, v4, v3, s0
	v_cmp_o_f32_e32 vcc, v4, v4
	v_mov_b32_e32 v4, 0x7fc0
	v_cndmask_b32_sdwa v3, v4, v3, vcc dst_sel:DWORD dst_unused:UNUSED_PAD src0_sel:DWORD src1_sel:WORD_1
	s_mov_b64 s[0:1], 0
	s_branch .LBB64_471
.LBB64_466:
	s_mov_b64 s[8:9], -1
                                        ; implicit-def: $vgpr3
	s_branch .LBB64_477
.LBB64_467:
	s_or_saveexec_b64 s[8:9], s[8:9]
	v_mov_b32_e32 v4, 0x7f800001
	s_xor_b64 exec, exec, s[8:9]
	s_cbranch_execz .LBB64_450
.LBB64_468:
	v_cmp_ne_u16_e32 vcc, 0, v3
	s_andn2_b64 s[0:1], s[0:1], exec
	s_and_b64 s[10:11], vcc, exec
	v_mov_b32_e32 v4, 0
	s_or_b64 s[0:1], s[0:1], s[10:11]
	s_or_b64 exec, exec, s[8:9]
	s_and_saveexec_b64 s[8:9], s[0:1]
	s_cbranch_execnz .LBB64_451
	s_branch .LBB64_452
.LBB64_469:
	s_mov_b64 s[0:1], -1
                                        ; implicit-def: $vgpr3
	s_branch .LBB64_474
.LBB64_470:
	s_mov_b64 s[0:1], -1
                                        ; implicit-def: $vgpr3
.LBB64_471:
	s_and_b64 vcc, exec, s[0:1]
	s_cbranch_vccz .LBB64_473
; %bb.472:
	global_load_ubyte v3, v[1:2], off
	s_mov_b32 s0, 0x7f800000
	s_brev_b32 s1, 1
	s_movk_i32 s8, 0x7fff
	s_waitcnt vmcnt(0)
	v_lshlrev_b32_e32 v3, 24, v3
	v_and_b32_e32 v4, 0x7f000000, v3
	v_ffbh_u32_e32 v5, v4
	v_min_u32_e32 v5, 32, v5
	v_sub_u32_e64 v5, v5, 4 clamp
	v_lshlrev_b32_e32 v7, v5, v4
	v_lshlrev_b32_e32 v5, 23, v5
	v_lshrrev_b32_e32 v7, 4, v7
	v_add_u32_e32 v6, 0x1000000, v4
	v_sub_u32_e32 v5, v7, v5
	v_ashrrev_i32_e32 v6, 8, v6
	v_add_u32_e32 v5, 0x3c000000, v5
	v_and_or_b32 v5, v6, s0, v5
	v_cmp_ne_u32_e32 vcc, 0, v4
	v_cndmask_b32_e32 v4, 0, v5, vcc
	v_and_or_b32 v3, v3, s1, v4
	v_bfe_u32 v4, v4, 16, 1
	v_add3_u32 v4, v3, v4, s8
	v_cmp_o_f32_e32 vcc, v3, v3
	v_mov_b32_e32 v3, 0x7fc0
	v_cndmask_b32_sdwa v3, v3, v4, vcc dst_sel:DWORD dst_unused:UNUSED_PAD src0_sel:DWORD src1_sel:WORD_1
.LBB64_473:
	s_mov_b64 s[0:1], 0
.LBB64_474:
	s_andn2_b64 vcc, exec, s[0:1]
	s_cbranch_vccnz .LBB64_476
; %bb.475:
	global_load_ubyte v3, v[1:2], off
	s_movk_i32 s0, 0x7f00
	s_brev_b32 s1, 16
	s_brev_b32 s8, 1
	s_movk_i32 s9, 0x7fff
	s_waitcnt vmcnt(0)
	v_lshlrev_b16_e32 v4, 8, v3
	v_lshlrev_b32_e32 v3, 25, v3
	v_lshrrev_b32_e32 v5, 4, v3
	v_and_or_b32 v6, v4, s0, 0.5
	v_or_b32_e32 v5, 0x70000000, v5
	v_add_f32_e32 v6, -0.5, v6
	v_mul_f32_e32 v5, 0x7800000, v5
	v_cmp_gt_u32_e32 vcc, s1, v3
	v_bfe_i32 v4, v4, 0, 16
	v_cndmask_b32_e32 v3, v5, v6, vcc
	v_and_or_b32 v4, v4, s8, v3
	v_bfe_u32 v3, v3, 16, 1
	v_add3_u32 v3, v4, v3, s9
	v_cmp_o_f32_e32 vcc, v4, v4
	v_mov_b32_e32 v4, 0x7fc0
	v_cndmask_b32_sdwa v3, v4, v3, vcc dst_sel:DWORD dst_unused:UNUSED_PAD src0_sel:DWORD src1_sel:WORD_1
.LBB64_476:
	s_mov_b64 s[8:9], 0
	s_mov_b64 s[0:1], -1
.LBB64_477:
	s_andn2_b64 vcc, exec, s[8:9]
	s_cbranch_vccnz .LBB64_490
; %bb.478:
	s_cmp_gt_i32 s12, 14
	s_cbranch_scc0 .LBB64_481
; %bb.479:
	s_cmp_eq_u32 s12, 15
	s_cbranch_scc0 .LBB64_484
; %bb.480:
	global_load_ushort v3, v[1:2], off
	s_mov_b64 s[0:1], -1
	s_mov_b64 s[2:3], 0
	s_branch .LBB64_485
.LBB64_481:
	s_mov_b64 s[8:9], -1
                                        ; implicit-def: $vgpr3
	s_branch .LBB64_486
.LBB64_482:
	s_or_saveexec_b64 s[8:9], s[8:9]
	v_mov_b32_e32 v4, 0x7f800001
	s_xor_b64 exec, exec, s[8:9]
	s_cbranch_execz .LBB64_463
.LBB64_483:
	v_cmp_ne_u16_e32 vcc, 0, v3
	s_andn2_b64 s[0:1], s[0:1], exec
	s_and_b64 s[10:11], vcc, exec
	v_mov_b32_e32 v4, 0
	s_or_b64 s[0:1], s[0:1], s[10:11]
	s_or_b64 exec, exec, s[8:9]
	s_and_saveexec_b64 s[8:9], s[0:1]
	s_cbranch_execnz .LBB64_464
	s_branch .LBB64_465
.LBB64_484:
	s_mov_b64 s[2:3], -1
                                        ; implicit-def: $vgpr3
.LBB64_485:
	s_mov_b64 s[8:9], 0
.LBB64_486:
	s_and_b64 vcc, exec, s[8:9]
	s_cbranch_vccz .LBB64_490
; %bb.487:
	s_cmp_eq_u32 s12, 11
	s_cbranch_scc0 .LBB64_489
; %bb.488:
	global_load_ubyte v3, v[1:2], off
	s_mov_b64 s[0:1], -1
	s_mov_b64 s[2:3], 0
	s_waitcnt vmcnt(0)
	v_cmp_ne_u16_e32 vcc, 0, v3
	v_cndmask_b32_e64 v3, 0, 1.0, vcc
	v_lshrrev_b32_e32 v3, 16, v3
	s_branch .LBB64_490
.LBB64_489:
	s_mov_b64 s[2:3], -1
                                        ; implicit-def: $vgpr3
.LBB64_490:
	s_branch .LBB64_293
.LBB64_491:
	s_cmp_lt_i32 s12, 5
	s_cbranch_scc1 .LBB64_496
; %bb.492:
	s_cmp_lt_i32 s12, 8
	s_cbranch_scc1 .LBB64_497
; %bb.493:
	;; [unrolled: 3-line block ×3, first 2 shown]
	s_cmp_gt_i32 s12, 9
	s_cbranch_scc0 .LBB64_499
; %bb.495:
	global_load_dwordx2 v[3:4], v[1:2], off
	s_movk_i32 s0, 0x7fff
	s_waitcnt vmcnt(0)
	v_cvt_f32_f64_e32 v3, v[3:4]
	v_mov_b32_e32 v4, 0x7fc0
	v_bfe_u32 v5, v3, 16, 1
	v_cmp_o_f32_e32 vcc, v3, v3
	v_add3_u32 v3, v3, v5, s0
	v_cndmask_b32_sdwa v3, v4, v3, vcc dst_sel:DWORD dst_unused:UNUSED_PAD src0_sel:DWORD src1_sel:WORD_1
	s_mov_b64 s[0:1], 0
	s_branch .LBB64_500
.LBB64_496:
	s_mov_b64 s[0:1], -1
                                        ; implicit-def: $vgpr3
	s_branch .LBB64_518
.LBB64_497:
	s_mov_b64 s[0:1], -1
                                        ; implicit-def: $vgpr3
	s_branch .LBB64_506
.LBB64_498:
	s_mov_b64 s[0:1], -1
                                        ; implicit-def: $vgpr3
	s_branch .LBB64_503
.LBB64_499:
	s_mov_b64 s[0:1], -1
                                        ; implicit-def: $vgpr3
.LBB64_500:
	s_andn2_b64 vcc, exec, s[0:1]
	s_cbranch_vccnz .LBB64_502
; %bb.501:
	global_load_dword v3, v[1:2], off
	s_movk_i32 s0, 0x7fff
	v_mov_b32_e32 v4, 0x7fc0
	s_waitcnt vmcnt(0)
	v_bfe_u32 v5, v3, 16, 1
	v_cmp_o_f32_e32 vcc, v3, v3
	v_add3_u32 v3, v3, v5, s0
	v_cndmask_b32_sdwa v3, v4, v3, vcc dst_sel:DWORD dst_unused:UNUSED_PAD src0_sel:DWORD src1_sel:WORD_1
.LBB64_502:
	s_mov_b64 s[0:1], 0
.LBB64_503:
	s_andn2_b64 vcc, exec, s[0:1]
	s_cbranch_vccnz .LBB64_505
; %bb.504:
	global_load_dword v3, v[1:2], off
	s_movk_i32 s0, 0x7fff
	v_mov_b32_e32 v5, 0x7fc0
	s_waitcnt vmcnt(0)
	v_cvt_f32_f16_e32 v4, v3
	v_cmp_o_f16_e32 vcc, v3, v3
	v_bfe_u32 v3, v4, 16, 1
	v_add3_u32 v3, v4, v3, s0
	v_cndmask_b32_sdwa v3, v5, v3, vcc dst_sel:DWORD dst_unused:UNUSED_PAD src0_sel:DWORD src1_sel:WORD_1
.LBB64_505:
	s_mov_b64 s[0:1], 0
.LBB64_506:
	s_andn2_b64 vcc, exec, s[0:1]
	s_cbranch_vccnz .LBB64_517
; %bb.507:
	s_cmp_lt_i32 s12, 6
	s_cbranch_scc1 .LBB64_510
; %bb.508:
	s_cmp_gt_i32 s12, 6
	s_cbranch_scc0 .LBB64_511
; %bb.509:
	global_load_dwordx2 v[3:4], v[1:2], off
	s_movk_i32 s0, 0x7fff
	s_waitcnt vmcnt(0)
	v_cvt_f32_f64_e32 v3, v[3:4]
	v_mov_b32_e32 v4, 0x7fc0
	v_bfe_u32 v5, v3, 16, 1
	v_cmp_o_f32_e32 vcc, v3, v3
	v_add3_u32 v3, v3, v5, s0
	v_cndmask_b32_sdwa v3, v4, v3, vcc dst_sel:DWORD dst_unused:UNUSED_PAD src0_sel:DWORD src1_sel:WORD_1
	s_mov_b64 s[0:1], 0
	s_branch .LBB64_512
.LBB64_510:
	s_mov_b64 s[0:1], -1
                                        ; implicit-def: $vgpr3
	s_branch .LBB64_515
.LBB64_511:
	s_mov_b64 s[0:1], -1
                                        ; implicit-def: $vgpr3
.LBB64_512:
	s_andn2_b64 vcc, exec, s[0:1]
	s_cbranch_vccnz .LBB64_514
; %bb.513:
	global_load_dword v3, v[1:2], off
	s_movk_i32 s0, 0x7fff
	v_mov_b32_e32 v4, 0x7fc0
	s_waitcnt vmcnt(0)
	v_bfe_u32 v5, v3, 16, 1
	v_cmp_o_f32_e32 vcc, v3, v3
	v_add3_u32 v3, v3, v5, s0
	v_cndmask_b32_sdwa v3, v4, v3, vcc dst_sel:DWORD dst_unused:UNUSED_PAD src0_sel:DWORD src1_sel:WORD_1
.LBB64_514:
	s_mov_b64 s[0:1], 0
.LBB64_515:
	s_andn2_b64 vcc, exec, s[0:1]
	s_cbranch_vccnz .LBB64_517
; %bb.516:
	global_load_ushort v3, v[1:2], off
	s_movk_i32 s0, 0x7fff
	v_mov_b32_e32 v5, 0x7fc0
	s_waitcnt vmcnt(0)
	v_cvt_f32_f16_e32 v4, v3
	v_cmp_o_f16_e32 vcc, v3, v3
	v_bfe_u32 v3, v4, 16, 1
	v_add3_u32 v3, v4, v3, s0
	v_cndmask_b32_sdwa v3, v5, v3, vcc dst_sel:DWORD dst_unused:UNUSED_PAD src0_sel:DWORD src1_sel:WORD_1
.LBB64_517:
	s_mov_b64 s[0:1], 0
.LBB64_518:
	s_andn2_b64 vcc, exec, s[0:1]
	s_cbranch_vccnz .LBB64_538
; %bb.519:
	s_cmp_lt_i32 s12, 2
	s_cbranch_scc1 .LBB64_523
; %bb.520:
	s_cmp_lt_i32 s12, 3
	s_cbranch_scc1 .LBB64_524
; %bb.521:
	s_cmp_gt_i32 s12, 3
	s_cbranch_scc0 .LBB64_525
; %bb.522:
	global_load_dwordx2 v[3:4], v[1:2], off
	s_movk_i32 s0, 0x7fff
	s_waitcnt vmcnt(0)
	v_xor_b32_e32 v6, v3, v4
	v_ffbh_i32_e32 v5, v4
	v_ashrrev_i32_e32 v6, 31, v6
	v_add_u32_e32 v5, -1, v5
	v_add_u32_e32 v6, 32, v6
	v_min_u32_e32 v5, v5, v6
	v_lshlrev_b64 v[3:4], v5, v[3:4]
	v_min_u32_e32 v3, 1, v3
	v_or_b32_e32 v3, v4, v3
	v_cvt_f32_i32_e32 v3, v3
	v_sub_u32_e32 v4, 32, v5
	v_ldexp_f32 v3, v3, v4
	v_bfe_u32 v4, v3, 16, 1
	v_add3_u32 v3, v3, v4, s0
	v_lshrrev_b32_e32 v3, 16, v3
	s_mov_b64 s[0:1], 0
	s_branch .LBB64_526
.LBB64_523:
	s_mov_b64 s[0:1], -1
                                        ; implicit-def: $vgpr3
	s_branch .LBB64_532
.LBB64_524:
	s_mov_b64 s[0:1], -1
                                        ; implicit-def: $vgpr3
	s_branch .LBB64_529
.LBB64_525:
	s_mov_b64 s[0:1], -1
                                        ; implicit-def: $vgpr3
.LBB64_526:
	s_andn2_b64 vcc, exec, s[0:1]
	s_cbranch_vccnz .LBB64_528
; %bb.527:
	global_load_dword v3, v[1:2], off
	s_movk_i32 s0, 0x7fff
	s_waitcnt vmcnt(0)
	v_cvt_f32_i32_e32 v3, v3
	v_bfe_u32 v4, v3, 16, 1
	v_add3_u32 v3, v3, v4, s0
	v_lshrrev_b32_e32 v3, 16, v3
.LBB64_528:
	s_mov_b64 s[0:1], 0
.LBB64_529:
	s_andn2_b64 vcc, exec, s[0:1]
	s_cbranch_vccnz .LBB64_531
; %bb.530:
	global_load_sshort v3, v[1:2], off
	s_movk_i32 s0, 0x7fff
	s_waitcnt vmcnt(0)
	v_cvt_f32_i32_e32 v3, v3
	v_bfe_u32 v4, v3, 16, 1
	v_add3_u32 v3, v3, v4, s0
	v_lshrrev_b32_e32 v3, 16, v3
.LBB64_531:
	s_mov_b64 s[0:1], 0
.LBB64_532:
	s_andn2_b64 vcc, exec, s[0:1]
	s_cbranch_vccnz .LBB64_538
; %bb.533:
	s_cmp_gt_i32 s12, 0
	s_cbranch_scc0 .LBB64_535
; %bb.534:
	global_load_sbyte v3, v[1:2], off
	s_movk_i32 s0, 0x7fff
	s_waitcnt vmcnt(0)
	v_cvt_f32_i32_e32 v3, v3
	v_bfe_u32 v4, v3, 16, 1
	v_add3_u32 v3, v3, v4, s0
	v_lshrrev_b32_e32 v3, 16, v3
	s_mov_b64 s[0:1], 0
	s_branch .LBB64_536
.LBB64_535:
	s_mov_b64 s[0:1], -1
                                        ; implicit-def: $vgpr3
.LBB64_536:
	s_andn2_b64 vcc, exec, s[0:1]
	s_cbranch_vccnz .LBB64_538
; %bb.537:
	global_load_ubyte v1, v[1:2], off
	s_movk_i32 s0, 0x7fff
	s_waitcnt vmcnt(0)
	v_cvt_f32_ubyte0_e32 v1, v1
	v_bfe_u32 v2, v1, 16, 1
	v_add3_u32 v1, v1, v2, s0
	v_lshrrev_b32_e32 v3, 16, v1
.LBB64_538:
	s_branch .LBB64_294
.LBB64_539:
	s_mov_b64 s[8:9], 0
	s_mov_b64 s[0:1], s[52:53]
.LBB64_540:
                                        ; implicit-def: $vgpr8
.LBB64_541:
	s_andn2_b64 s[10:11], s[52:53], exec
	s_and_b64 s[0:1], s[0:1], exec
	s_or_b64 s[60:61], s[10:11], s[0:1]
	s_andn2_b64 s[0:1], s[54:55], exec
	s_and_b64 s[2:3], s[2:3], exec
	s_or_b64 s[58:59], s[0:1], s[2:3]
	s_orn2_b64 s[0:1], s[8:9], exec
.LBB64_542:
	s_or_b64 exec, exec, s[62:63]
	s_mov_b64 s[2:3], 0
	s_mov_b64 s[8:9], 0
	;; [unrolled: 1-line block ×3, first 2 shown]
                                        ; implicit-def: $vgpr1_vgpr2
                                        ; implicit-def: $vgpr0
                                        ; implicit-def: $vgpr4
	s_and_saveexec_b64 s[62:63], s[0:1]
	s_cbranch_execz .LBB64_917
; %bb.543:
	v_cmp_gt_i32_e32 vcc, s70, v8
	s_mov_b64 s[2:3], -1
	s_mov_b64 s[66:67], s[58:59]
	s_mov_b64 s[68:69], s[60:61]
	s_and_saveexec_b64 s[64:65], vcc
	s_cbranch_execz .LBB64_817
; %bb.544:
	s_andn2_b64 vcc, exec, s[40:41]
	s_cbranch_vccnz .LBB64_549
; %bb.545:
	s_andn2_b64 vcc, exec, s[50:51]
	s_cbranch_vccnz .LBB64_550
; %bb.546:
	s_add_i32 s76, s75, 1
	s_cmp_eq_u32 s72, 2
	s_cbranch_scc1 .LBB64_551
; %bb.547:
	s_and_b32 s71, s76, 28
	v_mov_b32_e32 v2, 0
	s_mov_b32 s77, 0
	s_mov_b64 s[66:67], s[34:35]
	s_mov_b64 s[68:69], s[48:49]
	v_mov_b32_e32 v0, 0
	v_mov_b32_e32 v1, v8
.LBB64_548:                             ; =>This Inner Loop Header: Depth=1
	s_load_dwordx8 s[16:23], s[66:67], 0x4
	s_load_dwordx4 s[0:3], s[66:67], 0x24
	s_load_dwordx8 s[8:15], s[68:69], 0x0
	s_add_u32 s66, s66, 48
	s_addc_u32 s67, s67, 0
	s_waitcnt vmcnt(0) lgkmcnt(0)
	v_mul_hi_u32 v3, s17, v1
	s_add_i32 s77, s77, 4
	s_add_u32 s68, s68, 32
	s_addc_u32 s69, s69, 0
	v_add_u32_e32 v3, v1, v3
	v_lshrrev_b32_e32 v3, s18, v3
	v_mul_lo_u32 v4, v3, s16
	v_mul_hi_u32 v5, s20, v3
	s_cmp_eq_u32 s71, s77
	v_sub_u32_e32 v1, v1, v4
	v_add_u32_e32 v4, v3, v5
	v_mul_lo_u32 v5, v1, s8
	v_mul_lo_u32 v6, v1, s9
	v_lshrrev_b32_e32 v1, s21, v4
	v_mul_lo_u32 v4, v1, s19
	v_mul_hi_u32 v7, s23, v1
	v_sub_u32_e32 v3, v3, v4
	v_add_u32_e32 v4, v1, v7
	v_lshrrev_b32_e32 v4, s0, v4
	v_mul_hi_u32 v9, s2, v4
	v_mul_lo_u32 v10, v4, s22
	v_mul_lo_u32 v7, v3, s10
	;; [unrolled: 1-line block ×3, first 2 shown]
	v_sub_u32_e32 v10, v1, v10
	v_add_u32_e32 v1, v4, v9
	v_lshrrev_b32_e32 v1, s3, v1
	v_mul_lo_u32 v9, v1, s1
	v_mul_lo_u32 v11, v10, s12
	;; [unrolled: 1-line block ×3, first 2 shown]
	v_add3_u32 v0, v5, v0, v7
	v_sub_u32_e32 v4, v4, v9
	v_mul_lo_u32 v9, v4, s14
	v_mul_lo_u32 v4, v4, s15
	v_add3_u32 v2, v6, v2, v3
	v_add3_u32 v0, v11, v0, v9
	;; [unrolled: 1-line block ×3, first 2 shown]
	s_cbranch_scc0 .LBB64_548
	s_branch .LBB64_552
.LBB64_549:
	s_mov_b64 s[0:1], -1
                                        ; implicit-def: $vgpr0
                                        ; implicit-def: $vgpr2
	s_branch .LBB64_556
.LBB64_550:
	v_mov_b32_e32 v0, 0
	v_mov_b32_e32 v2, 0
	s_branch .LBB64_555
.LBB64_551:
	s_mov_b32 s71, 0
	v_mov_b32_e32 v0, 0
	v_mov_b32_e32 v2, 0
	;; [unrolled: 1-line block ×3, first 2 shown]
.LBB64_552:
	s_and_b32 s8, s76, 3
	s_cmp_eq_u32 s8, 0
	s_cbranch_scc1 .LBB64_555
; %bb.553:
	s_lshl_b32 s0, s71, 3
	s_add_u32 s0, s34, s0
	s_addc_u32 s1, s35, 0
	s_add_u32 s0, s0, 0xc4
	s_addc_u32 s1, s1, 0
	s_mul_i32 s2, s71, 12
	s_add_u32 s2, s34, s2
	s_addc_u32 s3, s35, 0
.LBB64_554:                             ; =>This Inner Loop Header: Depth=1
	s_load_dwordx2 s[10:11], s[2:3], 0x4
	s_load_dword s9, s[2:3], 0xc
	s_load_dwordx2 s[12:13], s[0:1], 0x0
	s_add_u32 s2, s2, 12
	s_addc_u32 s3, s3, 0
	s_waitcnt vmcnt(0) lgkmcnt(0)
	v_mul_hi_u32 v3, s11, v1
	s_add_u32 s0, s0, 8
	s_addc_u32 s1, s1, 0
	s_add_i32 s8, s8, -1
	v_add_u32_e32 v3, v1, v3
	v_lshrrev_b32_e32 v4, s9, v3
	v_mul_lo_u32 v3, v4, s10
	s_cmp_lg_u32 s8, 0
	v_sub_u32_e32 v3, v1, v3
	v_mad_u64_u32 v[0:1], s[10:11], v3, s12, v[0:1]
	v_mad_u64_u32 v[2:3], s[10:11], v3, s13, v[2:3]
	v_mov_b32_e32 v1, v4
	s_cbranch_scc1 .LBB64_554
.LBB64_555:
	s_mov_b64 s[0:1], 0
.LBB64_556:
	s_andn2_b64 vcc, exec, s[0:1]
	s_cbranch_vccnz .LBB64_559
; %bb.557:
	s_waitcnt lgkmcnt(0)
	v_mul_hi_u32 v0, s37, v8
	s_andn2_b64 vcc, exec, s[46:47]
	v_add_u32_e32 v0, v8, v0
	v_lshrrev_b32_e32 v1, s38, v0
	v_mul_lo_u32 v0, v1, s36
	v_sub_u32_e32 v2, v8, v0
	v_mul_lo_u32 v0, v2, s28
	v_mul_lo_u32 v2, v2, s29
	s_cbranch_vccnz .LBB64_559
; %bb.558:
	s_waitcnt vmcnt(0)
	v_mul_hi_u32 v3, s44, v1
	v_add_u32_e32 v3, v1, v3
	v_lshrrev_b32_e32 v3, s45, v3
	v_mul_lo_u32 v3, v3, s39
	v_sub_u32_e32 v3, v1, v3
	v_mad_u64_u32 v[0:1], s[0:1], v3, s30, v[0:1]
	v_mad_u64_u32 v[2:3], s[0:1], v3, s31, v[2:3]
.LBB64_559:
	s_waitcnt vmcnt(0) lgkmcnt(0)
	v_mov_b32_e32 v3, s27
	s_and_b32 s12, 0xffff, s74
	v_add_co_u32_e32 v1, vcc, s26, v2
	s_cmp_lt_i32 s12, 11
	v_addc_co_u32_e32 v2, vcc, 0, v3, vcc
	s_cbranch_scc1 .LBB64_566
; %bb.560:
	s_cmp_gt_i32 s12, 25
	s_cbranch_scc0 .LBB64_567
; %bb.561:
	s_cmp_gt_i32 s12, 28
	s_cbranch_scc0 .LBB64_568
	;; [unrolled: 3-line block ×4, first 2 shown]
; %bb.564:
	s_cmp_eq_u32 s12, 46
	s_mov_b64 s[8:9], 0
	s_cbranch_scc0 .LBB64_575
; %bb.565:
	global_load_dword v3, v[1:2], off
	s_mov_b64 s[0:1], -1
	s_mov_b64 s[2:3], 0
	s_branch .LBB64_576
.LBB64_566:
	s_mov_b64 s[8:9], -1
	s_mov_b64 s[0:1], 0
                                        ; implicit-def: $vgpr3
	s_mov_b64 s[2:3], s[58:59]
	s_branch .LBB64_641
.LBB64_567:
	s_mov_b64 s[8:9], -1
	s_mov_b64 s[0:1], 0
	s_mov_b64 s[2:3], s[58:59]
                                        ; implicit-def: $vgpr3
	s_branch .LBB64_605
.LBB64_568:
	s_mov_b64 s[8:9], -1
	s_mov_b64 s[0:1], 0
	s_mov_b64 s[2:3], s[58:59]
                                        ; implicit-def: $vgpr3
	s_branch .LBB64_586
.LBB64_569:
	s_mov_b64 s[8:9], -1
	s_mov_b64 s[0:1], 0
	s_mov_b64 s[2:3], s[58:59]
                                        ; implicit-def: $vgpr3
	s_branch .LBB64_581
.LBB64_570:
	s_andn2_saveexec_b64 s[12:13], s[12:13]
	s_cbranch_execz .LBB64_339
.LBB64_571:
	s_mov_b32 s16, 0x46000000
	v_add_f32_e64 v4, |v5|, s16
	v_and_b32_e32 v4, 0xff, v4
	v_cmp_ne_u32_e32 vcc, 0, v4
	s_andn2_b64 s[10:11], s[10:11], exec
	s_and_b64 s[16:17], vcc, exec
	s_or_b64 s[10:11], s[10:11], s[16:17]
	s_or_b64 exec, exec, s[12:13]
	v_mov_b32_e32 v6, 0
	s_and_saveexec_b64 s[12:13], s[10:11]
	s_cbranch_execnz .LBB64_340
	s_branch .LBB64_341
.LBB64_572:
	s_mov_b64 s[8:9], -1
	s_mov_b64 s[0:1], 0
	s_mov_b64 s[2:3], s[58:59]
                                        ; implicit-def: $vgpr3
	s_branch .LBB64_576
.LBB64_573:
	s_andn2_saveexec_b64 s[12:13], s[12:13]
	s_cbranch_execz .LBB64_352
.LBB64_574:
	s_mov_b32 s16, 0x42800000
	v_add_f32_e64 v4, |v5|, s16
	v_and_b32_e32 v4, 0xff, v4
	v_cmp_ne_u32_e32 vcc, 0, v4
	s_andn2_b64 s[10:11], s[10:11], exec
	s_and_b64 s[16:17], vcc, exec
	s_or_b64 s[10:11], s[10:11], s[16:17]
	s_or_b64 exec, exec, s[12:13]
	v_mov_b32_e32 v6, 0
	s_and_saveexec_b64 s[12:13], s[10:11]
	s_cbranch_execnz .LBB64_353
	s_branch .LBB64_354
.LBB64_575:
	s_mov_b64 s[2:3], -1
                                        ; implicit-def: $vgpr3
	s_mov_b64 s[0:1], 0
.LBB64_576:
	s_and_b64 vcc, exec, s[8:9]
	s_cbranch_vccz .LBB64_580
; %bb.577:
	s_cmp_eq_u32 s12, 44
	s_cbranch_scc0 .LBB64_579
; %bb.578:
	global_load_ubyte v3, v[1:2], off
	s_movk_i32 s2, 0xff
	v_mov_b32_e32 v4, 0x7f800001
	v_mov_b32_e32 v5, 0x400000
	;; [unrolled: 1-line block ×3, first 2 shown]
	s_mov_b64 s[0:1], -1
	s_waitcnt vmcnt(0)
	v_lshlrev_b32_e32 v7, 23, v3
	v_cmp_ne_u32_e32 vcc, s2, v3
	v_cndmask_b32_e32 v4, v4, v7, vcc
	v_cmp_ne_u32_e32 vcc, 0, v3
	v_cndmask_b32_e32 v3, v5, v4, vcc
	v_add_u32_e32 v4, 0x7fff, v3
	v_cmp_o_f32_e32 vcc, v3, v3
	v_cndmask_b32_sdwa v3, v6, v4, vcc dst_sel:DWORD dst_unused:UNUSED_PAD src0_sel:DWORD src1_sel:WORD_1
	s_mov_b64 s[2:3], 0
	s_branch .LBB64_580
.LBB64_579:
	s_mov_b64 s[2:3], -1
                                        ; implicit-def: $vgpr3
.LBB64_580:
	s_mov_b64 s[8:9], 0
.LBB64_581:
	s_and_b64 vcc, exec, s[8:9]
	s_cbranch_vccz .LBB64_585
; %bb.582:
	s_cmp_eq_u32 s12, 29
	s_cbranch_scc0 .LBB64_584
; %bb.583:
	global_load_dwordx2 v[3:4], v[1:2], off
	s_movk_i32 s2, 0x7fff
	s_mov_b64 s[0:1], -1
	s_mov_b64 s[8:9], 0
	s_waitcnt vmcnt(0)
	v_ffbh_u32_e32 v5, v4
	v_min_u32_e32 v5, 32, v5
	v_lshlrev_b64 v[3:4], v5, v[3:4]
	v_min_u32_e32 v3, 1, v3
	v_or_b32_e32 v3, v4, v3
	v_cvt_f32_u32_e32 v3, v3
	v_sub_u32_e32 v4, 32, v5
	v_ldexp_f32 v3, v3, v4
	v_bfe_u32 v4, v3, 16, 1
	v_add3_u32 v3, v3, v4, s2
	v_lshrrev_b32_e32 v3, 16, v3
	s_mov_b64 s[2:3], 0
	s_branch .LBB64_586
.LBB64_584:
	s_mov_b64 s[2:3], -1
                                        ; implicit-def: $vgpr3
.LBB64_585:
	s_mov_b64 s[8:9], 0
.LBB64_586:
	s_and_b64 vcc, exec, s[8:9]
	s_cbranch_vccz .LBB64_604
; %bb.587:
	s_cmp_lt_i32 s12, 27
	s_cbranch_scc1 .LBB64_590
; %bb.588:
	s_cmp_gt_i32 s12, 27
	s_cbranch_scc0 .LBB64_591
; %bb.589:
	global_load_dword v3, v[1:2], off
	s_movk_i32 s0, 0x7fff
	s_waitcnt vmcnt(0)
	v_cvt_f32_u32_e32 v3, v3
	v_bfe_u32 v4, v3, 16, 1
	v_add3_u32 v3, v3, v4, s0
	v_lshrrev_b32_e32 v3, 16, v3
	s_mov_b64 s[0:1], 0
	s_branch .LBB64_592
.LBB64_590:
	s_mov_b64 s[0:1], -1
                                        ; implicit-def: $vgpr3
	s_branch .LBB64_595
.LBB64_591:
	s_mov_b64 s[0:1], -1
                                        ; implicit-def: $vgpr3
.LBB64_592:
	s_andn2_b64 vcc, exec, s[0:1]
	s_cbranch_vccnz .LBB64_594
; %bb.593:
	global_load_ushort v3, v[1:2], off
	s_movk_i32 s0, 0x7fff
	s_waitcnt vmcnt(0)
	v_cvt_f32_u32_e32 v3, v3
	v_bfe_u32 v4, v3, 16, 1
	v_add3_u32 v3, v3, v4, s0
	v_lshrrev_b32_e32 v3, 16, v3
.LBB64_594:
	s_mov_b64 s[0:1], 0
.LBB64_595:
	s_andn2_b64 vcc, exec, s[0:1]
	s_cbranch_vccnz .LBB64_603
; %bb.596:
	global_load_ubyte v3, v[1:2], off
	s_movk_i32 s0, 0x7f
	s_waitcnt vmcnt(0)
	v_cmp_lt_i16_e32 vcc, s0, v3
	s_mov_b64 s[0:1], 0
	s_and_saveexec_b64 s[8:9], vcc
	s_xor_b64 s[8:9], exec, s[8:9]
	s_cbranch_execz .LBB64_617
; %bb.597:
	s_movk_i32 s0, 0x80
	v_cmp_eq_u16_e32 vcc, s0, v3
	s_mov_b64 s[0:1], -1
	s_and_saveexec_b64 s[10:11], vcc
; %bb.598:
	s_xor_b64 s[0:1], exec, -1
; %bb.599:
	s_or_b64 exec, exec, s[10:11]
	s_and_b64 s[0:1], s[0:1], exec
	s_or_saveexec_b64 s[8:9], s[8:9]
	v_mov_b32_e32 v4, 0x7f800001
	s_xor_b64 exec, exec, s[8:9]
	s_cbranch_execnz .LBB64_618
.LBB64_600:
	s_or_b64 exec, exec, s[8:9]
	s_and_saveexec_b64 s[8:9], s[0:1]
	s_cbranch_execz .LBB64_602
.LBB64_601:
	v_lshlrev_b32_e32 v4, 24, v3
	v_and_b32_e32 v3, 0xffff, v3
	v_and_b32_e32 v5, 7, v3
	v_ffbh_u32_e32 v7, v5
	v_min_u32_e32 v7, 32, v7
	v_subrev_u32_e32 v9, 28, v7
	v_bfe_u32 v6, v3, 3, 4
	v_lshlrev_b32_e32 v3, v9, v3
	v_sub_u32_e32 v7, 29, v7
	v_and_b32_e32 v3, 7, v3
	v_cmp_eq_u32_e32 vcc, 0, v6
	v_cndmask_b32_e32 v6, v6, v7, vcc
	v_cndmask_b32_e32 v3, v5, v3, vcc
	v_mov_b32_e32 v5, 0x3b800000
	v_lshlrev_b32_e32 v3, 20, v3
	v_and_b32_e32 v4, 0x80000000, v4
	v_lshl_add_u32 v5, v6, 23, v5
	v_or3_b32 v4, v4, v5, v3
.LBB64_602:
	s_or_b64 exec, exec, s[8:9]
	v_bfe_u32 v3, v4, 16, 1
	s_movk_i32 s0, 0x7fff
	v_add3_u32 v3, v4, v3, s0
	v_cmp_o_f32_e32 vcc, v4, v4
	v_mov_b32_e32 v4, 0x7fc0
	v_cndmask_b32_sdwa v3, v4, v3, vcc dst_sel:DWORD dst_unused:UNUSED_PAD src0_sel:DWORD src1_sel:WORD_1
.LBB64_603:
	s_mov_b64 s[0:1], -1
.LBB64_604:
	s_mov_b64 s[8:9], 0
.LBB64_605:
	s_and_b64 vcc, exec, s[8:9]
	s_cbranch_vccz .LBB64_640
; %bb.606:
	s_cmp_gt_i32 s12, 22
	s_cbranch_scc0 .LBB64_616
; %bb.607:
	s_cmp_lt_i32 s12, 24
	s_cbranch_scc1 .LBB64_619
; %bb.608:
	s_cmp_gt_i32 s12, 24
	s_cbranch_scc0 .LBB64_620
; %bb.609:
	global_load_ubyte v3, v[1:2], off
	s_movk_i32 s0, 0x7f
	s_waitcnt vmcnt(0)
	v_cmp_lt_i16_e32 vcc, s0, v3
	s_mov_b64 s[0:1], 0
	s_and_saveexec_b64 s[8:9], vcc
	s_xor_b64 s[8:9], exec, s[8:9]
	s_cbranch_execz .LBB64_632
; %bb.610:
	s_movk_i32 s0, 0x80
	v_cmp_eq_u16_e32 vcc, s0, v3
	s_mov_b64 s[0:1], -1
	s_and_saveexec_b64 s[10:11], vcc
; %bb.611:
	s_xor_b64 s[0:1], exec, -1
; %bb.612:
	s_or_b64 exec, exec, s[10:11]
	s_and_b64 s[0:1], s[0:1], exec
	s_or_saveexec_b64 s[8:9], s[8:9]
	v_mov_b32_e32 v4, 0x7f800001
	s_xor_b64 exec, exec, s[8:9]
	s_cbranch_execnz .LBB64_633
.LBB64_613:
	s_or_b64 exec, exec, s[8:9]
	s_and_saveexec_b64 s[8:9], s[0:1]
	s_cbranch_execz .LBB64_615
.LBB64_614:
	v_lshlrev_b32_e32 v4, 24, v3
	v_and_b32_e32 v3, 0xffff, v3
	v_and_b32_e32 v5, 3, v3
	v_ffbh_u32_e32 v7, v5
	v_min_u32_e32 v7, 32, v7
	v_subrev_u32_e32 v9, 29, v7
	v_bfe_u32 v6, v3, 2, 5
	v_lshlrev_b32_e32 v3, v9, v3
	v_sub_u32_e32 v7, 30, v7
	v_and_b32_e32 v3, 3, v3
	v_cmp_eq_u32_e32 vcc, 0, v6
	v_cndmask_b32_e32 v6, v6, v7, vcc
	v_cndmask_b32_e32 v3, v5, v3, vcc
	v_mov_b32_e32 v5, 0x37800000
	v_lshlrev_b32_e32 v3, 21, v3
	v_and_b32_e32 v4, 0x80000000, v4
	v_lshl_add_u32 v5, v6, 23, v5
	v_or3_b32 v4, v4, v5, v3
.LBB64_615:
	s_or_b64 exec, exec, s[8:9]
	v_bfe_u32 v3, v4, 16, 1
	s_movk_i32 s0, 0x7fff
	v_add3_u32 v3, v4, v3, s0
	v_cmp_o_f32_e32 vcc, v4, v4
	v_mov_b32_e32 v4, 0x7fc0
	v_cndmask_b32_sdwa v3, v4, v3, vcc dst_sel:DWORD dst_unused:UNUSED_PAD src0_sel:DWORD src1_sel:WORD_1
	s_mov_b64 s[0:1], 0
	s_branch .LBB64_621
.LBB64_616:
	s_mov_b64 s[8:9], -1
                                        ; implicit-def: $vgpr3
	s_branch .LBB64_627
.LBB64_617:
	s_or_saveexec_b64 s[8:9], s[8:9]
	v_mov_b32_e32 v4, 0x7f800001
	s_xor_b64 exec, exec, s[8:9]
	s_cbranch_execz .LBB64_600
.LBB64_618:
	v_cmp_ne_u16_e32 vcc, 0, v3
	s_andn2_b64 s[0:1], s[0:1], exec
	s_and_b64 s[10:11], vcc, exec
	v_mov_b32_e32 v4, 0
	s_or_b64 s[0:1], s[0:1], s[10:11]
	s_or_b64 exec, exec, s[8:9]
	s_and_saveexec_b64 s[8:9], s[0:1]
	s_cbranch_execnz .LBB64_601
	s_branch .LBB64_602
.LBB64_619:
	s_mov_b64 s[0:1], -1
                                        ; implicit-def: $vgpr3
	s_branch .LBB64_624
.LBB64_620:
	s_mov_b64 s[0:1], -1
                                        ; implicit-def: $vgpr3
.LBB64_621:
	s_and_b64 vcc, exec, s[0:1]
	s_cbranch_vccz .LBB64_623
; %bb.622:
	global_load_ubyte v3, v[1:2], off
	s_mov_b32 s0, 0x7f800000
	s_brev_b32 s1, 1
	s_movk_i32 s8, 0x7fff
	s_waitcnt vmcnt(0)
	v_lshlrev_b32_e32 v3, 24, v3
	v_and_b32_e32 v4, 0x7f000000, v3
	v_ffbh_u32_e32 v5, v4
	v_min_u32_e32 v5, 32, v5
	v_sub_u32_e64 v5, v5, 4 clamp
	v_lshlrev_b32_e32 v7, v5, v4
	v_lshlrev_b32_e32 v5, 23, v5
	v_lshrrev_b32_e32 v7, 4, v7
	v_add_u32_e32 v6, 0x1000000, v4
	v_sub_u32_e32 v5, v7, v5
	v_ashrrev_i32_e32 v6, 8, v6
	v_add_u32_e32 v5, 0x3c000000, v5
	v_and_or_b32 v5, v6, s0, v5
	v_cmp_ne_u32_e32 vcc, 0, v4
	v_cndmask_b32_e32 v4, 0, v5, vcc
	v_and_or_b32 v3, v3, s1, v4
	v_bfe_u32 v4, v4, 16, 1
	v_add3_u32 v4, v3, v4, s8
	v_cmp_o_f32_e32 vcc, v3, v3
	v_mov_b32_e32 v3, 0x7fc0
	v_cndmask_b32_sdwa v3, v3, v4, vcc dst_sel:DWORD dst_unused:UNUSED_PAD src0_sel:DWORD src1_sel:WORD_1
.LBB64_623:
	s_mov_b64 s[0:1], 0
.LBB64_624:
	s_andn2_b64 vcc, exec, s[0:1]
	s_cbranch_vccnz .LBB64_626
; %bb.625:
	global_load_ubyte v3, v[1:2], off
	s_movk_i32 s0, 0x7f00
	s_brev_b32 s1, 16
	s_brev_b32 s8, 1
	s_movk_i32 s9, 0x7fff
	s_waitcnt vmcnt(0)
	v_lshlrev_b16_e32 v4, 8, v3
	v_lshlrev_b32_e32 v3, 25, v3
	v_lshrrev_b32_e32 v5, 4, v3
	v_and_or_b32 v6, v4, s0, 0.5
	v_or_b32_e32 v5, 0x70000000, v5
	v_add_f32_e32 v6, -0.5, v6
	v_mul_f32_e32 v5, 0x7800000, v5
	v_cmp_gt_u32_e32 vcc, s1, v3
	v_bfe_i32 v4, v4, 0, 16
	v_cndmask_b32_e32 v3, v5, v6, vcc
	v_and_or_b32 v4, v4, s8, v3
	v_bfe_u32 v3, v3, 16, 1
	v_add3_u32 v3, v4, v3, s9
	v_cmp_o_f32_e32 vcc, v4, v4
	v_mov_b32_e32 v4, 0x7fc0
	v_cndmask_b32_sdwa v3, v4, v3, vcc dst_sel:DWORD dst_unused:UNUSED_PAD src0_sel:DWORD src1_sel:WORD_1
.LBB64_626:
	s_mov_b64 s[8:9], 0
	s_mov_b64 s[0:1], -1
.LBB64_627:
	s_andn2_b64 vcc, exec, s[8:9]
	s_cbranch_vccnz .LBB64_640
; %bb.628:
	s_cmp_gt_i32 s12, 14
	s_cbranch_scc0 .LBB64_631
; %bb.629:
	s_cmp_eq_u32 s12, 15
	s_cbranch_scc0 .LBB64_634
; %bb.630:
	global_load_ushort v3, v[1:2], off
	s_mov_b64 s[0:1], -1
	s_mov_b64 s[2:3], 0
	s_branch .LBB64_635
.LBB64_631:
	s_mov_b64 s[8:9], -1
                                        ; implicit-def: $vgpr3
	s_branch .LBB64_636
.LBB64_632:
	s_or_saveexec_b64 s[8:9], s[8:9]
	v_mov_b32_e32 v4, 0x7f800001
	s_xor_b64 exec, exec, s[8:9]
	s_cbranch_execz .LBB64_613
.LBB64_633:
	v_cmp_ne_u16_e32 vcc, 0, v3
	s_andn2_b64 s[0:1], s[0:1], exec
	s_and_b64 s[10:11], vcc, exec
	v_mov_b32_e32 v4, 0
	s_or_b64 s[0:1], s[0:1], s[10:11]
	s_or_b64 exec, exec, s[8:9]
	s_and_saveexec_b64 s[8:9], s[0:1]
	s_cbranch_execnz .LBB64_614
	s_branch .LBB64_615
.LBB64_634:
	s_mov_b64 s[2:3], -1
                                        ; implicit-def: $vgpr3
.LBB64_635:
	s_mov_b64 s[8:9], 0
.LBB64_636:
	s_and_b64 vcc, exec, s[8:9]
	s_cbranch_vccz .LBB64_640
; %bb.637:
	s_cmp_eq_u32 s12, 11
	s_cbranch_scc0 .LBB64_639
; %bb.638:
	global_load_ubyte v3, v[1:2], off
	s_mov_b64 s[0:1], -1
	s_mov_b64 s[2:3], 0
	s_waitcnt vmcnt(0)
	v_cmp_ne_u16_e32 vcc, 0, v3
	v_cndmask_b32_e64 v3, 0, 1.0, vcc
	v_lshrrev_b32_e32 v3, 16, v3
	s_branch .LBB64_640
.LBB64_639:
	s_mov_b64 s[2:3], -1
                                        ; implicit-def: $vgpr3
.LBB64_640:
	s_mov_b64 s[8:9], 0
.LBB64_641:
	s_and_b64 vcc, exec, s[8:9]
	s_cbranch_vccz .LBB64_690
; %bb.642:
	s_cmp_lt_i32 s12, 5
	s_cbranch_scc1 .LBB64_647
; %bb.643:
	s_cmp_lt_i32 s12, 8
	s_cbranch_scc1 .LBB64_648
; %bb.644:
	s_cmp_lt_i32 s12, 9
	s_cbranch_scc1 .LBB64_649
; %bb.645:
	s_cmp_gt_i32 s12, 9
	s_cbranch_scc0 .LBB64_650
; %bb.646:
	global_load_dwordx2 v[3:4], v[1:2], off
	s_movk_i32 s0, 0x7fff
	s_waitcnt vmcnt(0)
	v_cvt_f32_f64_e32 v3, v[3:4]
	v_mov_b32_e32 v4, 0x7fc0
	v_bfe_u32 v5, v3, 16, 1
	v_cmp_o_f32_e32 vcc, v3, v3
	v_add3_u32 v3, v3, v5, s0
	v_cndmask_b32_sdwa v3, v4, v3, vcc dst_sel:DWORD dst_unused:UNUSED_PAD src0_sel:DWORD src1_sel:WORD_1
	s_mov_b64 s[0:1], 0
	s_branch .LBB64_651
.LBB64_647:
	s_mov_b64 s[0:1], -1
                                        ; implicit-def: $vgpr3
	s_branch .LBB64_669
.LBB64_648:
	s_mov_b64 s[0:1], -1
                                        ; implicit-def: $vgpr3
	s_branch .LBB64_657
.LBB64_649:
	s_mov_b64 s[0:1], -1
                                        ; implicit-def: $vgpr3
	s_branch .LBB64_654
.LBB64_650:
	s_mov_b64 s[0:1], -1
                                        ; implicit-def: $vgpr3
.LBB64_651:
	s_andn2_b64 vcc, exec, s[0:1]
	s_cbranch_vccnz .LBB64_653
; %bb.652:
	global_load_dword v3, v[1:2], off
	s_movk_i32 s0, 0x7fff
	v_mov_b32_e32 v4, 0x7fc0
	s_waitcnt vmcnt(0)
	v_bfe_u32 v5, v3, 16, 1
	v_cmp_o_f32_e32 vcc, v3, v3
	v_add3_u32 v3, v3, v5, s0
	v_cndmask_b32_sdwa v3, v4, v3, vcc dst_sel:DWORD dst_unused:UNUSED_PAD src0_sel:DWORD src1_sel:WORD_1
.LBB64_653:
	s_mov_b64 s[0:1], 0
.LBB64_654:
	s_andn2_b64 vcc, exec, s[0:1]
	s_cbranch_vccnz .LBB64_656
; %bb.655:
	global_load_dword v3, v[1:2], off
	s_movk_i32 s0, 0x7fff
	v_mov_b32_e32 v5, 0x7fc0
	s_waitcnt vmcnt(0)
	v_cvt_f32_f16_e32 v4, v3
	v_cmp_o_f16_e32 vcc, v3, v3
	v_bfe_u32 v3, v4, 16, 1
	v_add3_u32 v3, v4, v3, s0
	v_cndmask_b32_sdwa v3, v5, v3, vcc dst_sel:DWORD dst_unused:UNUSED_PAD src0_sel:DWORD src1_sel:WORD_1
.LBB64_656:
	s_mov_b64 s[0:1], 0
.LBB64_657:
	s_andn2_b64 vcc, exec, s[0:1]
	s_cbranch_vccnz .LBB64_668
; %bb.658:
	s_cmp_lt_i32 s12, 6
	s_cbranch_scc1 .LBB64_661
; %bb.659:
	s_cmp_gt_i32 s12, 6
	s_cbranch_scc0 .LBB64_662
; %bb.660:
	global_load_dwordx2 v[3:4], v[1:2], off
	s_movk_i32 s0, 0x7fff
	s_waitcnt vmcnt(0)
	v_cvt_f32_f64_e32 v3, v[3:4]
	v_mov_b32_e32 v4, 0x7fc0
	v_bfe_u32 v5, v3, 16, 1
	v_cmp_o_f32_e32 vcc, v3, v3
	v_add3_u32 v3, v3, v5, s0
	v_cndmask_b32_sdwa v3, v4, v3, vcc dst_sel:DWORD dst_unused:UNUSED_PAD src0_sel:DWORD src1_sel:WORD_1
	s_mov_b64 s[0:1], 0
	s_branch .LBB64_663
.LBB64_661:
	s_mov_b64 s[0:1], -1
                                        ; implicit-def: $vgpr3
	s_branch .LBB64_666
.LBB64_662:
	s_mov_b64 s[0:1], -1
                                        ; implicit-def: $vgpr3
.LBB64_663:
	s_andn2_b64 vcc, exec, s[0:1]
	s_cbranch_vccnz .LBB64_665
; %bb.664:
	global_load_dword v3, v[1:2], off
	s_movk_i32 s0, 0x7fff
	v_mov_b32_e32 v4, 0x7fc0
	s_waitcnt vmcnt(0)
	v_bfe_u32 v5, v3, 16, 1
	v_cmp_o_f32_e32 vcc, v3, v3
	v_add3_u32 v3, v3, v5, s0
	v_cndmask_b32_sdwa v3, v4, v3, vcc dst_sel:DWORD dst_unused:UNUSED_PAD src0_sel:DWORD src1_sel:WORD_1
.LBB64_665:
	s_mov_b64 s[0:1], 0
.LBB64_666:
	s_andn2_b64 vcc, exec, s[0:1]
	s_cbranch_vccnz .LBB64_668
; %bb.667:
	global_load_ushort v3, v[1:2], off
	s_movk_i32 s0, 0x7fff
	v_mov_b32_e32 v5, 0x7fc0
	s_waitcnt vmcnt(0)
	v_cvt_f32_f16_e32 v4, v3
	v_cmp_o_f16_e32 vcc, v3, v3
	v_bfe_u32 v3, v4, 16, 1
	v_add3_u32 v3, v4, v3, s0
	v_cndmask_b32_sdwa v3, v5, v3, vcc dst_sel:DWORD dst_unused:UNUSED_PAD src0_sel:DWORD src1_sel:WORD_1
.LBB64_668:
	s_mov_b64 s[0:1], 0
.LBB64_669:
	s_andn2_b64 vcc, exec, s[0:1]
	s_cbranch_vccnz .LBB64_689
; %bb.670:
	s_cmp_lt_i32 s12, 2
	s_cbranch_scc1 .LBB64_674
; %bb.671:
	s_cmp_lt_i32 s12, 3
	s_cbranch_scc1 .LBB64_675
; %bb.672:
	s_cmp_gt_i32 s12, 3
	s_cbranch_scc0 .LBB64_676
; %bb.673:
	global_load_dwordx2 v[3:4], v[1:2], off
	s_movk_i32 s0, 0x7fff
	s_waitcnt vmcnt(0)
	v_xor_b32_e32 v6, v3, v4
	v_ffbh_i32_e32 v5, v4
	v_ashrrev_i32_e32 v6, 31, v6
	v_add_u32_e32 v5, -1, v5
	v_add_u32_e32 v6, 32, v6
	v_min_u32_e32 v5, v5, v6
	v_lshlrev_b64 v[3:4], v5, v[3:4]
	v_min_u32_e32 v3, 1, v3
	v_or_b32_e32 v3, v4, v3
	v_cvt_f32_i32_e32 v3, v3
	v_sub_u32_e32 v4, 32, v5
	v_ldexp_f32 v3, v3, v4
	v_bfe_u32 v4, v3, 16, 1
	v_add3_u32 v3, v3, v4, s0
	v_lshrrev_b32_e32 v3, 16, v3
	s_mov_b64 s[0:1], 0
	s_branch .LBB64_677
.LBB64_674:
	s_mov_b64 s[0:1], -1
                                        ; implicit-def: $vgpr3
	s_branch .LBB64_683
.LBB64_675:
	s_mov_b64 s[0:1], -1
                                        ; implicit-def: $vgpr3
	s_branch .LBB64_680
.LBB64_676:
	s_mov_b64 s[0:1], -1
                                        ; implicit-def: $vgpr3
.LBB64_677:
	s_andn2_b64 vcc, exec, s[0:1]
	s_cbranch_vccnz .LBB64_679
; %bb.678:
	global_load_dword v3, v[1:2], off
	s_movk_i32 s0, 0x7fff
	s_waitcnt vmcnt(0)
	v_cvt_f32_i32_e32 v3, v3
	v_bfe_u32 v4, v3, 16, 1
	v_add3_u32 v3, v3, v4, s0
	v_lshrrev_b32_e32 v3, 16, v3
.LBB64_679:
	s_mov_b64 s[0:1], 0
.LBB64_680:
	s_andn2_b64 vcc, exec, s[0:1]
	s_cbranch_vccnz .LBB64_682
; %bb.681:
	global_load_sshort v3, v[1:2], off
	s_movk_i32 s0, 0x7fff
	s_waitcnt vmcnt(0)
	v_cvt_f32_i32_e32 v3, v3
	v_bfe_u32 v4, v3, 16, 1
	v_add3_u32 v3, v3, v4, s0
	v_lshrrev_b32_e32 v3, 16, v3
.LBB64_682:
	s_mov_b64 s[0:1], 0
.LBB64_683:
	s_andn2_b64 vcc, exec, s[0:1]
	s_cbranch_vccnz .LBB64_689
; %bb.684:
	s_cmp_gt_i32 s12, 0
	s_cbranch_scc0 .LBB64_686
; %bb.685:
	global_load_sbyte v3, v[1:2], off
	s_movk_i32 s0, 0x7fff
	s_waitcnt vmcnt(0)
	v_cvt_f32_i32_e32 v3, v3
	v_bfe_u32 v4, v3, 16, 1
	v_add3_u32 v3, v3, v4, s0
	v_lshrrev_b32_e32 v3, 16, v3
	s_mov_b64 s[0:1], 0
	s_branch .LBB64_687
.LBB64_686:
	s_mov_b64 s[0:1], -1
                                        ; implicit-def: $vgpr3
.LBB64_687:
	s_andn2_b64 vcc, exec, s[0:1]
	s_cbranch_vccnz .LBB64_689
; %bb.688:
	global_load_ubyte v1, v[1:2], off
	s_movk_i32 s0, 0x7fff
	s_waitcnt vmcnt(0)
	v_cvt_f32_ubyte0_e32 v1, v1
	v_bfe_u32 v2, v1, 16, 1
	v_add3_u32 v1, v1, v2, s0
	v_lshrrev_b32_e32 v3, 16, v1
.LBB64_689:
	s_mov_b64 s[0:1], -1
.LBB64_690:
	s_andn2_b64 vcc, exec, s[0:1]
	s_cbranch_vccnz .LBB64_698
; %bb.691:
	s_waitcnt vmcnt(0)
	v_lshlrev_b32_e32 v1, 16, v3
	v_fma_f32 v2, |v1|, -0.5, 0.5
	v_mul_f32_e32 v3, v1, v1
	v_cmp_ge_f32_e64 vcc, |v1|, 0.5
	v_cndmask_b32_e32 v2, v3, v2, vcc
	v_mov_b32_e32 v3, 0x3c5fc5da
	v_fmac_f32_e32 v3, 0x3d1c21a7, v2
	v_mov_b32_e32 v4, 0x3d034c3c
	v_fmac_f32_e32 v4, v2, v3
	v_mov_b32_e32 v3, 0x3d3641b1
	v_fmac_f32_e32 v3, v2, v4
	v_mov_b32_e32 v4, 0x3d999bc8
	v_fmac_f32_e32 v4, v2, v3
	v_sqrt_f32_e32 v3, v2
	v_mov_b32_e32 v5, 0x3e2aaaac
	v_fmac_f32_e32 v5, v2, v4
	v_mul_f32_e32 v2, v2, v5
	v_fmac_f32_e32 v3, v3, v2
	v_add_f32_e32 v3, v3, v3
	v_sub_f32_e32 v3, 0x3fc90fdb, v3
	v_fma_f32 v2, |v1|, v2, |v1|
	v_cmp_lt_f32_e64 vcc, |v1|, 0.5
	v_cndmask_b32_e32 v2, v3, v2, vcc
	s_brev_b32 s0, -2
	v_bfi_b32 v1, s0, v2, v1
	v_bfe_u32 v2, v1, 16, 1
	s_movk_i32 s0, 0x7fff
	v_add3_u32 v2, v1, v2, s0
	v_cmp_o_f32_e32 vcc, v1, v1
	v_mov_b32_e32 v1, 0x7fc0
	v_cndmask_b32_sdwa v2, v1, v2, vcc dst_sel:DWORD dst_unused:UNUSED_PAD src0_sel:DWORD src1_sel:WORD_1
	v_mov_b32_e32 v1, s25
	s_and_b32 s14, s73, 0xff
	v_add_co_u32_e32 v0, vcc, s24, v0
	s_cmp_lt_i32 s14, 11
	v_addc_co_u32_e32 v1, vcc, 0, v1, vcc
	s_cbranch_scc1 .LBB64_699
; %bb.692:
	s_and_b32 s15, 0xffff, s14
	s_cmp_gt_i32 s15, 25
	s_cbranch_scc0 .LBB64_700
; %bb.693:
	s_cmp_gt_i32 s15, 28
	s_cbranch_scc0 .LBB64_701
; %bb.694:
	;; [unrolled: 3-line block ×4, first 2 shown]
	s_mov_b64 s[10:11], 0
	s_mov_b64 s[0:1], -1
	s_cmp_eq_u32 s15, 46
	s_mov_b64 s[8:9], 0
	s_cbranch_scc0 .LBB64_704
; %bb.697:
	v_and_b32_e32 v3, 0xffff, v2
	global_store_dword v[0:1], v3, off
	s_mov_b64 s[8:9], -1
	s_mov_b64 s[0:1], 0
	s_branch .LBB64_704
.LBB64_698:
	s_mov_b64 s[8:9], 0
	s_mov_b64 s[0:1], s[60:61]
	s_branch .LBB64_815
.LBB64_699:
	s_mov_b64 s[10:11], -1
	s_mov_b64 s[8:9], 0
	s_mov_b64 s[0:1], s[60:61]
	s_branch .LBB64_773
.LBB64_700:
	s_mov_b64 s[10:11], -1
	s_mov_b64 s[8:9], 0
	s_mov_b64 s[0:1], s[60:61]
	s_branch .LBB64_731
.LBB64_701:
	s_mov_b64 s[10:11], -1
	s_mov_b64 s[8:9], 0
	s_mov_b64 s[0:1], s[60:61]
	s_branch .LBB64_714
.LBB64_702:
	s_mov_b64 s[10:11], -1
	s_mov_b64 s[8:9], 0
	s_mov_b64 s[0:1], s[60:61]
	s_branch .LBB64_710
.LBB64_703:
	s_mov_b64 s[10:11], -1
	s_mov_b64 s[8:9], 0
	s_mov_b64 s[0:1], s[60:61]
.LBB64_704:
	s_and_b64 vcc, exec, s[10:11]
	s_cbranch_vccz .LBB64_709
; %bb.705:
	s_cmp_eq_u32 s15, 44
	s_mov_b64 s[0:1], -1
	s_cbranch_scc0 .LBB64_709
; %bb.706:
	v_and_b32_e32 v4, 0xffff, v2
	v_bfe_u32 v3, v4, 7, 8
	s_movk_i32 s0, 0xff
	v_cmp_ne_u32_e32 vcc, s0, v3
	v_mov_b32_e32 v5, 0xff
	s_and_saveexec_b64 s[8:9], vcc
	s_cbranch_execz .LBB64_708
; %bb.707:
	v_lshlrev_b32_e32 v6, 16, v4
	s_mov_b32 s0, 0x3f0000
	v_lshrrev_b32_e32 v5, 7, v4
	v_and_b32_e32 v4, 64, v4
	v_and_or_b32 v3, v6, s0, v3
	v_cmp_ne_u32_e32 vcc, 0, v4
	v_cmp_ne_u32_e64 s[0:1], 0, v3
	s_and_b64 s[0:1], vcc, s[0:1]
	v_cndmask_b32_e64 v3, 0, 1, s[0:1]
	v_add_u32_e32 v5, v5, v3
.LBB64_708:
	s_or_b64 exec, exec, s[8:9]
	s_mov_b64 s[8:9], -1
	s_mov_b64 s[0:1], 0
	global_store_byte v[0:1], v5, off
.LBB64_709:
	s_mov_b64 s[10:11], 0
.LBB64_710:
	s_and_b64 vcc, exec, s[10:11]
	s_cbranch_vccz .LBB64_713
; %bb.711:
	s_cmp_eq_u32 s15, 29
	s_mov_b64 s[0:1], -1
	s_cbranch_scc0 .LBB64_713
; %bb.712:
	v_lshlrev_b32_e32 v3, 16, v2
	v_trunc_f32_e32 v3, v3
	v_mul_f32_e32 v4, 0x2f800000, v3
	v_floor_f32_e32 v5, v4
	v_fmac_f32_e32 v3, 0xcf800000, v5
	v_cvt_u32_f32_e32 v4, v5
	v_cvt_u32_f32_e32 v3, v3
	s_mov_b64 s[8:9], -1
	s_mov_b64 s[0:1], 0
	s_mov_b64 s[10:11], 0
	global_store_dwordx2 v[0:1], v[3:4], off
	s_branch .LBB64_714
.LBB64_713:
	s_mov_b64 s[10:11], 0
.LBB64_714:
	s_and_b64 vcc, exec, s[10:11]
	s_cbranch_vccz .LBB64_730
; %bb.715:
	s_cmp_lt_i32 s15, 27
	s_mov_b64 s[8:9], -1
	s_cbranch_scc1 .LBB64_721
; %bb.716:
	s_cmp_gt_i32 s15, 27
	s_cbranch_scc0 .LBB64_718
; %bb.717:
	v_lshlrev_b32_e32 v3, 16, v2
	v_cvt_u32_f32_e32 v3, v3
	s_mov_b64 s[8:9], 0
	global_store_dword v[0:1], v3, off
.LBB64_718:
	s_andn2_b64 vcc, exec, s[8:9]
	s_cbranch_vccnz .LBB64_720
; %bb.719:
	v_lshlrev_b32_e32 v3, 16, v2
	v_cvt_u32_f32_e32 v3, v3
	global_store_short v[0:1], v3, off
.LBB64_720:
	s_mov_b64 s[8:9], 0
.LBB64_721:
	s_andn2_b64 vcc, exec, s[8:9]
	s_cbranch_vccnz .LBB64_729
; %bb.722:
	v_lshlrev_b32_e32 v5, 16, v2
	v_and_b32_e32 v4, 0x7fffffff, v5
	s_mov_b32 s8, 0x43800000
	v_cmp_gt_u32_e32 vcc, s8, v4
	v_mov_b32_e32 v6, 0x80
	s_and_saveexec_b64 s[8:9], vcc
	s_cbranch_execz .LBB64_728
; %bb.723:
	s_mov_b32 s10, 0x3bffffff
	v_and_b32_e32 v3, 0xffff, v2
	v_cmp_lt_u32_e32 vcc, s10, v4
	s_mov_b64 s[10:11], 0
                                        ; implicit-def: $vgpr4
	s_and_saveexec_b64 s[12:13], vcc
	s_xor_b64 s[12:13], exec, s[12:13]
	s_cbranch_execz .LBB64_845
; %bb.724:
	v_bfe_u32 v4, v3, 4, 1
	s_mov_b32 s16, 0x487ffff
	v_add3_u32 v4, v5, v4, s16
	s_mov_b64 s[10:11], exec
	v_lshrrev_b32_e32 v4, 20, v4
                                        ; implicit-def: $vgpr5
	s_andn2_saveexec_b64 s[12:13], s[12:13]
	s_cbranch_execnz .LBB64_846
.LBB64_725:
	s_or_b64 exec, exec, s[12:13]
	v_mov_b32_e32 v6, 0
	s_and_saveexec_b64 s[12:13], s[10:11]
.LBB64_726:
	v_lshrrev_b32_e32 v3, 8, v3
	s_movk_i32 s10, 0x80
	v_and_or_b32 v6, v3, s10, v4
.LBB64_727:
	s_or_b64 exec, exec, s[12:13]
.LBB64_728:
	s_or_b64 exec, exec, s[8:9]
	global_store_byte v[0:1], v6, off
.LBB64_729:
	s_mov_b64 s[8:9], -1
.LBB64_730:
	s_mov_b64 s[10:11], 0
.LBB64_731:
	s_and_b64 vcc, exec, s[10:11]
	s_cbranch_vccz .LBB64_772
; %bb.732:
	s_cmp_gt_i32 s15, 22
	s_mov_b64 s[10:11], -1
	s_cbranch_scc0 .LBB64_764
; %bb.733:
	s_cmp_lt_i32 s15, 24
	s_mov_b64 s[8:9], -1
	s_cbranch_scc1 .LBB64_753
; %bb.734:
	s_cmp_gt_i32 s15, 24
	s_cbranch_scc0 .LBB64_742
; %bb.735:
	v_lshlrev_b32_e32 v5, 16, v2
	v_and_b32_e32 v4, 0x7fffffff, v5
	s_mov_b32 s8, 0x47800000
	v_cmp_gt_u32_e32 vcc, s8, v4
	v_mov_b32_e32 v6, 0x80
	s_and_saveexec_b64 s[8:9], vcc
	s_cbranch_execz .LBB64_741
; %bb.736:
	s_mov_b32 s10, 0x37ffffff
	v_and_b32_e32 v3, 0xffff, v2
	v_cmp_lt_u32_e32 vcc, s10, v4
	s_mov_b64 s[10:11], 0
                                        ; implicit-def: $vgpr4
	s_and_saveexec_b64 s[12:13], vcc
	s_xor_b64 s[12:13], exec, s[12:13]
	s_cbranch_execz .LBB64_848
; %bb.737:
	v_bfe_u32 v4, v3, 5, 1
	s_mov_b32 s16, 0x88fffff
	v_add3_u32 v4, v5, v4, s16
	s_mov_b64 s[10:11], exec
	v_lshrrev_b32_e32 v4, 21, v4
                                        ; implicit-def: $vgpr5
	s_andn2_saveexec_b64 s[12:13], s[12:13]
	s_cbranch_execnz .LBB64_849
.LBB64_738:
	s_or_b64 exec, exec, s[12:13]
	v_mov_b32_e32 v6, 0
	s_and_saveexec_b64 s[12:13], s[10:11]
.LBB64_739:
	v_lshrrev_b32_e32 v3, 8, v3
	s_movk_i32 s10, 0x80
	v_and_or_b32 v6, v3, s10, v4
.LBB64_740:
	s_or_b64 exec, exec, s[12:13]
.LBB64_741:
	s_or_b64 exec, exec, s[8:9]
	s_mov_b64 s[8:9], 0
	global_store_byte v[0:1], v6, off
.LBB64_742:
	s_and_b64 vcc, exec, s[8:9]
	s_cbranch_vccz .LBB64_752
; %bb.743:
	v_lshlrev_b32_e32 v5, 16, v2
	v_and_b32_e32 v6, 0x7fffffff, v5
	s_mov_b32 s8, 0x43f00000
	v_and_b32_e32 v3, 0xffff, v2
	v_cmp_gt_u32_e32 vcc, s8, v6
                                        ; implicit-def: $vgpr4
	s_and_saveexec_b64 s[8:9], vcc
	s_xor_b64 s[8:9], exec, s[8:9]
	s_cbranch_execz .LBB64_749
; %bb.744:
	s_mov_b32 s10, 0x3c7fffff
	v_cmp_lt_u32_e32 vcc, s10, v6
                                        ; implicit-def: $vgpr4
	s_and_saveexec_b64 s[10:11], vcc
	s_xor_b64 s[10:11], exec, s[10:11]
; %bb.745:
	v_bfe_u32 v4, v3, 4, 1
	s_mov_b32 s12, 0x407ffff
	v_add3_u32 v4, v5, v4, s12
	v_lshrrev_b32_e32 v5, 20, v4
	v_and_b32_e32 v4, 0xff00000, v4
	s_mov_b32 s12, 0x7f00000
	v_mov_b32_e32 v6, 0x7e
	v_cmp_ne_u32_e32 vcc, s12, v4
	v_cndmask_b32_e32 v4, v6, v5, vcc
                                        ; implicit-def: $vgpr5
; %bb.746:
	s_andn2_saveexec_b64 s[10:11], s[10:11]
; %bb.747:
	s_mov_b32 s12, 0x46800000
	v_add_f32_e64 v4, |v5|, s12
; %bb.748:
	s_or_b64 exec, exec, s[10:11]
                                        ; implicit-def: $vgpr6
.LBB64_749:
	s_andn2_saveexec_b64 s[8:9], s[8:9]
; %bb.750:
	s_mov_b32 s10, 0x7f800000
	v_mov_b32_e32 v4, 0x7e
	v_mov_b32_e32 v5, 0x7f
	v_cmp_lt_u32_e32 vcc, s10, v6
	v_cndmask_b32_e32 v4, v4, v5, vcc
; %bb.751:
	s_or_b64 exec, exec, s[8:9]
	v_lshrrev_b32_e32 v3, 8, v3
	s_movk_i32 s8, 0x80
	v_and_or_b32 v3, v3, s8, v4
	global_store_byte v[0:1], v3, off
.LBB64_752:
	s_mov_b64 s[8:9], 0
.LBB64_753:
	s_andn2_b64 vcc, exec, s[8:9]
	s_cbranch_vccnz .LBB64_763
; %bb.754:
	v_lshlrev_b32_e32 v5, 16, v2
	v_and_b32_e32 v6, 0x7fffffff, v5
	s_mov_b32 s8, 0x47800000
	v_and_b32_e32 v3, 0xffff, v2
	v_cmp_gt_u32_e32 vcc, s8, v6
                                        ; implicit-def: $vgpr4
	s_and_saveexec_b64 s[8:9], vcc
	s_xor_b64 s[8:9], exec, s[8:9]
	s_cbranch_execz .LBB64_760
; %bb.755:
	s_mov_b32 s10, 0x387fffff
	v_cmp_lt_u32_e32 vcc, s10, v6
                                        ; implicit-def: $vgpr4
	s_and_saveexec_b64 s[10:11], vcc
	s_xor_b64 s[10:11], exec, s[10:11]
; %bb.756:
	v_bfe_u32 v4, v3, 5, 1
	s_mov_b32 s12, 0x80fffff
	v_add3_u32 v4, v5, v4, s12
	v_lshrrev_b32_e32 v4, 21, v4
                                        ; implicit-def: $vgpr5
; %bb.757:
	s_andn2_saveexec_b64 s[10:11], s[10:11]
; %bb.758:
	s_mov_b32 s12, 0x43000000
	v_add_f32_e64 v4, |v5|, s12
; %bb.759:
	s_or_b64 exec, exec, s[10:11]
                                        ; implicit-def: $vgpr6
.LBB64_760:
	s_andn2_saveexec_b64 s[8:9], s[8:9]
; %bb.761:
	s_mov_b32 s10, 0x7f800000
	v_mov_b32_e32 v4, 0x7c
	v_mov_b32_e32 v5, 0x7f
	v_cmp_lt_u32_e32 vcc, s10, v6
	v_cndmask_b32_e32 v4, v4, v5, vcc
; %bb.762:
	s_or_b64 exec, exec, s[8:9]
	v_lshrrev_b32_e32 v3, 8, v3
	s_movk_i32 s8, 0x80
	v_and_or_b32 v3, v3, s8, v4
	global_store_byte v[0:1], v3, off
.LBB64_763:
	s_mov_b64 s[10:11], 0
	s_mov_b64 s[8:9], -1
.LBB64_764:
	s_andn2_b64 vcc, exec, s[10:11]
	s_cbranch_vccnz .LBB64_772
; %bb.765:
	s_cmp_gt_i32 s15, 14
	s_mov_b64 s[10:11], -1
	s_cbranch_scc0 .LBB64_769
; %bb.766:
	s_cmp_eq_u32 s15, 15
	s_mov_b64 s[0:1], -1
	s_cbranch_scc0 .LBB64_768
; %bb.767:
	global_store_short v[0:1], v2, off
	s_mov_b64 s[8:9], -1
	s_mov_b64 s[0:1], 0
.LBB64_768:
	s_mov_b64 s[10:11], 0
.LBB64_769:
	s_and_b64 vcc, exec, s[10:11]
	s_cbranch_vccz .LBB64_772
; %bb.770:
	s_cmp_eq_u32 s15, 11
	s_mov_b64 s[0:1], -1
	s_cbranch_scc0 .LBB64_772
; %bb.771:
	v_and_b32_e32 v3, 0x7fff, v2
	v_cmp_ne_u16_e32 vcc, 0, v3
	v_cndmask_b32_e64 v3, 0, 1, vcc
	s_mov_b64 s[8:9], -1
	s_mov_b64 s[0:1], 0
	global_store_byte v[0:1], v3, off
.LBB64_772:
	s_mov_b64 s[10:11], 0
.LBB64_773:
	s_and_b64 vcc, exec, s[10:11]
	s_cbranch_vccz .LBB64_812
; %bb.774:
	s_and_b32 s10, 0xffff, s14
	s_cmp_lt_i32 s10, 5
	s_mov_b64 s[8:9], -1
	s_cbranch_scc1 .LBB64_795
; %bb.775:
	s_cmp_lt_i32 s10, 8
	s_cbranch_scc1 .LBB64_785
; %bb.776:
	s_cmp_lt_i32 s10, 9
	s_cbranch_scc1 .LBB64_782
; %bb.777:
	s_cmp_gt_i32 s10, 9
	s_cbranch_scc0 .LBB64_779
; %bb.778:
	v_lshlrev_b32_e32 v3, 16, v2
	v_cvt_f64_f32_e32 v[3:4], v3
	v_mov_b32_e32 v5, 0
	v_mov_b32_e32 v6, v5
	s_mov_b64 s[8:9], 0
	global_store_dwordx4 v[0:1], v[3:6], off
.LBB64_779:
	s_andn2_b64 vcc, exec, s[8:9]
	s_cbranch_vccnz .LBB64_781
; %bb.780:
	v_lshlrev_b32_e32 v3, 16, v2
	v_mov_b32_e32 v4, 0
	global_store_dwordx2 v[0:1], v[3:4], off
.LBB64_781:
	s_mov_b64 s[8:9], 0
.LBB64_782:
	s_andn2_b64 vcc, exec, s[8:9]
	s_cbranch_vccnz .LBB64_784
; %bb.783:
	v_lshlrev_b32_e32 v3, 16, v2
	v_cvt_f16_f32_e32 v3, v3
	global_store_dword v[0:1], v3, off
.LBB64_784:
	s_mov_b64 s[8:9], 0
.LBB64_785:
	s_andn2_b64 vcc, exec, s[8:9]
	s_cbranch_vccnz .LBB64_794
; %bb.786:
	s_cmp_lt_i32 s10, 6
	s_mov_b64 s[8:9], -1
	s_cbranch_scc1 .LBB64_792
; %bb.787:
	s_cmp_gt_i32 s10, 6
	s_cbranch_scc0 .LBB64_789
; %bb.788:
	v_lshlrev_b32_e32 v3, 16, v2
	v_cvt_f64_f32_e32 v[3:4], v3
	s_mov_b64 s[8:9], 0
	global_store_dwordx2 v[0:1], v[3:4], off
.LBB64_789:
	s_andn2_b64 vcc, exec, s[8:9]
	s_cbranch_vccnz .LBB64_791
; %bb.790:
	v_lshlrev_b32_e32 v3, 16, v2
	global_store_dword v[0:1], v3, off
.LBB64_791:
	s_mov_b64 s[8:9], 0
.LBB64_792:
	s_andn2_b64 vcc, exec, s[8:9]
	s_cbranch_vccnz .LBB64_794
; %bb.793:
	v_lshlrev_b32_e32 v3, 16, v2
	v_cvt_f16_f32_e32 v3, v3
	global_store_short v[0:1], v3, off
.LBB64_794:
	s_mov_b64 s[8:9], 0
.LBB64_795:
	s_andn2_b64 vcc, exec, s[8:9]
	s_cbranch_vccnz .LBB64_811
; %bb.796:
	s_cmp_lt_i32 s10, 2
	s_mov_b64 s[8:9], -1
	s_cbranch_scc1 .LBB64_806
; %bb.797:
	s_cmp_lt_i32 s10, 3
	s_cbranch_scc1 .LBB64_803
; %bb.798:
	s_cmp_gt_i32 s10, 3
	s_cbranch_scc0 .LBB64_800
; %bb.799:
	v_lshlrev_b32_e32 v3, 16, v2
	v_trunc_f32_e32 v3, v3
	s_mov_b32 s8, 0x2f800000
	v_mul_f32_e64 v4, |v3|, s8
	v_floor_f32_e32 v4, v4
	s_mov_b32 s8, 0xcf800000
	v_cvt_u32_f32_e32 v5, v4
	v_fma_f32 v4, v4, s8, |v3|
	v_cvt_u32_f32_e32 v4, v4
	v_ashrrev_i32_e32 v6, 31, v3
	v_xor_b32_e32 v5, v5, v6
	s_mov_b64 s[8:9], 0
	v_xor_b32_e32 v3, v4, v6
	v_sub_co_u32_e32 v3, vcc, v3, v6
	v_subb_co_u32_e32 v4, vcc, v5, v6, vcc
	global_store_dwordx2 v[0:1], v[3:4], off
.LBB64_800:
	s_andn2_b64 vcc, exec, s[8:9]
	s_cbranch_vccnz .LBB64_802
; %bb.801:
	v_lshlrev_b32_e32 v3, 16, v2
	v_cvt_i32_f32_e32 v3, v3
	global_store_dword v[0:1], v3, off
.LBB64_802:
	s_mov_b64 s[8:9], 0
.LBB64_803:
	s_andn2_b64 vcc, exec, s[8:9]
	s_cbranch_vccnz .LBB64_805
; %bb.804:
	v_lshlrev_b32_e32 v3, 16, v2
	v_cvt_i32_f32_e32 v3, v3
	global_store_short v[0:1], v3, off
.LBB64_805:
	s_mov_b64 s[8:9], 0
.LBB64_806:
	s_andn2_b64 vcc, exec, s[8:9]
	s_cbranch_vccnz .LBB64_811
; %bb.807:
	s_mov_b64 s[8:9], -1
	s_cmp_gt_i32 s10, 0
	v_lshlrev_b32_e32 v2, 16, v2
	s_cbranch_scc0 .LBB64_809
; %bb.808:
	v_cvt_i32_f32_e32 v3, v2
	s_mov_b64 s[8:9], 0
	global_store_byte v[0:1], v3, off
.LBB64_809:
	s_andn2_b64 vcc, exec, s[8:9]
	s_cbranch_vccnz .LBB64_811
; %bb.810:
	v_trunc_f32_e32 v2, v2
	s_mov_b32 s8, 0x2f800000
	v_mul_f32_e64 v3, |v2|, s8
	v_floor_f32_e32 v3, v3
	s_mov_b32 s8, 0xcf800000
	v_fma_f32 v3, v3, s8, |v2|
	v_cvt_u32_f32_e32 v3, v3
	v_ashrrev_i32_e32 v2, 31, v2
	v_xor_b32_e32 v3, v3, v2
	v_sub_u32_e32 v2, v3, v2
	global_store_byte v[0:1], v2, off
.LBB64_811:
	s_mov_b64 s[8:9], -1
.LBB64_812:
	s_andn2_b64 vcc, exec, s[8:9]
	s_cbranch_vccnz .LBB64_814
; %bb.813:
	v_add_u32_e32 v8, 0x80, v8
	s_mov_b64 s[8:9], -1
	s_branch .LBB64_816
.LBB64_814:
	s_mov_b64 s[8:9], 0
.LBB64_815:
                                        ; implicit-def: $vgpr8
.LBB64_816:
	s_andn2_b64 s[10:11], s[60:61], exec
	s_and_b64 s[0:1], s[0:1], exec
	s_or_b64 s[68:69], s[10:11], s[0:1]
	s_andn2_b64 s[0:1], s[58:59], exec
	s_and_b64 s[2:3], s[2:3], exec
	s_or_b64 s[66:67], s[0:1], s[2:3]
	s_orn2_b64 s[2:3], s[8:9], exec
.LBB64_817:
	s_or_b64 exec, exec, s[64:65]
	s_mov_b64 s[0:1], 0
	s_mov_b64 s[8:9], 0
	;; [unrolled: 1-line block ×3, first 2 shown]
                                        ; implicit-def: $vgpr1_vgpr2
                                        ; implicit-def: $vgpr0
                                        ; implicit-def: $vgpr4
	s_and_saveexec_b64 s[64:65], s[2:3]
	s_cbranch_execz .LBB64_916
; %bb.818:
	v_cmp_gt_i32_e32 vcc, s70, v8
	s_mov_b64 s[2:3], 0
	s_mov_b64 s[12:13], s[66:67]
                                        ; implicit-def: $vgpr1_vgpr2
                                        ; implicit-def: $vgpr0
                                        ; implicit-def: $vgpr4
	s_and_saveexec_b64 s[70:71], vcc
	s_cbranch_execz .LBB64_915
; %bb.819:
	s_andn2_b64 vcc, exec, s[40:41]
	s_cbranch_vccnz .LBB64_824
; %bb.820:
	s_andn2_b64 vcc, exec, s[50:51]
	s_cbranch_vccnz .LBB64_825
; %bb.821:
	s_add_i32 s76, s75, 1
	s_cmp_eq_u32 s72, 2
	s_cbranch_scc1 .LBB64_826
; %bb.822:
	s_and_b32 s75, s76, 28
	v_mov_b32_e32 v2, 0
	s_mov_b32 s77, 0
	s_mov_b64 s[50:51], s[34:35]
	v_mov_b32_e32 v0, 0
	v_mov_b32_e32 v1, v8
.LBB64_823:                             ; =>This Inner Loop Header: Depth=1
	s_load_dwordx8 s[16:23], s[50:51], 0x4
	s_load_dwordx4 s[0:3], s[50:51], 0x24
	s_load_dwordx8 s[8:15], s[48:49], 0x0
	s_add_u32 s50, s50, 48
	s_addc_u32 s51, s51, 0
	s_waitcnt vmcnt(0) lgkmcnt(0)
	v_mul_hi_u32 v3, s17, v1
	s_add_i32 s77, s77, 4
	s_add_u32 s48, s48, 32
	s_addc_u32 s49, s49, 0
	v_add_u32_e32 v3, v1, v3
	v_lshrrev_b32_e32 v3, s18, v3
	v_mul_lo_u32 v4, v3, s16
	v_mul_hi_u32 v5, s20, v3
	s_cmp_eq_u32 s75, s77
	v_sub_u32_e32 v1, v1, v4
	v_add_u32_e32 v4, v3, v5
	v_mul_lo_u32 v5, v1, s8
	v_mul_lo_u32 v6, v1, s9
	v_lshrrev_b32_e32 v1, s21, v4
	v_mul_lo_u32 v4, v1, s19
	v_mul_hi_u32 v7, s23, v1
	v_sub_u32_e32 v3, v3, v4
	v_add_u32_e32 v4, v1, v7
	v_lshrrev_b32_e32 v4, s0, v4
	v_mul_hi_u32 v9, s2, v4
	v_mul_lo_u32 v10, v4, s22
	v_mul_lo_u32 v7, v3, s10
	v_mul_lo_u32 v3, v3, s11
	v_sub_u32_e32 v10, v1, v10
	v_add_u32_e32 v1, v4, v9
	v_lshrrev_b32_e32 v1, s3, v1
	v_mul_lo_u32 v9, v1, s1
	v_mul_lo_u32 v11, v10, s12
	;; [unrolled: 1-line block ×3, first 2 shown]
	v_add3_u32 v0, v5, v0, v7
	v_sub_u32_e32 v4, v4, v9
	v_mul_lo_u32 v9, v4, s14
	v_mul_lo_u32 v4, v4, s15
	v_add3_u32 v2, v6, v2, v3
	v_add3_u32 v0, v11, v0, v9
	;; [unrolled: 1-line block ×3, first 2 shown]
	s_cbranch_scc0 .LBB64_823
	s_branch .LBB64_827
.LBB64_824:
	s_mov_b64 s[0:1], -1
                                        ; implicit-def: $vgpr0
                                        ; implicit-def: $vgpr2
	s_branch .LBB64_831
.LBB64_825:
	v_mov_b32_e32 v0, 0
	v_mov_b32_e32 v2, 0
	s_branch .LBB64_830
.LBB64_826:
	s_mov_b32 s75, 0
	v_mov_b32_e32 v0, 0
	v_mov_b32_e32 v2, 0
	;; [unrolled: 1-line block ×3, first 2 shown]
.LBB64_827:
	s_and_b32 s8, s76, 3
	s_cmp_eq_u32 s8, 0
	s_cbranch_scc1 .LBB64_830
; %bb.828:
	s_lshl_b32 s0, s75, 3
	s_add_u32 s0, s34, s0
	s_addc_u32 s1, s35, 0
	s_add_u32 s0, s0, 0xc4
	s_addc_u32 s1, s1, 0
	s_mul_i32 s2, s75, 12
	s_add_u32 s2, s34, s2
	s_addc_u32 s3, s35, 0
.LBB64_829:                             ; =>This Inner Loop Header: Depth=1
	s_load_dwordx2 s[10:11], s[2:3], 0x4
	s_load_dword s9, s[2:3], 0xc
	s_load_dwordx2 s[12:13], s[0:1], 0x0
	s_add_u32 s2, s2, 12
	s_addc_u32 s3, s3, 0
	s_waitcnt vmcnt(0) lgkmcnt(0)
	v_mul_hi_u32 v3, s11, v1
	s_add_u32 s0, s0, 8
	s_addc_u32 s1, s1, 0
	s_add_i32 s8, s8, -1
	v_add_u32_e32 v3, v1, v3
	v_lshrrev_b32_e32 v4, s9, v3
	v_mul_lo_u32 v3, v4, s10
	s_cmp_lg_u32 s8, 0
	v_sub_u32_e32 v3, v1, v3
	v_mad_u64_u32 v[0:1], s[10:11], v3, s12, v[0:1]
	v_mad_u64_u32 v[2:3], s[10:11], v3, s13, v[2:3]
	v_mov_b32_e32 v1, v4
	s_cbranch_scc1 .LBB64_829
.LBB64_830:
	s_mov_b64 s[0:1], 0
.LBB64_831:
	s_andn2_b64 vcc, exec, s[0:1]
	s_cbranch_vccnz .LBB64_834
; %bb.832:
	s_waitcnt lgkmcnt(0)
	v_mul_hi_u32 v0, s37, v8
	s_andn2_b64 vcc, exec, s[46:47]
	v_add_u32_e32 v0, v8, v0
	v_lshrrev_b32_e32 v1, s38, v0
	v_mul_lo_u32 v0, v1, s36
	v_sub_u32_e32 v2, v8, v0
	v_mul_lo_u32 v0, v2, s28
	v_mul_lo_u32 v2, v2, s29
	s_cbranch_vccnz .LBB64_834
; %bb.833:
	s_waitcnt vmcnt(0)
	v_mul_hi_u32 v3, s44, v1
	v_add_u32_e32 v3, v1, v3
	v_lshrrev_b32_e32 v3, s45, v3
	v_mul_lo_u32 v3, v3, s39
	v_sub_u32_e32 v3, v1, v3
	v_mad_u64_u32 v[0:1], s[0:1], v3, s30, v[0:1]
	v_mad_u64_u32 v[2:3], s[0:1], v3, s31, v[2:3]
.LBB64_834:
	s_waitcnt vmcnt(0) lgkmcnt(0)
	v_mov_b32_e32 v3, s27
	s_and_b32 s14, 0xffff, s74
	v_add_co_u32_e32 v1, vcc, s26, v2
	s_cmp_lt_i32 s14, 11
	v_addc_co_u32_e32 v2, vcc, 0, v3, vcc
	s_cbranch_scc1 .LBB64_841
; %bb.835:
	s_cmp_gt_i32 s14, 25
	s_mov_b64 s[2:3], 0
	s_cbranch_scc0 .LBB64_842
; %bb.836:
	s_cmp_gt_i32 s14, 28
	s_cbranch_scc0 .LBB64_843
; %bb.837:
	s_cmp_gt_i32 s14, 43
	;; [unrolled: 3-line block ×3, first 2 shown]
	s_cbranch_scc0 .LBB64_847
; %bb.839:
	s_cmp_eq_u32 s14, 46
	s_mov_b64 s[10:11], 0
	s_cbranch_scc0 .LBB64_850
; %bb.840:
	global_load_dword v4, v[1:2], off
	s_mov_b64 s[0:1], 0
	s_mov_b64 s[8:9], -1
	s_branch .LBB64_851
.LBB64_841:
	s_mov_b64 s[12:13], -1
	s_mov_b64 s[8:9], 0
	s_mov_b64 s[2:3], 0
	s_mov_b64 s[0:1], s[66:67]
                                        ; implicit-def: $vgpr4
	s_branch .LBB64_914
.LBB64_842:
	s_mov_b64 s[10:11], -1
	s_mov_b64 s[8:9], 0
	s_mov_b64 s[0:1], s[66:67]
                                        ; implicit-def: $vgpr4
	s_branch .LBB64_880
.LBB64_843:
	s_mov_b64 s[10:11], -1
	s_mov_b64 s[8:9], 0
	s_mov_b64 s[0:1], s[66:67]
                                        ; implicit-def: $vgpr4
	s_branch .LBB64_861
.LBB64_844:
	s_mov_b64 s[10:11], -1
	s_mov_b64 s[8:9], 0
	s_mov_b64 s[0:1], s[66:67]
                                        ; implicit-def: $vgpr4
	s_branch .LBB64_856
.LBB64_845:
	s_andn2_saveexec_b64 s[12:13], s[12:13]
	s_cbranch_execz .LBB64_725
.LBB64_846:
	s_mov_b32 s16, 0x46000000
	v_add_f32_e64 v4, |v5|, s16
	v_and_b32_e32 v4, 0xff, v4
	v_cmp_ne_u32_e32 vcc, 0, v4
	s_andn2_b64 s[10:11], s[10:11], exec
	s_and_b64 s[16:17], vcc, exec
	s_or_b64 s[10:11], s[10:11], s[16:17]
	s_or_b64 exec, exec, s[12:13]
	v_mov_b32_e32 v6, 0
	s_and_saveexec_b64 s[12:13], s[10:11]
	s_cbranch_execnz .LBB64_726
	s_branch .LBB64_727
.LBB64_847:
	s_mov_b64 s[10:11], -1
	s_mov_b64 s[8:9], 0
	s_mov_b64 s[0:1], s[66:67]
                                        ; implicit-def: $vgpr4
	s_branch .LBB64_851
.LBB64_848:
	s_andn2_saveexec_b64 s[12:13], s[12:13]
	s_cbranch_execz .LBB64_738
.LBB64_849:
	s_mov_b32 s16, 0x42800000
	v_add_f32_e64 v4, |v5|, s16
	v_and_b32_e32 v4, 0xff, v4
	v_cmp_ne_u32_e32 vcc, 0, v4
	s_andn2_b64 s[10:11], s[10:11], exec
	s_and_b64 s[16:17], vcc, exec
	s_or_b64 s[10:11], s[10:11], s[16:17]
	s_or_b64 exec, exec, s[12:13]
	v_mov_b32_e32 v6, 0
	s_and_saveexec_b64 s[12:13], s[10:11]
	s_cbranch_execnz .LBB64_739
	s_branch .LBB64_740
.LBB64_850:
	s_mov_b64 s[0:1], -1
                                        ; implicit-def: $vgpr4
	s_mov_b64 s[8:9], 0
.LBB64_851:
	s_and_b64 vcc, exec, s[10:11]
	s_cbranch_vccz .LBB64_855
; %bb.852:
	s_cmp_eq_u32 s14, 44
	s_cbranch_scc0 .LBB64_854
; %bb.853:
	global_load_ubyte v3, v[1:2], off
	s_movk_i32 s8, 0xff
	s_waitcnt vmcnt(1)
	v_mov_b32_e32 v4, 0x7f800001
	v_mov_b32_e32 v5, 0x400000
	;; [unrolled: 1-line block ×3, first 2 shown]
	s_mov_b64 s[0:1], 0
	s_waitcnt vmcnt(0)
	v_lshlrev_b32_e32 v7, 23, v3
	v_cmp_ne_u32_e32 vcc, s8, v3
	v_cndmask_b32_e32 v4, v4, v7, vcc
	v_cmp_ne_u32_e32 vcc, 0, v3
	v_cndmask_b32_e32 v3, v5, v4, vcc
	v_add_u32_e32 v4, 0x7fff, v3
	v_cmp_o_f32_e32 vcc, v3, v3
	v_cndmask_b32_sdwa v4, v6, v4, vcc dst_sel:DWORD dst_unused:UNUSED_PAD src0_sel:DWORD src1_sel:WORD_1
	s_mov_b64 s[8:9], -1
	s_branch .LBB64_855
.LBB64_854:
	s_mov_b64 s[0:1], -1
                                        ; implicit-def: $vgpr4
.LBB64_855:
	s_mov_b64 s[10:11], 0
.LBB64_856:
	s_and_b64 vcc, exec, s[10:11]
	s_cbranch_vccz .LBB64_860
; %bb.857:
	s_cmp_eq_u32 s14, 29
	s_cbranch_scc0 .LBB64_859
; %bb.858:
	global_load_dwordx2 v[3:4], v[1:2], off
	s_movk_i32 s8, 0x7fff
	s_mov_b64 s[0:1], 0
	s_mov_b64 s[10:11], 0
	s_waitcnt vmcnt(0)
	v_ffbh_u32_e32 v5, v4
	v_min_u32_e32 v5, 32, v5
	v_lshlrev_b64 v[3:4], v5, v[3:4]
	v_min_u32_e32 v3, 1, v3
	v_or_b32_e32 v3, v4, v3
	v_cvt_f32_u32_e32 v3, v3
	v_sub_u32_e32 v4, 32, v5
	v_ldexp_f32 v3, v3, v4
	v_bfe_u32 v4, v3, 16, 1
	v_add3_u32 v3, v3, v4, s8
	v_lshrrev_b32_e32 v4, 16, v3
	s_mov_b64 s[8:9], -1
	s_branch .LBB64_861
.LBB64_859:
	s_mov_b64 s[0:1], -1
                                        ; implicit-def: $vgpr4
.LBB64_860:
	s_mov_b64 s[10:11], 0
.LBB64_861:
	s_and_b64 vcc, exec, s[10:11]
	s_cbranch_vccz .LBB64_879
; %bb.862:
	s_cmp_lt_i32 s14, 27
	s_cbranch_scc1 .LBB64_865
; %bb.863:
	s_cmp_gt_i32 s14, 27
	s_cbranch_scc0 .LBB64_866
; %bb.864:
	global_load_dword v3, v[1:2], off
	s_movk_i32 s8, 0x7fff
	s_waitcnt vmcnt(0)
	v_cvt_f32_u32_e32 v3, v3
	v_bfe_u32 v4, v3, 16, 1
	v_add3_u32 v3, v3, v4, s8
	v_lshrrev_b32_e32 v4, 16, v3
	s_mov_b64 s[8:9], 0
	s_branch .LBB64_867
.LBB64_865:
	s_mov_b64 s[8:9], -1
                                        ; implicit-def: $vgpr4
	s_branch .LBB64_870
.LBB64_866:
	s_mov_b64 s[8:9], -1
                                        ; implicit-def: $vgpr4
.LBB64_867:
	s_andn2_b64 vcc, exec, s[8:9]
	s_cbranch_vccnz .LBB64_869
; %bb.868:
	global_load_ushort v3, v[1:2], off
	s_movk_i32 s8, 0x7fff
	s_waitcnt vmcnt(0)
	v_cvt_f32_u32_e32 v3, v3
	v_bfe_u32 v4, v3, 16, 1
	v_add3_u32 v3, v3, v4, s8
	v_lshrrev_b32_e32 v4, 16, v3
.LBB64_869:
	s_mov_b64 s[8:9], 0
.LBB64_870:
	s_andn2_b64 vcc, exec, s[8:9]
	s_cbranch_vccnz .LBB64_878
; %bb.871:
	global_load_ubyte v3, v[1:2], off
	s_movk_i32 s8, 0x7f
	s_waitcnt vmcnt(0)
	v_cmp_lt_i16_e32 vcc, s8, v3
	s_mov_b64 s[8:9], 0
	s_and_saveexec_b64 s[10:11], vcc
	s_xor_b64 s[10:11], exec, s[10:11]
	s_cbranch_execz .LBB64_892
; %bb.872:
	s_movk_i32 s8, 0x80
	v_cmp_eq_u16_e32 vcc, s8, v3
	s_mov_b64 s[8:9], -1
	s_and_saveexec_b64 s[12:13], vcc
; %bb.873:
	s_xor_b64 s[8:9], exec, -1
; %bb.874:
	s_or_b64 exec, exec, s[12:13]
	s_and_b64 s[8:9], s[8:9], exec
	s_or_saveexec_b64 s[10:11], s[10:11]
	v_mov_b32_e32 v4, 0x7f800001
	s_xor_b64 exec, exec, s[10:11]
	s_cbranch_execnz .LBB64_893
.LBB64_875:
	s_or_b64 exec, exec, s[10:11]
	s_and_saveexec_b64 s[10:11], s[8:9]
	s_cbranch_execz .LBB64_877
.LBB64_876:
	v_lshlrev_b32_e32 v4, 24, v3
	v_and_b32_e32 v3, 0xffff, v3
	v_and_b32_e32 v5, 7, v3
	v_ffbh_u32_e32 v7, v5
	v_min_u32_e32 v7, 32, v7
	v_subrev_u32_e32 v8, 28, v7
	v_bfe_u32 v6, v3, 3, 4
	v_lshlrev_b32_e32 v3, v8, v3
	v_sub_u32_e32 v7, 29, v7
	v_and_b32_e32 v3, 7, v3
	v_cmp_eq_u32_e32 vcc, 0, v6
	v_cndmask_b32_e32 v6, v6, v7, vcc
	v_cndmask_b32_e32 v3, v5, v3, vcc
	v_mov_b32_e32 v5, 0x3b800000
	v_lshlrev_b32_e32 v3, 20, v3
	v_and_b32_e32 v4, 0x80000000, v4
	v_lshl_add_u32 v5, v6, 23, v5
	v_or3_b32 v4, v4, v5, v3
.LBB64_877:
	s_or_b64 exec, exec, s[10:11]
	v_bfe_u32 v3, v4, 16, 1
	s_movk_i32 s8, 0x7fff
	v_add3_u32 v3, v4, v3, s8
	v_cmp_o_f32_e32 vcc, v4, v4
	v_mov_b32_e32 v4, 0x7fc0
	v_cndmask_b32_sdwa v4, v4, v3, vcc dst_sel:DWORD dst_unused:UNUSED_PAD src0_sel:DWORD src1_sel:WORD_1
.LBB64_878:
	s_mov_b64 s[8:9], -1
.LBB64_879:
	s_mov_b64 s[10:11], 0
.LBB64_880:
	s_and_b64 vcc, exec, s[10:11]
	s_cbranch_vccz .LBB64_913
; %bb.881:
	s_cmp_gt_i32 s14, 22
	s_cbranch_scc0 .LBB64_891
; %bb.882:
	s_cmp_lt_i32 s14, 24
	s_cbranch_scc1 .LBB64_894
; %bb.883:
	s_cmp_gt_i32 s14, 24
	s_cbranch_scc0 .LBB64_895
; %bb.884:
	global_load_ubyte v3, v[1:2], off
	s_movk_i32 s2, 0x7f
	s_waitcnt vmcnt(0)
	v_cmp_lt_i16_e32 vcc, s2, v3
	s_mov_b64 s[2:3], 0
	s_and_saveexec_b64 s[8:9], vcc
	s_xor_b64 s[8:9], exec, s[8:9]
	s_cbranch_execz .LBB64_907
; %bb.885:
	s_movk_i32 s2, 0x80
	v_cmp_eq_u16_e32 vcc, s2, v3
	s_mov_b64 s[2:3], -1
	s_and_saveexec_b64 s[10:11], vcc
; %bb.886:
	s_xor_b64 s[2:3], exec, -1
; %bb.887:
	s_or_b64 exec, exec, s[10:11]
	s_and_b64 s[2:3], s[2:3], exec
	s_or_saveexec_b64 s[8:9], s[8:9]
	v_mov_b32_e32 v4, 0x7f800001
	s_xor_b64 exec, exec, s[8:9]
	s_cbranch_execnz .LBB64_908
.LBB64_888:
	s_or_b64 exec, exec, s[8:9]
	s_and_saveexec_b64 s[8:9], s[2:3]
	s_cbranch_execz .LBB64_890
.LBB64_889:
	v_lshlrev_b32_e32 v4, 24, v3
	v_and_b32_e32 v3, 0xffff, v3
	v_and_b32_e32 v5, 3, v3
	v_ffbh_u32_e32 v7, v5
	v_min_u32_e32 v7, 32, v7
	v_subrev_u32_e32 v8, 29, v7
	v_bfe_u32 v6, v3, 2, 5
	v_lshlrev_b32_e32 v3, v8, v3
	v_sub_u32_e32 v7, 30, v7
	v_and_b32_e32 v3, 3, v3
	v_cmp_eq_u32_e32 vcc, 0, v6
	v_cndmask_b32_e32 v6, v6, v7, vcc
	v_cndmask_b32_e32 v3, v5, v3, vcc
	v_mov_b32_e32 v5, 0x37800000
	v_lshlrev_b32_e32 v3, 21, v3
	v_and_b32_e32 v4, 0x80000000, v4
	v_lshl_add_u32 v5, v6, 23, v5
	v_or3_b32 v4, v4, v5, v3
.LBB64_890:
	s_or_b64 exec, exec, s[8:9]
	v_bfe_u32 v3, v4, 16, 1
	s_movk_i32 s2, 0x7fff
	v_add3_u32 v3, v4, v3, s2
	v_cmp_o_f32_e32 vcc, v4, v4
	v_mov_b32_e32 v4, 0x7fc0
	v_cndmask_b32_sdwa v4, v4, v3, vcc dst_sel:DWORD dst_unused:UNUSED_PAD src0_sel:DWORD src1_sel:WORD_1
	s_mov_b64 s[2:3], 0
	s_branch .LBB64_896
.LBB64_891:
	s_mov_b64 s[2:3], -1
                                        ; implicit-def: $vgpr4
	s_branch .LBB64_902
.LBB64_892:
	s_or_saveexec_b64 s[10:11], s[10:11]
	v_mov_b32_e32 v4, 0x7f800001
	s_xor_b64 exec, exec, s[10:11]
	s_cbranch_execz .LBB64_875
.LBB64_893:
	v_cmp_ne_u16_e32 vcc, 0, v3
	s_andn2_b64 s[8:9], s[8:9], exec
	s_and_b64 s[12:13], vcc, exec
	v_mov_b32_e32 v4, 0
	s_or_b64 s[8:9], s[8:9], s[12:13]
	s_or_b64 exec, exec, s[10:11]
	s_and_saveexec_b64 s[10:11], s[8:9]
	s_cbranch_execnz .LBB64_876
	s_branch .LBB64_877
.LBB64_894:
	s_mov_b64 s[2:3], -1
                                        ; implicit-def: $vgpr4
	s_branch .LBB64_899
.LBB64_895:
	s_mov_b64 s[2:3], -1
                                        ; implicit-def: $vgpr4
.LBB64_896:
	s_and_b64 vcc, exec, s[2:3]
	s_cbranch_vccz .LBB64_898
; %bb.897:
	global_load_ubyte v3, v[1:2], off
	s_mov_b32 s2, 0x7f800000
	s_brev_b32 s3, 1
	s_movk_i32 s8, 0x7fff
	s_waitcnt vmcnt(0)
	v_lshlrev_b32_e32 v3, 24, v3
	v_and_b32_e32 v4, 0x7f000000, v3
	v_ffbh_u32_e32 v5, v4
	v_min_u32_e32 v5, 32, v5
	v_sub_u32_e64 v5, v5, 4 clamp
	v_lshlrev_b32_e32 v7, v5, v4
	v_lshlrev_b32_e32 v5, 23, v5
	v_lshrrev_b32_e32 v7, 4, v7
	v_add_u32_e32 v6, 0x1000000, v4
	v_sub_u32_e32 v5, v7, v5
	v_ashrrev_i32_e32 v6, 8, v6
	v_add_u32_e32 v5, 0x3c000000, v5
	v_and_or_b32 v5, v6, s2, v5
	v_cmp_ne_u32_e32 vcc, 0, v4
	v_cndmask_b32_e32 v4, 0, v5, vcc
	v_and_or_b32 v3, v3, s3, v4
	v_bfe_u32 v4, v4, 16, 1
	v_add3_u32 v4, v3, v4, s8
	v_cmp_o_f32_e32 vcc, v3, v3
	v_mov_b32_e32 v3, 0x7fc0
	v_cndmask_b32_sdwa v4, v3, v4, vcc dst_sel:DWORD dst_unused:UNUSED_PAD src0_sel:DWORD src1_sel:WORD_1
.LBB64_898:
	s_mov_b64 s[2:3], 0
.LBB64_899:
	s_andn2_b64 vcc, exec, s[2:3]
	s_cbranch_vccnz .LBB64_901
; %bb.900:
	global_load_ubyte v3, v[1:2], off
	s_movk_i32 s2, 0x7f00
	s_brev_b32 s3, 16
	s_brev_b32 s8, 1
	s_movk_i32 s9, 0x7fff
	s_waitcnt vmcnt(0)
	v_lshlrev_b16_e32 v4, 8, v3
	v_lshlrev_b32_e32 v3, 25, v3
	v_lshrrev_b32_e32 v5, 4, v3
	v_and_or_b32 v6, v4, s2, 0.5
	v_or_b32_e32 v5, 0x70000000, v5
	v_add_f32_e32 v6, -0.5, v6
	v_mul_f32_e32 v5, 0x7800000, v5
	v_cmp_gt_u32_e32 vcc, s3, v3
	v_bfe_i32 v4, v4, 0, 16
	v_cndmask_b32_e32 v3, v5, v6, vcc
	v_and_or_b32 v4, v4, s8, v3
	v_bfe_u32 v3, v3, 16, 1
	v_add3_u32 v3, v4, v3, s9
	v_cmp_o_f32_e32 vcc, v4, v4
	v_mov_b32_e32 v4, 0x7fc0
	v_cndmask_b32_sdwa v4, v4, v3, vcc dst_sel:DWORD dst_unused:UNUSED_PAD src0_sel:DWORD src1_sel:WORD_1
.LBB64_901:
	s_mov_b64 s[2:3], 0
	s_mov_b64 s[8:9], -1
.LBB64_902:
	s_andn2_b64 vcc, exec, s[2:3]
	s_mov_b64 s[2:3], 0
	s_cbranch_vccnz .LBB64_913
; %bb.903:
	s_cmp_gt_i32 s14, 14
	s_cbranch_scc0 .LBB64_906
; %bb.904:
	s_cmp_eq_u32 s14, 15
	s_cbranch_scc0 .LBB64_909
; %bb.905:
	global_load_ushort v4, v[1:2], off
	s_mov_b64 s[0:1], 0
	s_mov_b64 s[8:9], -1
	s_branch .LBB64_910
.LBB64_906:
	s_mov_b64 s[10:11], -1
                                        ; implicit-def: $vgpr4
	s_branch .LBB64_911
.LBB64_907:
	s_or_saveexec_b64 s[8:9], s[8:9]
	v_mov_b32_e32 v4, 0x7f800001
	s_xor_b64 exec, exec, s[8:9]
	s_cbranch_execz .LBB64_888
.LBB64_908:
	v_cmp_ne_u16_e32 vcc, 0, v3
	s_andn2_b64 s[2:3], s[2:3], exec
	s_and_b64 s[10:11], vcc, exec
	v_mov_b32_e32 v4, 0
	s_or_b64 s[2:3], s[2:3], s[10:11]
	s_or_b64 exec, exec, s[8:9]
	s_and_saveexec_b64 s[8:9], s[2:3]
	s_cbranch_execnz .LBB64_889
	s_branch .LBB64_890
.LBB64_909:
	s_mov_b64 s[0:1], -1
                                        ; implicit-def: $vgpr4
.LBB64_910:
	s_mov_b64 s[10:11], 0
.LBB64_911:
	s_and_b64 vcc, exec, s[10:11]
	s_cbranch_vccz .LBB64_913
; %bb.912:
	s_cmp_lg_u32 s14, 11
	s_cselect_b64 s[10:11], -1, 0
	s_andn2_b64 s[0:1], s[0:1], exec
	s_and_b64 s[10:11], s[10:11], exec
	s_mov_b64 s[2:3], -1
	s_or_b64 s[0:1], s[0:1], s[10:11]
.LBB64_913:
	s_mov_b64 s[12:13], 0
.LBB64_914:
	s_and_b64 s[10:11], s[8:9], exec
	s_and_b64 s[8:9], s[12:13], exec
	s_andn2_b64 s[12:13], s[66:67], exec
	s_and_b64 s[0:1], s[0:1], exec
	s_and_b64 s[2:3], s[2:3], exec
	s_or_b64 s[12:13], s[12:13], s[0:1]
.LBB64_915:
	s_or_b64 exec, exec, s[70:71]
	s_and_b64 s[0:1], s[2:3], exec
	s_andn2_b64 s[2:3], s[66:67], exec
	s_and_b64 s[12:13], s[12:13], exec
	s_and_b64 s[10:11], s[10:11], exec
	s_and_b64 s[8:9], s[8:9], exec
	s_or_b64 s[66:67], s[2:3], s[12:13]
.LBB64_916:
	s_or_b64 exec, exec, s[64:65]
	s_andn2_b64 s[2:3], s[60:61], exec
	s_and_b64 s[12:13], s[68:69], exec
	s_or_b64 s[60:61], s[2:3], s[12:13]
	s_and_b64 s[2:3], s[0:1], exec
	s_andn2_b64 s[0:1], s[58:59], exec
	s_and_b64 s[12:13], s[66:67], exec
	s_and_b64 s[10:11], s[10:11], exec
	;; [unrolled: 1-line block ×3, first 2 shown]
	s_or_b64 s[58:59], s[0:1], s[12:13]
.LBB64_917:
	s_or_b64 exec, exec, s[62:63]
	s_andn2_b64 s[0:1], s[52:53], exec
	s_and_b64 s[12:13], s[60:61], exec
	s_or_b64 s[52:53], s[0:1], s[12:13]
	s_and_b64 s[0:1], s[10:11], exec
	s_and_b64 s[10:11], s[8:9], exec
	;; [unrolled: 1-line block ×3, first 2 shown]
	s_andn2_b64 s[2:3], s[54:55], exec
	s_and_b64 s[8:9], s[58:59], exec
	s_or_b64 s[54:55], s[2:3], s[8:9]
	s_or_b64 exec, exec, s[56:57]
	s_mov_b64 s[2:3], 0
	s_and_saveexec_b64 s[8:9], s[54:55]
	s_cbranch_execz .LBB64_274
.LBB64_918:
	s_mov_b64 s[2:3], exec
	s_andn2_b64 s[60:61], s[60:61], exec
	s_trap 2
	s_or_b64 exec, exec, s[8:9]
	s_and_saveexec_b64 s[8:9], s[60:61]
	s_xor_b64 s[8:9], exec, s[8:9]
	s_cbranch_execnz .LBB64_275
.LBB64_919:
	s_or_b64 exec, exec, s[8:9]
	s_and_saveexec_b64 s[8:9], s[10:11]
	s_cbranch_execz .LBB64_965
.LBB64_920:
	s_sext_i32_i16 s10, s74
	s_cmp_lt_i32 s10, 5
	s_cbranch_scc1 .LBB64_925
; %bb.921:
	s_cmp_lt_i32 s10, 8
	s_cbranch_scc1 .LBB64_926
; %bb.922:
	;; [unrolled: 3-line block ×3, first 2 shown]
	s_cmp_gt_i32 s10, 9
	s_cbranch_scc0 .LBB64_928
; %bb.924:
	global_load_dwordx2 v[3:4], v[1:2], off
	s_movk_i32 s10, 0x7fff
	s_waitcnt vmcnt(0)
	v_cvt_f32_f64_e32 v3, v[3:4]
	v_mov_b32_e32 v4, 0x7fc0
	v_bfe_u32 v5, v3, 16, 1
	v_cmp_o_f32_e32 vcc, v3, v3
	v_add3_u32 v3, v3, v5, s10
	v_cndmask_b32_sdwa v4, v4, v3, vcc dst_sel:DWORD dst_unused:UNUSED_PAD src0_sel:DWORD src1_sel:WORD_1
	s_mov_b64 s[10:11], 0
	s_branch .LBB64_929
.LBB64_925:
                                        ; implicit-def: $vgpr4
	s_branch .LBB64_946
.LBB64_926:
                                        ; implicit-def: $vgpr4
	s_branch .LBB64_935
.LBB64_927:
	s_mov_b64 s[10:11], -1
                                        ; implicit-def: $vgpr4
	s_branch .LBB64_932
.LBB64_928:
	s_mov_b64 s[10:11], -1
                                        ; implicit-def: $vgpr4
.LBB64_929:
	s_andn2_b64 vcc, exec, s[10:11]
	s_cbranch_vccnz .LBB64_931
; %bb.930:
	global_load_dword v3, v[1:2], off
	s_movk_i32 s10, 0x7fff
	s_waitcnt vmcnt(1)
	v_mov_b32_e32 v4, 0x7fc0
	s_waitcnt vmcnt(0)
	v_bfe_u32 v5, v3, 16, 1
	v_cmp_o_f32_e32 vcc, v3, v3
	v_add3_u32 v3, v3, v5, s10
	v_cndmask_b32_sdwa v4, v4, v3, vcc dst_sel:DWORD dst_unused:UNUSED_PAD src0_sel:DWORD src1_sel:WORD_1
.LBB64_931:
	s_mov_b64 s[10:11], 0
.LBB64_932:
	s_andn2_b64 vcc, exec, s[10:11]
	s_cbranch_vccnz .LBB64_934
; %bb.933:
	global_load_dword v3, v[1:2], off
	s_movk_i32 s10, 0x7fff
	v_mov_b32_e32 v5, 0x7fc0
	s_waitcnt vmcnt(0)
	v_cvt_f32_f16_e32 v4, v3
	v_cmp_o_f16_e32 vcc, v3, v3
	v_bfe_u32 v3, v4, 16, 1
	v_add3_u32 v3, v4, v3, s10
	v_cndmask_b32_sdwa v4, v5, v3, vcc dst_sel:DWORD dst_unused:UNUSED_PAD src0_sel:DWORD src1_sel:WORD_1
.LBB64_934:
	s_cbranch_execnz .LBB64_945
.LBB64_935:
	s_sext_i32_i16 s10, s74
	s_cmp_lt_i32 s10, 6
	s_cbranch_scc1 .LBB64_938
; %bb.936:
	s_cmp_gt_i32 s10, 6
	s_cbranch_scc0 .LBB64_939
; %bb.937:
	global_load_dwordx2 v[3:4], v[1:2], off
	s_movk_i32 s10, 0x7fff
	s_waitcnt vmcnt(0)
	v_cvt_f32_f64_e32 v3, v[3:4]
	v_mov_b32_e32 v4, 0x7fc0
	v_bfe_u32 v5, v3, 16, 1
	v_cmp_o_f32_e32 vcc, v3, v3
	v_add3_u32 v3, v3, v5, s10
	v_cndmask_b32_sdwa v4, v4, v3, vcc dst_sel:DWORD dst_unused:UNUSED_PAD src0_sel:DWORD src1_sel:WORD_1
	s_mov_b64 s[10:11], 0
	s_branch .LBB64_940
.LBB64_938:
	s_mov_b64 s[10:11], -1
                                        ; implicit-def: $vgpr4
	s_branch .LBB64_943
.LBB64_939:
	s_mov_b64 s[10:11], -1
                                        ; implicit-def: $vgpr4
.LBB64_940:
	s_andn2_b64 vcc, exec, s[10:11]
	s_cbranch_vccnz .LBB64_942
; %bb.941:
	global_load_dword v3, v[1:2], off
	s_movk_i32 s10, 0x7fff
	s_waitcnt vmcnt(1)
	v_mov_b32_e32 v4, 0x7fc0
	s_waitcnt vmcnt(0)
	v_bfe_u32 v5, v3, 16, 1
	v_cmp_o_f32_e32 vcc, v3, v3
	v_add3_u32 v3, v3, v5, s10
	v_cndmask_b32_sdwa v4, v4, v3, vcc dst_sel:DWORD dst_unused:UNUSED_PAD src0_sel:DWORD src1_sel:WORD_1
.LBB64_942:
	s_mov_b64 s[10:11], 0
.LBB64_943:
	s_andn2_b64 vcc, exec, s[10:11]
	s_cbranch_vccnz .LBB64_945
; %bb.944:
	global_load_ushort v3, v[1:2], off
	s_movk_i32 s10, 0x7fff
	v_mov_b32_e32 v5, 0x7fc0
	s_waitcnt vmcnt(0)
	v_cvt_f32_f16_e32 v4, v3
	v_cmp_o_f16_e32 vcc, v3, v3
	v_bfe_u32 v3, v4, 16, 1
	v_add3_u32 v3, v4, v3, s10
	v_cndmask_b32_sdwa v4, v5, v3, vcc dst_sel:DWORD dst_unused:UNUSED_PAD src0_sel:DWORD src1_sel:WORD_1
.LBB64_945:
	s_cbranch_execnz .LBB64_964
.LBB64_946:
	s_sext_i32_i16 s10, s74
	s_cmp_lt_i32 s10, 2
	s_cbranch_scc1 .LBB64_950
; %bb.947:
	s_cmp_lt_i32 s10, 3
	s_cbranch_scc1 .LBB64_951
; %bb.948:
	s_cmp_gt_i32 s10, 3
	s_cbranch_scc0 .LBB64_952
; %bb.949:
	global_load_dwordx2 v[3:4], v[1:2], off
	s_movk_i32 s10, 0x7fff
	s_waitcnt vmcnt(0)
	v_xor_b32_e32 v6, v3, v4
	v_ffbh_i32_e32 v5, v4
	v_ashrrev_i32_e32 v6, 31, v6
	v_add_u32_e32 v5, -1, v5
	v_add_u32_e32 v6, 32, v6
	v_min_u32_e32 v5, v5, v6
	v_lshlrev_b64 v[3:4], v5, v[3:4]
	v_min_u32_e32 v3, 1, v3
	v_or_b32_e32 v3, v4, v3
	v_cvt_f32_i32_e32 v3, v3
	v_sub_u32_e32 v4, 32, v5
	v_ldexp_f32 v3, v3, v4
	v_bfe_u32 v4, v3, 16, 1
	v_add3_u32 v3, v3, v4, s10
	v_lshrrev_b32_e32 v4, 16, v3
	s_mov_b64 s[10:11], 0
	s_branch .LBB64_953
.LBB64_950:
                                        ; implicit-def: $vgpr4
	s_branch .LBB64_959
.LBB64_951:
	s_mov_b64 s[10:11], -1
                                        ; implicit-def: $vgpr4
	s_branch .LBB64_956
.LBB64_952:
	s_mov_b64 s[10:11], -1
                                        ; implicit-def: $vgpr4
.LBB64_953:
	s_andn2_b64 vcc, exec, s[10:11]
	s_cbranch_vccnz .LBB64_955
; %bb.954:
	global_load_dword v3, v[1:2], off
	s_movk_i32 s10, 0x7fff
	s_waitcnt vmcnt(0)
	v_cvt_f32_i32_e32 v3, v3
	v_bfe_u32 v4, v3, 16, 1
	v_add3_u32 v3, v3, v4, s10
	v_lshrrev_b32_e32 v4, 16, v3
.LBB64_955:
	s_mov_b64 s[10:11], 0
.LBB64_956:
	s_andn2_b64 vcc, exec, s[10:11]
	s_cbranch_vccnz .LBB64_958
; %bb.957:
	global_load_sshort v3, v[1:2], off
	s_movk_i32 s10, 0x7fff
	s_waitcnt vmcnt(0)
	v_cvt_f32_i32_e32 v3, v3
	v_bfe_u32 v4, v3, 16, 1
	v_add3_u32 v3, v3, v4, s10
	v_lshrrev_b32_e32 v4, 16, v3
.LBB64_958:
	s_cbranch_execnz .LBB64_964
.LBB64_959:
	s_sext_i32_i16 s10, s74
	s_cmp_gt_i32 s10, 0
	s_cbranch_scc0 .LBB64_961
; %bb.960:
	global_load_sbyte v3, v[1:2], off
	s_movk_i32 s10, 0x7fff
	s_waitcnt vmcnt(0)
	v_cvt_f32_i32_e32 v3, v3
	v_bfe_u32 v4, v3, 16, 1
	v_add3_u32 v3, v3, v4, s10
	v_lshrrev_b32_e32 v4, 16, v3
	s_mov_b64 s[10:11], 0
	s_branch .LBB64_962
.LBB64_961:
	s_mov_b64 s[10:11], -1
                                        ; implicit-def: $vgpr4
.LBB64_962:
	s_andn2_b64 vcc, exec, s[10:11]
	s_cbranch_vccnz .LBB64_964
; %bb.963:
	global_load_ubyte v1, v[1:2], off
	s_movk_i32 s10, 0x7fff
	s_waitcnt vmcnt(0)
	v_cvt_f32_ubyte0_e32 v1, v1
	v_bfe_u32 v2, v1, 16, 1
	v_add3_u32 v1, v1, v2, s10
	v_lshrrev_b32_e32 v4, 16, v1
.LBB64_964:
	s_or_b64 s[0:1], s[0:1], exec
.LBB64_965:
	s_or_b64 exec, exec, s[8:9]
	s_mov_b64 s[12:13], 0
	s_mov_b64 s[10:11], 0
                                        ; implicit-def: $sgpr18
                                        ; implicit-def: $vgpr1_vgpr2
                                        ; implicit-def: $vgpr3
	s_and_saveexec_b64 s[8:9], s[0:1]
	s_cbranch_execz .LBB64_983
; %bb.966:
	s_waitcnt vmcnt(0)
	v_lshlrev_b32_e32 v1, 16, v4
	v_fma_f32 v2, |v1|, -0.5, 0.5
	v_mul_f32_e32 v3, v1, v1
	v_cmp_ge_f32_e64 vcc, |v1|, 0.5
	v_cndmask_b32_e32 v2, v3, v2, vcc
	v_mov_b32_e32 v3, 0x3c5fc5da
	v_fmac_f32_e32 v3, 0x3d1c21a7, v2
	v_mov_b32_e32 v4, 0x3d034c3c
	v_fmac_f32_e32 v4, v2, v3
	;; [unrolled: 2-line block ×4, first 2 shown]
	v_sqrt_f32_e32 v3, v2
	v_mov_b32_e32 v5, 0x3e2aaaac
	v_fmac_f32_e32 v5, v2, v4
	v_mul_f32_e32 v2, v2, v5
	v_fmac_f32_e32 v3, v3, v2
	v_add_f32_e32 v3, v3, v3
	v_sub_f32_e32 v3, 0x3fc90fdb, v3
	v_fma_f32 v2, |v1|, v2, |v1|
	v_cmp_lt_f32_e64 vcc, |v1|, 0.5
	v_cndmask_b32_e32 v2, v3, v2, vcc
	s_brev_b32 s0, -2
	v_bfi_b32 v1, s0, v2, v1
	v_bfe_u32 v2, v1, 16, 1
	s_movk_i32 s0, 0x7fff
	v_add3_u32 v2, v1, v2, s0
	v_cmp_o_f32_e32 vcc, v1, v1
	v_mov_b32_e32 v1, 0x7fc0
	v_cndmask_b32_sdwa v3, v1, v2, vcc dst_sel:DWORD dst_unused:UNUSED_PAD src0_sel:DWORD src1_sel:WORD_1
	s_waitcnt lgkmcnt(0)
	v_mov_b32_e32 v2, s25
	s_and_b32 s18, s73, 0xff
	v_add_co_u32_e32 v1, vcc, s24, v0
	s_cmp_lt_i32 s18, 11
	v_addc_co_u32_e32 v2, vcc, 0, v2, vcc
	s_cbranch_scc1 .LBB64_986
; %bb.967:
	s_and_b32 s19, 0xffff, s18
	s_mov_b64 s[12:13], -1
	s_cmp_gt_i32 s19, 25
	s_mov_b64 s[0:1], s[52:53]
	s_cbranch_scc0 .LBB64_1004
; %bb.968:
	s_mov_b64 s[10:11], -1
	s_cmp_gt_i32 s19, 28
	s_mov_b64 s[0:1], s[52:53]
	s_cbranch_scc0 .LBB64_988
; %bb.969:
	s_cmp_gt_i32 s19, 43
	s_mov_b64 s[0:1], s[52:53]
	s_cbranch_scc0 .LBB64_980
; %bb.970:
	;; [unrolled: 4-line block ×3, first 2 shown]
	s_cmp_eq_u32 s19, 46
	s_mov_b64 s[0:1], -1
	s_cbranch_scc0 .LBB64_973
; %bb.972:
	v_and_b32_e32 v0, 0xffff, v3
	global_store_dword v[1:2], v0, off
	s_mov_b64 s[0:1], 0
.LBB64_973:
	s_mov_b64 s[10:11], 0
.LBB64_974:
	s_and_b64 vcc, exec, s[10:11]
	s_cbranch_vccz .LBB64_979
; %bb.975:
	s_cmp_eq_u32 s19, 44
	s_mov_b64 s[0:1], -1
	s_cbranch_scc0 .LBB64_979
; %bb.976:
	v_and_b32_e32 v4, 0xffff, v3
	v_bfe_u32 v0, v4, 7, 8
	s_movk_i32 s0, 0xff
	v_cmp_ne_u32_e32 vcc, s0, v0
	v_mov_b32_e32 v5, 0xff
	s_and_saveexec_b64 s[10:11], vcc
	s_cbranch_execz .LBB64_978
; %bb.977:
	v_lshlrev_b32_e32 v6, 16, v4
	s_mov_b32 s0, 0x3f0000
	v_lshrrev_b32_e32 v5, 7, v4
	v_and_b32_e32 v4, 64, v4
	v_and_or_b32 v0, v6, s0, v0
	v_cmp_ne_u32_e32 vcc, 0, v4
	v_cmp_ne_u32_e64 s[0:1], 0, v0
	s_and_b64 s[0:1], vcc, s[0:1]
	v_cndmask_b32_e64 v0, 0, 1, s[0:1]
	v_add_u32_e32 v5, v5, v0
.LBB64_978:
	s_or_b64 exec, exec, s[10:11]
	s_mov_b64 s[0:1], 0
	global_store_byte v[1:2], v5, off
.LBB64_979:
	s_mov_b64 s[10:11], 0
.LBB64_980:
	s_and_b64 vcc, exec, s[10:11]
	s_cbranch_vccz .LBB64_987
; %bb.981:
	s_cmp_eq_u32 s19, 29
	s_mov_b64 s[0:1], -1
	s_cbranch_scc0 .LBB64_987
; %bb.982:
	v_lshlrev_b32_e32 v0, 16, v3
	v_trunc_f32_e32 v0, v0
	v_mul_f32_e32 v4, 0x2f800000, v0
	v_floor_f32_e32 v4, v4
	v_fmac_f32_e32 v0, 0xcf800000, v4
	v_cvt_u32_f32_e32 v5, v4
	v_cvt_u32_f32_e32 v4, v0
	s_mov_b64 s[0:1], 0
	s_mov_b64 s[10:11], 0
	global_store_dwordx2 v[1:2], v[4:5], off
	s_branch .LBB64_988
.LBB64_983:
	s_or_b64 exec, exec, s[8:9]
	s_and_saveexec_b64 s[0:1], s[52:53]
	s_cbranch_execnz .LBB64_1046
.LBB64_984:
	s_or_b64 exec, exec, s[0:1]
	s_and_saveexec_b64 s[0:1], s[12:13]
	s_xor_b64 s[0:1], exec, s[0:1]
	s_cbranch_execz .LBB64_1047
.LBB64_985:
	s_waitcnt vmcnt(0)
	v_and_b32_e32 v0, 0x7fff, v3
	v_cmp_ne_u16_e32 vcc, 0, v0
	v_cndmask_b32_e64 v0, 0, 1, vcc
	global_store_byte v[1:2], v0, off
	s_or_b64 exec, exec, s[0:1]
	s_and_saveexec_b64 s[0:1], s[10:11]
	s_xor_b64 s[0:1], exec, s[0:1]
	s_cbranch_execz .LBB64_1085
	s_branch .LBB64_1048
.LBB64_986:
	s_mov_b64 s[10:11], -1
	s_mov_b64 s[0:1], s[52:53]
	s_branch .LBB64_1045
.LBB64_987:
	s_mov_b64 s[10:11], 0
.LBB64_988:
	s_and_b64 vcc, exec, s[10:11]
	s_cbranch_vccz .LBB64_1003
; %bb.989:
	s_cmp_lt_i32 s19, 27
	s_mov_b64 s[10:11], -1
	s_cbranch_scc1 .LBB64_995
; %bb.990:
	s_cmp_gt_i32 s19, 27
	s_cbranch_scc0 .LBB64_992
; %bb.991:
	v_lshlrev_b32_e32 v0, 16, v3
	v_cvt_u32_f32_e32 v0, v0
	s_mov_b64 s[10:11], 0
	global_store_dword v[1:2], v0, off
.LBB64_992:
	s_andn2_b64 vcc, exec, s[10:11]
	s_cbranch_vccnz .LBB64_994
; %bb.993:
	v_lshlrev_b32_e32 v0, 16, v3
	v_cvt_u32_f32_e32 v0, v0
	global_store_short v[1:2], v0, off
.LBB64_994:
	s_mov_b64 s[10:11], 0
.LBB64_995:
	s_andn2_b64 vcc, exec, s[10:11]
	s_cbranch_vccnz .LBB64_1003
; %bb.996:
	v_lshlrev_b32_e32 v5, 16, v3
	v_and_b32_e32 v4, 0x7fffffff, v5
	s_mov_b32 s10, 0x43800000
	v_cmp_gt_u32_e32 vcc, s10, v4
	v_mov_b32_e32 v6, 0x80
	s_and_saveexec_b64 s[10:11], vcc
	s_cbranch_execz .LBB64_1002
; %bb.997:
	s_mov_b32 s12, 0x3bffffff
	v_and_b32_e32 v0, 0xffff, v3
	v_cmp_lt_u32_e32 vcc, s12, v4
	s_mov_b64 s[12:13], 0
                                        ; implicit-def: $vgpr4
	s_and_saveexec_b64 s[14:15], vcc
	s_xor_b64 s[14:15], exec, s[14:15]
	s_cbranch_execz .LBB64_1156
; %bb.998:
	v_bfe_u32 v4, v0, 4, 1
	s_mov_b32 s16, 0x487ffff
	v_add3_u32 v4, v5, v4, s16
	s_mov_b64 s[12:13], exec
	v_lshrrev_b32_e32 v4, 20, v4
                                        ; implicit-def: $vgpr5
	s_andn2_saveexec_b64 s[14:15], s[14:15]
	s_cbranch_execnz .LBB64_1157
.LBB64_999:
	s_or_b64 exec, exec, s[14:15]
	v_mov_b32_e32 v6, 0
	s_and_saveexec_b64 s[14:15], s[12:13]
.LBB64_1000:
	v_lshrrev_b32_e32 v0, 8, v0
	s_movk_i32 s12, 0x80
	v_and_or_b32 v6, v0, s12, v4
.LBB64_1001:
	s_or_b64 exec, exec, s[14:15]
.LBB64_1002:
	s_or_b64 exec, exec, s[10:11]
	global_store_byte v[1:2], v6, off
.LBB64_1003:
	s_mov_b64 s[12:13], 0
.LBB64_1004:
	s_mov_b64 s[10:11], 0
	s_and_b64 vcc, exec, s[12:13]
	s_cbranch_vccz .LBB64_1044
; %bb.1005:
	s_cmp_gt_i32 s19, 22
	s_mov_b64 s[12:13], -1
	s_cbranch_scc0 .LBB64_1037
; %bb.1006:
	s_cmp_lt_i32 s19, 24
	s_cbranch_scc1 .LBB64_1026
; %bb.1007:
	s_cmp_gt_i32 s19, 24
	s_cbranch_scc0 .LBB64_1015
; %bb.1008:
	v_lshlrev_b32_e32 v5, 16, v3
	v_and_b32_e32 v4, 0x7fffffff, v5
	s_mov_b32 s12, 0x47800000
	v_cmp_gt_u32_e32 vcc, s12, v4
	v_mov_b32_e32 v6, 0x80
	s_and_saveexec_b64 s[12:13], vcc
	s_cbranch_execz .LBB64_1014
; %bb.1009:
	s_mov_b32 s14, 0x37ffffff
	v_and_b32_e32 v0, 0xffff, v3
	v_cmp_lt_u32_e32 vcc, s14, v4
	s_mov_b64 s[14:15], 0
                                        ; implicit-def: $vgpr4
	s_and_saveexec_b64 s[16:17], vcc
	s_xor_b64 s[16:17], exec, s[16:17]
	s_cbranch_execz .LBB64_1280
; %bb.1010:
	v_bfe_u32 v4, v0, 5, 1
	s_mov_b32 s20, 0x88fffff
	v_add3_u32 v4, v5, v4, s20
	s_mov_b64 s[14:15], exec
	v_lshrrev_b32_e32 v4, 21, v4
                                        ; implicit-def: $vgpr5
	s_andn2_saveexec_b64 s[16:17], s[16:17]
	s_cbranch_execnz .LBB64_1281
.LBB64_1011:
	s_or_b64 exec, exec, s[16:17]
	v_mov_b32_e32 v6, 0
	s_and_saveexec_b64 s[16:17], s[14:15]
.LBB64_1012:
	v_lshrrev_b32_e32 v0, 8, v0
	s_movk_i32 s14, 0x80
	v_and_or_b32 v6, v0, s14, v4
.LBB64_1013:
	s_or_b64 exec, exec, s[16:17]
.LBB64_1014:
	s_or_b64 exec, exec, s[12:13]
	s_mov_b64 s[12:13], 0
	global_store_byte v[1:2], v6, off
.LBB64_1015:
	s_and_b64 vcc, exec, s[12:13]
	s_cbranch_vccz .LBB64_1025
; %bb.1016:
	v_lshlrev_b32_e32 v5, 16, v3
	v_and_b32_e32 v6, 0x7fffffff, v5
	s_mov_b32 s12, 0x43f00000
	v_and_b32_e32 v0, 0xffff, v3
	v_cmp_gt_u32_e32 vcc, s12, v6
                                        ; implicit-def: $vgpr4
	s_and_saveexec_b64 s[12:13], vcc
	s_xor_b64 s[12:13], exec, s[12:13]
	s_cbranch_execz .LBB64_1022
; %bb.1017:
	s_mov_b32 s14, 0x3c7fffff
	v_cmp_lt_u32_e32 vcc, s14, v6
                                        ; implicit-def: $vgpr4
	s_and_saveexec_b64 s[14:15], vcc
	s_xor_b64 s[14:15], exec, s[14:15]
; %bb.1018:
	v_bfe_u32 v4, v0, 4, 1
	s_mov_b32 s16, 0x407ffff
	v_add3_u32 v4, v5, v4, s16
	v_lshrrev_b32_e32 v5, 20, v4
	v_and_b32_e32 v4, 0xff00000, v4
	s_mov_b32 s16, 0x7f00000
	v_mov_b32_e32 v6, 0x7e
	v_cmp_ne_u32_e32 vcc, s16, v4
	v_cndmask_b32_e32 v4, v6, v5, vcc
                                        ; implicit-def: $vgpr5
; %bb.1019:
	s_andn2_saveexec_b64 s[14:15], s[14:15]
; %bb.1020:
	s_mov_b32 s16, 0x46800000
	v_add_f32_e64 v4, |v5|, s16
; %bb.1021:
	s_or_b64 exec, exec, s[14:15]
                                        ; implicit-def: $vgpr6
.LBB64_1022:
	s_andn2_saveexec_b64 s[12:13], s[12:13]
; %bb.1023:
	s_mov_b32 s14, 0x7f800000
	v_mov_b32_e32 v4, 0x7e
	v_mov_b32_e32 v5, 0x7f
	v_cmp_lt_u32_e32 vcc, s14, v6
	v_cndmask_b32_e32 v4, v4, v5, vcc
; %bb.1024:
	s_or_b64 exec, exec, s[12:13]
	v_lshrrev_b32_e32 v0, 8, v0
	s_movk_i32 s12, 0x80
	v_and_or_b32 v0, v0, s12, v4
	global_store_byte v[1:2], v0, off
.LBB64_1025:
	s_mov_b64 s[12:13], 0
.LBB64_1026:
	s_andn2_b64 vcc, exec, s[12:13]
	s_cbranch_vccnz .LBB64_1036
; %bb.1027:
	v_lshlrev_b32_e32 v5, 16, v3
	v_and_b32_e32 v6, 0x7fffffff, v5
	s_mov_b32 s12, 0x47800000
	v_and_b32_e32 v0, 0xffff, v3
	v_cmp_gt_u32_e32 vcc, s12, v6
                                        ; implicit-def: $vgpr4
	s_and_saveexec_b64 s[12:13], vcc
	s_xor_b64 s[12:13], exec, s[12:13]
	s_cbranch_execz .LBB64_1033
; %bb.1028:
	s_mov_b32 s14, 0x387fffff
	v_cmp_lt_u32_e32 vcc, s14, v6
                                        ; implicit-def: $vgpr4
	s_and_saveexec_b64 s[14:15], vcc
	s_xor_b64 s[14:15], exec, s[14:15]
; %bb.1029:
	v_bfe_u32 v4, v0, 5, 1
	s_mov_b32 s16, 0x80fffff
	v_add3_u32 v4, v5, v4, s16
	v_lshrrev_b32_e32 v4, 21, v4
                                        ; implicit-def: $vgpr5
; %bb.1030:
	s_andn2_saveexec_b64 s[14:15], s[14:15]
; %bb.1031:
	s_mov_b32 s16, 0x43000000
	v_add_f32_e64 v4, |v5|, s16
; %bb.1032:
	s_or_b64 exec, exec, s[14:15]
                                        ; implicit-def: $vgpr6
.LBB64_1033:
	s_andn2_saveexec_b64 s[12:13], s[12:13]
; %bb.1034:
	s_mov_b32 s14, 0x7f800000
	v_mov_b32_e32 v4, 0x7c
	v_mov_b32_e32 v5, 0x7f
	v_cmp_lt_u32_e32 vcc, s14, v6
	v_cndmask_b32_e32 v4, v4, v5, vcc
; %bb.1035:
	s_or_b64 exec, exec, s[12:13]
	v_lshrrev_b32_e32 v0, 8, v0
	s_movk_i32 s12, 0x80
	v_and_or_b32 v0, v0, s12, v4
	global_store_byte v[1:2], v0, off
.LBB64_1036:
	s_mov_b64 s[12:13], 0
.LBB64_1037:
	s_andn2_b64 vcc, exec, s[12:13]
	s_mov_b64 s[12:13], 0
	s_cbranch_vccnz .LBB64_1045
; %bb.1038:
	s_cmp_gt_i32 s19, 14
	s_mov_b64 s[14:15], -1
	s_cbranch_scc0 .LBB64_1042
; %bb.1039:
	s_cmp_eq_u32 s19, 15
	s_mov_b64 s[0:1], -1
	s_cbranch_scc0 .LBB64_1041
; %bb.1040:
	global_store_short v[1:2], v3, off
	s_mov_b64 s[0:1], 0
.LBB64_1041:
	s_mov_b64 s[14:15], 0
.LBB64_1042:
	s_and_b64 vcc, exec, s[14:15]
	s_cbranch_vccz .LBB64_1045
; %bb.1043:
	s_cmp_lg_u32 s19, 11
	s_cselect_b64 s[14:15], -1, 0
	s_andn2_b64 s[0:1], s[0:1], exec
	s_and_b64 s[14:15], s[14:15], exec
	s_mov_b64 s[12:13], -1
	s_or_b64 s[0:1], s[0:1], s[14:15]
	s_branch .LBB64_1045
.LBB64_1044:
	s_mov_b64 s[12:13], 0
.LBB64_1045:
	s_andn2_b64 s[14:15], s[52:53], exec
	s_and_b64 s[0:1], s[0:1], exec
	s_and_b64 s[10:11], s[10:11], exec
	;; [unrolled: 1-line block ×3, first 2 shown]
	s_or_b64 s[52:53], s[14:15], s[0:1]
	s_or_b64 exec, exec, s[8:9]
	s_and_saveexec_b64 s[0:1], s[52:53]
	s_cbranch_execz .LBB64_984
.LBB64_1046:
	s_or_b64 s[2:3], s[2:3], exec
	s_andn2_b64 s[12:13], s[12:13], exec
	s_trap 2
	s_or_b64 exec, exec, s[0:1]
	s_and_saveexec_b64 s[0:1], s[12:13]
	s_xor_b64 s[0:1], exec, s[0:1]
	s_cbranch_execnz .LBB64_985
.LBB64_1047:
	s_or_b64 exec, exec, s[0:1]
	s_and_saveexec_b64 s[0:1], s[10:11]
	s_xor_b64 s[0:1], exec, s[0:1]
	s_cbranch_execz .LBB64_1085
.LBB64_1048:
	s_sext_i32_i16 s10, s18
	s_cmp_lt_i32 s10, 5
	s_mov_b64 s[8:9], -1
	s_cbranch_scc1 .LBB64_1069
; %bb.1049:
	s_cmp_lt_i32 s10, 8
	s_cbranch_scc1 .LBB64_1059
; %bb.1050:
	s_cmp_lt_i32 s10, 9
	s_cbranch_scc1 .LBB64_1056
; %bb.1051:
	s_cmp_gt_i32 s10, 9
	s_cbranch_scc0 .LBB64_1053
; %bb.1052:
	s_waitcnt vmcnt(0)
	v_lshlrev_b32_e32 v0, 16, v3
	v_cvt_f64_f32_e32 v[4:5], v0
	v_mov_b32_e32 v6, 0
	v_mov_b32_e32 v7, v6
	s_mov_b64 s[8:9], 0
	global_store_dwordx4 v[1:2], v[4:7], off
.LBB64_1053:
	s_andn2_b64 vcc, exec, s[8:9]
	s_cbranch_vccnz .LBB64_1055
; %bb.1054:
	s_waitcnt vmcnt(0)
	v_lshlrev_b32_e32 v4, 16, v3
	v_mov_b32_e32 v5, 0
	global_store_dwordx2 v[1:2], v[4:5], off
.LBB64_1055:
	s_mov_b64 s[8:9], 0
.LBB64_1056:
	s_andn2_b64 vcc, exec, s[8:9]
	s_cbranch_vccnz .LBB64_1058
; %bb.1057:
	s_waitcnt vmcnt(0)
	v_lshlrev_b32_e32 v0, 16, v3
	v_cvt_f16_f32_e32 v0, v0
	global_store_dword v[1:2], v0, off
.LBB64_1058:
	s_mov_b64 s[8:9], 0
.LBB64_1059:
	s_andn2_b64 vcc, exec, s[8:9]
	s_cbranch_vccnz .LBB64_1068
; %bb.1060:
	s_sext_i32_i16 s10, s18
	s_cmp_lt_i32 s10, 6
	s_mov_b64 s[8:9], -1
	s_cbranch_scc1 .LBB64_1066
; %bb.1061:
	s_cmp_gt_i32 s10, 6
	s_cbranch_scc0 .LBB64_1063
; %bb.1062:
	s_waitcnt vmcnt(0)
	v_lshlrev_b32_e32 v0, 16, v3
	v_cvt_f64_f32_e32 v[4:5], v0
	s_mov_b64 s[8:9], 0
	global_store_dwordx2 v[1:2], v[4:5], off
.LBB64_1063:
	s_andn2_b64 vcc, exec, s[8:9]
	s_cbranch_vccnz .LBB64_1065
; %bb.1064:
	s_waitcnt vmcnt(0)
	v_lshlrev_b32_e32 v0, 16, v3
	global_store_dword v[1:2], v0, off
.LBB64_1065:
	s_mov_b64 s[8:9], 0
.LBB64_1066:
	s_andn2_b64 vcc, exec, s[8:9]
	s_cbranch_vccnz .LBB64_1068
; %bb.1067:
	s_waitcnt vmcnt(0)
	v_lshlrev_b32_e32 v0, 16, v3
	v_cvt_f16_f32_e32 v0, v0
	global_store_short v[1:2], v0, off
.LBB64_1068:
	s_mov_b64 s[8:9], 0
.LBB64_1069:
	s_andn2_b64 vcc, exec, s[8:9]
	s_cbranch_vccnz .LBB64_1085
; %bb.1070:
	s_sext_i32_i16 s10, s18
	s_cmp_lt_i32 s10, 2
	s_mov_b64 s[8:9], -1
	s_cbranch_scc1 .LBB64_1080
; %bb.1071:
	s_cmp_lt_i32 s10, 3
	s_cbranch_scc1 .LBB64_1077
; %bb.1072:
	s_cmp_gt_i32 s10, 3
	s_cbranch_scc0 .LBB64_1074
; %bb.1073:
	s_waitcnt vmcnt(0)
	v_lshlrev_b32_e32 v0, 16, v3
	v_trunc_f32_e32 v0, v0
	s_mov_b32 s8, 0x2f800000
	v_mul_f32_e64 v4, |v0|, s8
	v_floor_f32_e32 v4, v4
	s_mov_b32 s8, 0xcf800000
	v_cvt_u32_f32_e32 v5, v4
	v_fma_f32 v4, v4, s8, |v0|
	v_cvt_u32_f32_e32 v4, v4
	v_ashrrev_i32_e32 v0, 31, v0
	v_xor_b32_e32 v5, v5, v0
	s_mov_b64 s[8:9], 0
	v_xor_b32_e32 v4, v4, v0
	v_sub_co_u32_e32 v4, vcc, v4, v0
	v_subb_co_u32_e32 v5, vcc, v5, v0, vcc
	global_store_dwordx2 v[1:2], v[4:5], off
.LBB64_1074:
	s_andn2_b64 vcc, exec, s[8:9]
	s_cbranch_vccnz .LBB64_1076
; %bb.1075:
	s_waitcnt vmcnt(0)
	v_lshlrev_b32_e32 v0, 16, v3
	v_cvt_i32_f32_e32 v0, v0
	global_store_dword v[1:2], v0, off
.LBB64_1076:
	s_mov_b64 s[8:9], 0
.LBB64_1077:
	s_andn2_b64 vcc, exec, s[8:9]
	s_cbranch_vccnz .LBB64_1079
; %bb.1078:
	s_waitcnt vmcnt(0)
	v_lshlrev_b32_e32 v0, 16, v3
	v_cvt_i32_f32_e32 v0, v0
	global_store_short v[1:2], v0, off
.LBB64_1079:
	s_mov_b64 s[8:9], 0
.LBB64_1080:
	s_andn2_b64 vcc, exec, s[8:9]
	s_cbranch_vccnz .LBB64_1085
; %bb.1081:
	s_sext_i32_i16 s8, s18
	s_cmp_gt_i32 s8, 0
	s_mov_b64 s[8:9], -1
	s_cbranch_scc0 .LBB64_1083
; %bb.1082:
	s_waitcnt vmcnt(0)
	v_lshlrev_b32_e32 v0, 16, v3
	v_cvt_i32_f32_e32 v0, v0
	s_mov_b64 s[8:9], 0
	global_store_byte v[1:2], v0, off
.LBB64_1083:
	s_andn2_b64 vcc, exec, s[8:9]
	s_cbranch_vccnz .LBB64_1085
; %bb.1084:
	s_waitcnt vmcnt(0)
	v_lshlrev_b32_e32 v0, 16, v3
	v_trunc_f32_e32 v0, v0
	s_mov_b32 s8, 0x2f800000
	v_mul_f32_e64 v3, |v0|, s8
	v_floor_f32_e32 v3, v3
	s_mov_b32 s8, 0xcf800000
	v_fma_f32 v3, v3, s8, |v0|
	v_cvt_u32_f32_e32 v3, v3
	v_ashrrev_i32_e32 v0, 31, v0
	v_xor_b32_e32 v3, v3, v0
	v_sub_u32_e32 v0, v3, v0
	global_store_byte v[1:2], v0, off
.LBB64_1085:
	s_or_b64 exec, exec, s[0:1]
	s_waitcnt lgkmcnt(0)
	s_and_b64 s[28:29], s[2:3], exec
                                        ; implicit-def: $vgpr15
                                        ; implicit-def: $vgpr8
.LBB64_1086:
	s_or_saveexec_b64 s[30:31], s[42:43]
	s_mov_b64 s[0:1], 0
                                        ; implicit-def: $vgpr0_vgpr1
                                        ; implicit-def: $sgpr14
                                        ; implicit-def: $vgpr2
	s_xor_b64 exec, exec, s[30:31]
	s_cbranch_execz .LBB64_2089
; %bb.1087:
	v_cndmask_b32_e64 v0, 0, 1, s[40:41]
	v_cmp_ne_u32_e64 s[0:1], 1, v0
	s_andn2_b64 vcc, exec, s[40:41]
	s_cbranch_vccnz .LBB64_1093
; %bb.1088:
	s_cmp_lg_u32 s33, 0
	s_mov_b32 s36, 0
	s_cbranch_scc0 .LBB64_1094
; %bb.1089:
	s_min_u32 s37, s72, 15
	s_add_i32 s37, s37, 1
	s_cmp_eq_u32 s72, 2
	s_cbranch_scc1 .LBB64_1095
; %bb.1090:
	s_and_b32 s36, s37, 28
	s_add_u32 s2, s34, 0xc4
	s_addc_u32 s3, s35, 0
	v_mov_b32_e32 v13, 0
	s_mov_b32 s38, 0
	s_mov_b64 s[6:7], s[34:35]
	v_mov_b32_e32 v6, 0
	v_mov_b32_e32 v0, v8
.LBB64_1091:                            ; =>This Inner Loop Header: Depth=1
	s_load_dwordx8 s[16:23], s[6:7], 0x4
	s_load_dwordx4 s[24:27], s[6:7], 0x24
	s_load_dwordx8 s[8:15], s[2:3], 0x0
	s_add_u32 s6, s6, 48
	s_addc_u32 s7, s7, 0
	s_waitcnt lgkmcnt(0)
	v_mul_hi_u32 v1, s17, v0
	s_add_i32 s38, s38, 4
	s_add_u32 s2, s2, 32
	s_addc_u32 s3, s3, 0
	v_add_u32_e32 v1, v0, v1
	v_lshrrev_b32_e32 v1, s18, v1
	v_mul_lo_u32 v2, v1, s16
	s_waitcnt vmcnt(0)
	v_mul_hi_u32 v3, s20, v1
	s_cmp_lg_u32 s36, s38
	v_sub_u32_e32 v0, v0, v2
	v_add_u32_e32 v2, v1, v3
	v_mul_lo_u32 v3, v0, s8
	v_mul_lo_u32 v4, v0, s9
	v_lshrrev_b32_e32 v0, s21, v2
	v_mul_lo_u32 v2, v0, s19
	v_mul_hi_u32 v5, s23, v0
	v_sub_u32_e32 v1, v1, v2
	v_add_u32_e32 v2, v0, v5
	v_lshrrev_b32_e32 v2, s24, v2
	v_mul_hi_u32 v7, s26, v2
	v_mul_lo_u32 v9, v2, s22
	v_mul_lo_u32 v5, v1, s10
	;; [unrolled: 1-line block ×3, first 2 shown]
	v_sub_u32_e32 v9, v0, v9
	v_add_u32_e32 v0, v2, v7
	v_lshrrev_b32_e32 v0, s27, v0
	v_mul_lo_u32 v7, v0, s25
	v_mul_lo_u32 v10, v9, s12
	;; [unrolled: 1-line block ×3, first 2 shown]
	v_add3_u32 v3, v3, v6, v5
	v_sub_u32_e32 v2, v2, v7
	v_mul_lo_u32 v7, v2, s14
	v_mul_lo_u32 v2, v2, s15
	v_add3_u32 v1, v4, v13, v1
	v_add3_u32 v6, v10, v3, v7
	;; [unrolled: 1-line block ×3, first 2 shown]
	s_cbranch_scc1 .LBB64_1091
; %bb.1092:
	s_and_b32 s8, s37, 3
	s_cmp_eq_u32 s8, 0
	s_cbranch_scc0 .LBB64_1096
	s_branch .LBB64_1098
.LBB64_1093:
                                        ; implicit-def: $vgpr6
                                        ; implicit-def: $vgpr13
	s_branch .LBB64_1099
.LBB64_1094:
	v_mov_b32_e32 v6, 0
	v_mov_b32_e32 v13, 0
	s_branch .LBB64_1098
.LBB64_1095:
	v_mov_b32_e32 v6, 0
	v_mov_b32_e32 v13, 0
	;; [unrolled: 1-line block ×3, first 2 shown]
	s_and_b32 s8, s37, 3
	s_cmp_eq_u32 s8, 0
	s_cbranch_scc1 .LBB64_1098
.LBB64_1096:
	s_lshl_b32 s2, s36, 3
	s_add_u32 s2, s34, s2
	s_addc_u32 s3, s35, 0
	s_add_u32 s2, s2, 0xc4
	s_addc_u32 s3, s3, 0
	s_mul_i32 s6, s36, 12
	s_add_u32 s6, s34, s6
	s_addc_u32 s7, s35, 0
.LBB64_1097:                            ; =>This Inner Loop Header: Depth=1
	s_load_dwordx2 s[10:11], s[6:7], 0x4
	s_load_dword s9, s[6:7], 0xc
	s_load_dwordx2 s[12:13], s[2:3], 0x0
	s_add_u32 s6, s6, 12
	s_addc_u32 s7, s7, 0
	s_waitcnt lgkmcnt(0)
	v_mul_hi_u32 v1, s11, v0
	s_add_u32 s2, s2, 8
	s_addc_u32 s3, s3, 0
	s_add_i32 s8, s8, -1
	v_add_u32_e32 v1, v0, v1
	v_lshrrev_b32_e32 v1, s9, v1
	v_mul_lo_u32 v2, v1, s10
	s_cmp_lg_u32 s8, 0
	v_sub_u32_e32 v0, v0, v2
	v_mad_u64_u32 v[6:7], s[10:11], v0, s12, v[6:7]
	v_mad_u64_u32 v[13:14], s[10:11], v0, s13, v[13:14]
	v_mov_b32_e32 v0, v1
	s_cbranch_scc1 .LBB64_1097
.LBB64_1098:
	s_cbranch_execnz .LBB64_1101
.LBB64_1099:
	s_load_dwordx4 s[8:11], s[34:35], 0x4
	s_load_dwordx2 s[2:3], s[34:35], 0xc4
	s_cmp_lt_u32 s33, 2
	s_waitcnt lgkmcnt(0)
	v_mul_hi_u32 v0, s9, v8
	v_add_u32_e32 v0, v8, v0
	v_lshrrev_b32_e32 v0, s10, v0
	v_mul_lo_u32 v1, v0, s8
	v_sub_u32_e32 v1, v8, v1
	v_mul_lo_u32 v6, v1, s2
	v_mul_lo_u32 v13, v1, s3
	s_cbranch_scc1 .LBB64_1101
; %bb.1100:
	s_load_dwordx4 s[8:11], s[34:35], 0x10
	s_load_dwordx2 s[2:3], s[34:35], 0xcc
	s_waitcnt lgkmcnt(0)
	v_mul_hi_u32 v1, s9, v0
	v_add_u32_e32 v1, v0, v1
	v_lshrrev_b32_e32 v1, s10, v1
	v_mul_lo_u32 v1, v1, s8
	v_sub_u32_e32 v0, v0, v1
	v_mad_u64_u32 v[6:7], s[6:7], v0, s2, v[6:7]
	v_mad_u64_u32 v[13:14], s[2:3], v0, s3, v[13:14]
.LBB64_1101:
	s_and_b64 vcc, exec, s[0:1]
	v_add_u32_e32 v0, 0x80, v8
	s_cbranch_vccnz .LBB64_1107
; %bb.1102:
	s_cmp_lg_u32 s33, 0
	s_mov_b32 s36, 0
	s_cbranch_scc0 .LBB64_1108
; %bb.1103:
	s_min_u32 s37, s72, 15
	s_add_i32 s37, s37, 1
	s_cmp_eq_u32 s72, 2
	s_cbranch_scc1 .LBB64_1109
; %bb.1104:
	s_and_b32 s36, s37, 28
	s_add_u32 s2, s34, 0xc4
	s_addc_u32 s3, s35, 0
	v_mov_b32_e32 v11, 0
	s_mov_b32 s38, 0
	s_mov_b64 s[6:7], s[34:35]
	s_waitcnt vmcnt(0)
	v_mov_b32_e32 v4, 0
	v_mov_b32_e32 v1, v0
.LBB64_1105:                            ; =>This Inner Loop Header: Depth=1
	s_load_dwordx8 s[16:23], s[6:7], 0x4
	s_load_dwordx4 s[24:27], s[6:7], 0x24
	s_load_dwordx8 s[8:15], s[2:3], 0x0
	s_add_u32 s6, s6, 48
	s_addc_u32 s7, s7, 0
	s_waitcnt lgkmcnt(0)
	v_mul_hi_u32 v2, s17, v1
	s_add_i32 s38, s38, 4
	s_add_u32 s2, s2, 32
	s_addc_u32 s3, s3, 0
	v_add_u32_e32 v2, v1, v2
	v_lshrrev_b32_e32 v2, s18, v2
	v_mul_lo_u32 v3, v2, s16
	v_mul_hi_u32 v5, s20, v2
	s_cmp_lg_u32 s36, s38
	v_sub_u32_e32 v1, v1, v3
	v_add_u32_e32 v3, v2, v5
	v_mul_lo_u32 v5, v1, s8
	v_mul_lo_u32 v7, v1, s9
	v_lshrrev_b32_e32 v1, s21, v3
	v_mul_lo_u32 v3, v1, s19
	v_mul_hi_u32 v9, s23, v1
	v_sub_u32_e32 v2, v2, v3
	v_add_u32_e32 v3, v1, v9
	v_lshrrev_b32_e32 v3, s24, v3
	v_mul_hi_u32 v10, s26, v3
	v_mul_lo_u32 v12, v3, s22
	v_mul_lo_u32 v9, v2, s10
	;; [unrolled: 1-line block ×3, first 2 shown]
	v_sub_u32_e32 v12, v1, v12
	v_add_u32_e32 v1, v3, v10
	v_lshrrev_b32_e32 v1, s27, v1
	v_mul_lo_u32 v10, v1, s25
	v_mul_lo_u32 v14, v12, s12
	;; [unrolled: 1-line block ×3, first 2 shown]
	v_add3_u32 v4, v5, v4, v9
	v_sub_u32_e32 v3, v3, v10
	v_mul_lo_u32 v10, v3, s14
	v_mul_lo_u32 v3, v3, s15
	v_add3_u32 v2, v7, v11, v2
	v_add3_u32 v4, v14, v4, v10
	;; [unrolled: 1-line block ×3, first 2 shown]
	s_cbranch_scc1 .LBB64_1105
; %bb.1106:
	s_and_b32 s8, s37, 3
	s_cmp_eq_u32 s8, 0
	s_cbranch_scc0 .LBB64_1110
	s_branch .LBB64_1112
.LBB64_1107:
                                        ; implicit-def: $vgpr4
                                        ; implicit-def: $vgpr11
	s_branch .LBB64_1113
.LBB64_1108:
	s_waitcnt vmcnt(0)
	v_mov_b32_e32 v4, 0
	v_mov_b32_e32 v11, 0
	s_branch .LBB64_1112
.LBB64_1109:
	s_waitcnt vmcnt(0)
	v_mov_b32_e32 v4, 0
	v_mov_b32_e32 v11, 0
	;; [unrolled: 1-line block ×3, first 2 shown]
	s_and_b32 s8, s37, 3
	s_cmp_eq_u32 s8, 0
	s_cbranch_scc1 .LBB64_1112
.LBB64_1110:
	s_lshl_b32 s2, s36, 3
	s_add_u32 s2, s34, s2
	s_addc_u32 s3, s35, 0
	s_add_u32 s2, s2, 0xc4
	s_addc_u32 s3, s3, 0
	s_mul_i32 s6, s36, 12
	s_add_u32 s6, s34, s6
	s_addc_u32 s7, s35, 0
.LBB64_1111:                            ; =>This Inner Loop Header: Depth=1
	s_load_dwordx2 s[10:11], s[6:7], 0x4
	s_load_dword s9, s[6:7], 0xc
	s_load_dwordx2 s[12:13], s[2:3], 0x0
	s_add_u32 s6, s6, 12
	s_addc_u32 s7, s7, 0
	s_waitcnt lgkmcnt(0)
	v_mul_hi_u32 v2, s11, v1
	s_add_u32 s2, s2, 8
	s_addc_u32 s3, s3, 0
	s_add_i32 s8, s8, -1
	v_add_u32_e32 v2, v1, v2
	v_lshrrev_b32_e32 v2, s9, v2
	v_mul_lo_u32 v3, v2, s10
	s_cmp_lg_u32 s8, 0
	v_sub_u32_e32 v1, v1, v3
	v_mad_u64_u32 v[4:5], s[10:11], v1, s12, v[4:5]
	v_mad_u64_u32 v[11:12], s[10:11], v1, s13, v[11:12]
	v_mov_b32_e32 v1, v2
	s_cbranch_scc1 .LBB64_1111
.LBB64_1112:
	s_cbranch_execnz .LBB64_1115
.LBB64_1113:
	s_load_dwordx4 s[8:11], s[34:35], 0x4
	s_load_dwordx2 s[2:3], s[34:35], 0xc4
	s_cmp_lt_u32 s33, 2
	s_waitcnt lgkmcnt(0)
	v_mul_hi_u32 v1, s9, v0
	v_add_u32_e32 v1, v0, v1
	v_lshrrev_b32_e32 v1, s10, v1
	v_mul_lo_u32 v2, v1, s8
	v_sub_u32_e32 v0, v0, v2
	s_waitcnt vmcnt(0)
	v_mul_lo_u32 v4, v0, s2
	v_mul_lo_u32 v11, v0, s3
	s_cbranch_scc1 .LBB64_1115
; %bb.1114:
	s_load_dwordx4 s[8:11], s[34:35], 0x10
	s_load_dwordx2 s[2:3], s[34:35], 0xcc
	s_waitcnt lgkmcnt(0)
	v_mul_hi_u32 v0, s9, v1
	v_add_u32_e32 v0, v1, v0
	v_lshrrev_b32_e32 v0, s10, v0
	v_mul_lo_u32 v0, v0, s8
	v_sub_u32_e32 v0, v1, v0
	v_mad_u64_u32 v[4:5], s[6:7], v0, s2, v[4:5]
	v_mad_u64_u32 v[11:12], s[2:3], v0, s3, v[11:12]
.LBB64_1115:
	s_and_b64 vcc, exec, s[0:1]
	v_add_u32_e32 v0, 0x100, v8
	s_cbranch_vccnz .LBB64_1121
; %bb.1116:
	s_cmp_lg_u32 s33, 0
	s_mov_b32 s36, 0
	s_cbranch_scc0 .LBB64_1122
; %bb.1117:
	s_min_u32 s37, s72, 15
	s_add_i32 s37, s37, 1
	s_cmp_eq_u32 s72, 2
	s_cbranch_scc1 .LBB64_1123
; %bb.1118:
	s_and_b32 s36, s37, 28
	s_add_u32 s2, s34, 0xc4
	s_addc_u32 s3, s35, 0
	v_mov_b32_e32 v9, 0
	s_mov_b32 s38, 0
	s_mov_b64 s[6:7], s[34:35]
	v_mov_b32_e32 v2, 0
	v_mov_b32_e32 v1, v0
.LBB64_1119:                            ; =>This Inner Loop Header: Depth=1
	s_load_dwordx8 s[16:23], s[6:7], 0x4
	s_load_dwordx4 s[24:27], s[6:7], 0x24
	s_load_dwordx8 s[8:15], s[2:3], 0x0
	s_add_u32 s6, s6, 48
	s_addc_u32 s7, s7, 0
	s_waitcnt vmcnt(0) lgkmcnt(0)
	v_mul_hi_u32 v3, s17, v1
	s_add_i32 s38, s38, 4
	s_add_u32 s2, s2, 32
	s_addc_u32 s3, s3, 0
	v_add_u32_e32 v3, v1, v3
	v_lshrrev_b32_e32 v3, s18, v3
	v_mul_lo_u32 v5, v3, s16
	v_mul_hi_u32 v7, s20, v3
	s_cmp_lg_u32 s36, s38
	v_sub_u32_e32 v1, v1, v5
	v_add_u32_e32 v5, v3, v7
	v_mul_lo_u32 v7, v1, s8
	v_mul_lo_u32 v8, v1, s9
	v_lshrrev_b32_e32 v1, s21, v5
	v_mul_lo_u32 v5, v1, s19
	v_mul_hi_u32 v10, s23, v1
	v_sub_u32_e32 v3, v3, v5
	v_add_u32_e32 v5, v1, v10
	v_lshrrev_b32_e32 v5, s24, v5
	v_mul_hi_u32 v12, s26, v5
	v_mul_lo_u32 v14, v5, s22
	v_mul_lo_u32 v10, v3, s10
	;; [unrolled: 1-line block ×3, first 2 shown]
	v_sub_u32_e32 v14, v1, v14
	v_add_u32_e32 v1, v5, v12
	v_lshrrev_b32_e32 v1, s27, v1
	v_mul_lo_u32 v12, v1, s25
	v_mul_lo_u32 v16, v14, s12
	;; [unrolled: 1-line block ×3, first 2 shown]
	v_add3_u32 v2, v7, v2, v10
	v_sub_u32_e32 v5, v5, v12
	v_mul_lo_u32 v12, v5, s14
	v_mul_lo_u32 v5, v5, s15
	v_add3_u32 v3, v8, v9, v3
	v_add3_u32 v2, v16, v2, v12
	;; [unrolled: 1-line block ×3, first 2 shown]
	s_cbranch_scc1 .LBB64_1119
; %bb.1120:
	s_and_b32 s8, s37, 3
	s_cmp_eq_u32 s8, 0
	s_cbranch_scc0 .LBB64_1124
	s_branch .LBB64_1126
.LBB64_1121:
                                        ; implicit-def: $vgpr2
                                        ; implicit-def: $vgpr9
	s_branch .LBB64_1127
.LBB64_1122:
	v_mov_b32_e32 v2, 0
	v_mov_b32_e32 v9, 0
	s_branch .LBB64_1126
.LBB64_1123:
	v_mov_b32_e32 v2, 0
	v_mov_b32_e32 v9, 0
	;; [unrolled: 1-line block ×3, first 2 shown]
	s_and_b32 s8, s37, 3
	s_cmp_eq_u32 s8, 0
	s_cbranch_scc1 .LBB64_1126
.LBB64_1124:
	s_lshl_b32 s2, s36, 3
	s_add_u32 s2, s34, s2
	s_addc_u32 s3, s35, 0
	s_add_u32 s2, s2, 0xc4
	s_addc_u32 s3, s3, 0
	s_mul_i32 s6, s36, 12
	s_add_u32 s6, s34, s6
	s_addc_u32 s7, s35, 0
.LBB64_1125:                            ; =>This Inner Loop Header: Depth=1
	s_load_dwordx2 s[10:11], s[6:7], 0x4
	s_load_dword s9, s[6:7], 0xc
	s_load_dwordx2 s[12:13], s[2:3], 0x0
	s_add_u32 s6, s6, 12
	s_addc_u32 s7, s7, 0
	s_waitcnt vmcnt(0) lgkmcnt(0)
	v_mul_hi_u32 v3, s11, v1
	s_add_u32 s2, s2, 8
	s_addc_u32 s3, s3, 0
	s_add_i32 s8, s8, -1
	v_add_u32_e32 v3, v1, v3
	v_lshrrev_b32_e32 v5, s9, v3
	v_mul_lo_u32 v3, v5, s10
	s_cmp_lg_u32 s8, 0
	v_sub_u32_e32 v1, v1, v3
	v_mad_u64_u32 v[2:3], s[10:11], v1, s12, v[2:3]
	v_mad_u64_u32 v[9:10], s[10:11], v1, s13, v[9:10]
	v_mov_b32_e32 v1, v5
	s_cbranch_scc1 .LBB64_1125
.LBB64_1126:
	s_cbranch_execnz .LBB64_1129
.LBB64_1127:
	s_load_dwordx4 s[8:11], s[34:35], 0x4
	s_load_dwordx2 s[2:3], s[34:35], 0xc4
	s_cmp_lt_u32 s33, 2
	s_waitcnt lgkmcnt(0)
	v_mul_hi_u32 v1, s9, v0
	v_add_u32_e32 v1, v0, v1
	v_lshrrev_b32_e32 v1, s10, v1
	v_mul_lo_u32 v2, v1, s8
	v_sub_u32_e32 v0, v0, v2
	v_mul_lo_u32 v2, v0, s2
	v_mul_lo_u32 v9, v0, s3
	s_cbranch_scc1 .LBB64_1129
; %bb.1128:
	s_load_dwordx4 s[8:11], s[34:35], 0x10
	s_load_dwordx2 s[2:3], s[34:35], 0xcc
	s_waitcnt lgkmcnt(0)
	v_mul_hi_u32 v0, s9, v1
	v_add_u32_e32 v0, v1, v0
	v_lshrrev_b32_e32 v0, s10, v0
	v_mul_lo_u32 v0, v0, s8
	v_sub_u32_e32 v0, v1, v0
	s_waitcnt vmcnt(0)
	v_mad_u64_u32 v[2:3], s[6:7], v0, s2, v[2:3]
	v_mad_u64_u32 v[9:10], s[2:3], v0, s3, v[9:10]
.LBB64_1129:
	s_and_b64 vcc, exec, s[0:1]
	s_cbranch_vccnz .LBB64_1135
; %bb.1130:
	s_cmp_lg_u32 s33, 0
	s_mov_b32 s26, 0
	s_cbranch_scc0 .LBB64_1136
; %bb.1131:
	s_min_u32 s27, s72, 15
	s_add_i32 s27, s27, 1
	s_cmp_eq_u32 s72, 2
	s_cbranch_scc1 .LBB64_1137
; %bb.1132:
	s_and_b32 s26, s27, 28
	s_add_u32 s6, s34, 0xc4
	s_addc_u32 s7, s35, 0
	v_mov_b32_e32 v7, 0
	s_mov_b32 s36, 0
	s_mov_b64 s[24:25], s[34:35]
	v_mov_b32_e32 v0, 0
	v_mov_b32_e32 v1, v15
.LBB64_1133:                            ; =>This Inner Loop Header: Depth=1
	s_load_dwordx8 s[16:23], s[24:25], 0x4
	s_load_dwordx4 s[0:3], s[24:25], 0x24
	s_load_dwordx8 s[8:15], s[6:7], 0x0
	s_add_u32 s24, s24, 48
	s_addc_u32 s25, s25, 0
	s_waitcnt vmcnt(0) lgkmcnt(0)
	v_mul_hi_u32 v3, s17, v1
	s_add_i32 s36, s36, 4
	s_add_u32 s6, s6, 32
	s_addc_u32 s7, s7, 0
	v_add_u32_e32 v3, v1, v3
	v_lshrrev_b32_e32 v3, s18, v3
	v_mul_lo_u32 v5, v3, s16
	v_mul_hi_u32 v8, s20, v3
	s_cmp_lg_u32 s26, s36
	v_sub_u32_e32 v1, v1, v5
	v_add_u32_e32 v5, v3, v8
	v_mul_lo_u32 v8, v1, s8
	v_mul_lo_u32 v10, v1, s9
	v_lshrrev_b32_e32 v1, s21, v5
	v_mul_lo_u32 v5, v1, s19
	v_mul_hi_u32 v12, s23, v1
	v_sub_u32_e32 v3, v3, v5
	v_add_u32_e32 v5, v1, v12
	v_lshrrev_b32_e32 v5, s0, v5
	v_mul_hi_u32 v14, s2, v5
	v_mul_lo_u32 v16, v5, s22
	v_mul_lo_u32 v12, v3, s10
	;; [unrolled: 1-line block ×3, first 2 shown]
	v_sub_u32_e32 v16, v1, v16
	v_add_u32_e32 v1, v5, v14
	v_lshrrev_b32_e32 v1, s3, v1
	v_mul_lo_u32 v14, v1, s1
	v_mul_lo_u32 v17, v16, s12
	;; [unrolled: 1-line block ×3, first 2 shown]
	v_add3_u32 v0, v8, v0, v12
	v_sub_u32_e32 v5, v5, v14
	v_mul_lo_u32 v14, v5, s14
	v_mul_lo_u32 v5, v5, s15
	v_add3_u32 v3, v10, v7, v3
	v_add3_u32 v0, v17, v0, v14
	;; [unrolled: 1-line block ×3, first 2 shown]
	s_cbranch_scc1 .LBB64_1133
; %bb.1134:
	s_and_b32 s6, s27, 3
	s_cmp_eq_u32 s6, 0
	s_cbranch_scc0 .LBB64_1138
	s_branch .LBB64_1140
.LBB64_1135:
                                        ; implicit-def: $vgpr0
                                        ; implicit-def: $vgpr7
	s_branch .LBB64_1141
.LBB64_1136:
	v_mov_b32_e32 v0, 0
	v_mov_b32_e32 v7, 0
	s_branch .LBB64_1140
.LBB64_1137:
	v_mov_b32_e32 v0, 0
	v_mov_b32_e32 v7, 0
	;; [unrolled: 1-line block ×3, first 2 shown]
	s_and_b32 s6, s27, 3
	s_cmp_eq_u32 s6, 0
	s_cbranch_scc1 .LBB64_1140
.LBB64_1138:
	s_lshl_b32 s0, s26, 3
	s_add_u32 s0, s34, s0
	s_addc_u32 s1, s35, 0
	s_add_u32 s0, s0, 0xc4
	s_addc_u32 s1, s1, 0
	s_mul_i32 s2, s26, 12
	s_add_u32 s2, s34, s2
	s_addc_u32 s3, s35, 0
.LBB64_1139:                            ; =>This Inner Loop Header: Depth=1
	s_load_dwordx2 s[8:9], s[2:3], 0x4
	s_load_dword s7, s[2:3], 0xc
	s_load_dwordx2 s[10:11], s[0:1], 0x0
	s_add_u32 s2, s2, 12
	s_addc_u32 s3, s3, 0
	s_waitcnt vmcnt(0) lgkmcnt(0)
	v_mul_hi_u32 v3, s9, v1
	s_add_u32 s0, s0, 8
	s_addc_u32 s1, s1, 0
	s_add_i32 s6, s6, -1
	v_add_u32_e32 v3, v1, v3
	v_lshrrev_b32_e32 v3, s7, v3
	v_mul_lo_u32 v5, v3, s8
	s_cmp_lg_u32 s6, 0
	v_sub_u32_e32 v5, v1, v5
	v_mad_u64_u32 v[0:1], s[8:9], v5, s10, v[0:1]
	v_mad_u64_u32 v[7:8], s[8:9], v5, s11, v[7:8]
	v_mov_b32_e32 v1, v3
	s_cbranch_scc1 .LBB64_1139
.LBB64_1140:
	s_cbranch_execnz .LBB64_1143
.LBB64_1141:
	s_load_dwordx4 s[0:3], s[34:35], 0x4
	s_load_dwordx2 s[6:7], s[34:35], 0xc4
	s_cmp_lt_u32 s33, 2
	s_waitcnt lgkmcnt(0)
	v_mul_hi_u32 v0, s1, v15
	v_add_u32_e32 v0, v15, v0
	v_lshrrev_b32_e32 v1, s2, v0
	v_mul_lo_u32 v0, v1, s0
	s_waitcnt vmcnt(0)
	v_sub_u32_e32 v3, v15, v0
	v_mul_lo_u32 v0, v3, s6
	v_mul_lo_u32 v7, v3, s7
	s_cbranch_scc1 .LBB64_1143
; %bb.1142:
	s_load_dwordx4 s[0:3], s[34:35], 0x10
	s_load_dwordx2 s[6:7], s[34:35], 0xcc
	s_waitcnt lgkmcnt(0)
	v_mul_hi_u32 v3, s1, v1
	v_add_u32_e32 v3, v1, v3
	v_lshrrev_b32_e32 v3, s2, v3
	v_mul_lo_u32 v3, v3, s0
	v_sub_u32_e32 v3, v1, v3
	v_mad_u64_u32 v[0:1], s[0:1], v3, s6, v[0:1]
	v_mad_u64_u32 v[7:8], s[0:1], v3, s7, v[7:8]
.LBB64_1143:
	s_load_dwordx4 s[8:11], s[34:35], 0x148
	s_load_dword s16, s[4:5], 0x160
	s_waitcnt lgkmcnt(0)
	v_mov_b32_e32 v1, s11
	s_bfe_u32 s14, s16, 0x80010
	v_add_co_u32_e32 v12, vcc, s10, v13
	s_cmp_lt_i32 s14, 11
	v_addc_co_u32_e32 v13, vcc, 0, v1, vcc
	s_cbranch_scc1 .LBB64_1150
; %bb.1144:
	s_and_b32 s15, 0xffff, s14
	s_cmp_gt_i32 s15, 25
	s_mov_b64 s[4:5], 0
	s_cbranch_scc0 .LBB64_1152
; %bb.1145:
	s_cmp_gt_i32 s15, 28
	s_cbranch_scc0 .LBB64_1153
; %bb.1146:
	s_cmp_gt_i32 s15, 43
	;; [unrolled: 3-line block ×3, first 2 shown]
	s_cbranch_scc0 .LBB64_1155
; %bb.1148:
	s_cmp_eq_u32 s15, 46
	s_mov_b64 s[2:3], 0
	s_cbranch_scc0 .LBB64_1158
; %bb.1149:
	global_load_dword v1, v[12:13], off
	s_mov_b64 s[0:1], 0
	s_mov_b64 s[6:7], -1
	s_branch .LBB64_1159
.LBB64_1150:
	s_mov_b64 s[6:7], 0
                                        ; implicit-def: $vgpr1
	s_mov_b64 s[2:3], s[28:29]
	s_cbranch_execnz .LBB64_1221
.LBB64_1151:
	s_andn2_b64 vcc, exec, s[6:7]
	s_cbranch_vccz .LBB64_1266
	s_branch .LBB64_2087
.LBB64_1152:
	s_mov_b64 s[6:7], 0
	s_mov_b64 s[0:1], 0
                                        ; implicit-def: $vgpr1
	s_cbranch_execnz .LBB64_1186
	s_branch .LBB64_1217
.LBB64_1153:
	s_mov_b64 s[6:7], 0
	s_mov_b64 s[0:1], 0
                                        ; implicit-def: $vgpr1
	s_cbranch_execz .LBB64_1185
	s_branch .LBB64_1168
.LBB64_1154:
	s_mov_b64 s[6:7], 0
	s_mov_b64 s[0:1], 0
                                        ; implicit-def: $vgpr1
	s_cbranch_execnz .LBB64_1164
	s_branch .LBB64_1167
.LBB64_1155:
	s_mov_b64 s[2:3], -1
	s_mov_b64 s[6:7], 0
	s_mov_b64 s[0:1], 0
                                        ; implicit-def: $vgpr1
	s_branch .LBB64_1159
.LBB64_1156:
	s_andn2_saveexec_b64 s[14:15], s[14:15]
	s_cbranch_execz .LBB64_999
.LBB64_1157:
	s_mov_b32 s16, 0x46000000
	v_add_f32_e64 v4, |v5|, s16
	v_and_b32_e32 v4, 0xff, v4
	v_cmp_ne_u32_e32 vcc, 0, v4
	s_andn2_b64 s[12:13], s[12:13], exec
	s_and_b64 s[16:17], vcc, exec
	s_or_b64 s[12:13], s[12:13], s[16:17]
	s_or_b64 exec, exec, s[14:15]
	v_mov_b32_e32 v6, 0
	s_and_saveexec_b64 s[14:15], s[12:13]
	s_cbranch_execnz .LBB64_1000
	s_branch .LBB64_1001
.LBB64_1158:
	s_mov_b64 s[0:1], -1
                                        ; implicit-def: $vgpr1
	s_mov_b64 s[6:7], 0
.LBB64_1159:
	s_and_b64 vcc, exec, s[2:3]
	s_cbranch_vccz .LBB64_1162
; %bb.1160:
	s_cmp_eq_u32 s15, 44
	s_cbranch_scc0 .LBB64_1163
; %bb.1161:
	global_load_ubyte v1, v[12:13], off
	s_movk_i32 s2, 0xff
	s_waitcnt vmcnt(1)
	v_mov_b32_e32 v3, 0x7f800001
	v_mov_b32_e32 v5, 0x400000
	;; [unrolled: 1-line block ×3, first 2 shown]
	s_mov_b64 s[0:1], 0
	s_mov_b64 s[6:7], -1
	s_waitcnt vmcnt(0)
	v_lshlrev_b32_e32 v10, 23, v1
	v_cmp_ne_u32_e32 vcc, s2, v1
	v_cndmask_b32_e32 v3, v3, v10, vcc
	v_cmp_ne_u32_e32 vcc, 0, v1
	v_cndmask_b32_e32 v1, v5, v3, vcc
	v_add_u32_e32 v3, 0x7fff, v1
	v_cmp_o_f32_e32 vcc, v1, v1
	v_cndmask_b32_sdwa v1, v8, v3, vcc dst_sel:DWORD dst_unused:UNUSED_PAD src0_sel:DWORD src1_sel:WORD_1
.LBB64_1162:
	s_branch .LBB64_1167
.LBB64_1163:
	s_mov_b64 s[0:1], -1
                                        ; implicit-def: $vgpr1
	s_branch .LBB64_1167
.LBB64_1164:
	s_cmp_eq_u32 s15, 29
	s_cbranch_scc0 .LBB64_1166
; %bb.1165:
	global_load_dwordx2 v[14:15], v[12:13], off
	s_movk_i32 s2, 0x7fff
	s_mov_b64 s[0:1], 0
	s_mov_b64 s[6:7], -1
	s_waitcnt vmcnt(0)
	v_ffbh_u32_e32 v1, v15
	v_min_u32_e32 v1, 32, v1
	v_lshlrev_b64 v[14:15], v1, v[14:15]
	v_sub_u32_e32 v1, 32, v1
	v_min_u32_e32 v3, 1, v14
	v_or_b32_e32 v3, v15, v3
	v_cvt_f32_u32_e32 v3, v3
	v_ldexp_f32 v1, v3, v1
	v_bfe_u32 v3, v1, 16, 1
	v_add3_u32 v1, v1, v3, s2
	v_lshrrev_b32_e32 v1, 16, v1
	s_branch .LBB64_1167
.LBB64_1166:
	s_mov_b64 s[0:1], -1
                                        ; implicit-def: $vgpr1
.LBB64_1167:
	s_branch .LBB64_1185
.LBB64_1168:
	s_cmp_lt_i32 s15, 27
	s_cbranch_scc1 .LBB64_1171
; %bb.1169:
	s_cmp_gt_i32 s15, 27
	s_cbranch_scc0 .LBB64_1172
; %bb.1170:
	global_load_dword v1, v[12:13], off
	s_movk_i32 s2, 0x7fff
	s_waitcnt vmcnt(0)
	v_cvt_f32_u32_e32 v1, v1
	v_bfe_u32 v3, v1, 16, 1
	v_add3_u32 v1, v1, v3, s2
	v_lshrrev_b32_e32 v1, 16, v1
	s_mov_b64 s[2:3], 0
	s_branch .LBB64_1173
.LBB64_1171:
	s_mov_b64 s[2:3], -1
                                        ; implicit-def: $vgpr1
	s_branch .LBB64_1176
.LBB64_1172:
	s_mov_b64 s[2:3], -1
                                        ; implicit-def: $vgpr1
.LBB64_1173:
	s_andn2_b64 vcc, exec, s[2:3]
	s_cbranch_vccnz .LBB64_1175
; %bb.1174:
	global_load_ushort v1, v[12:13], off
	s_movk_i32 s2, 0x7fff
	s_waitcnt vmcnt(0)
	v_cvt_f32_u32_e32 v1, v1
	v_bfe_u32 v3, v1, 16, 1
	v_add3_u32 v1, v1, v3, s2
	v_lshrrev_b32_e32 v1, 16, v1
.LBB64_1175:
	s_mov_b64 s[2:3], 0
.LBB64_1176:
	s_andn2_b64 vcc, exec, s[2:3]
	s_cbranch_vccnz .LBB64_1184
; %bb.1177:
	global_load_ubyte v1, v[12:13], off
	s_movk_i32 s2, 0x7f
	s_waitcnt vmcnt(0)
	v_cmp_lt_i16_e32 vcc, s2, v1
	s_mov_b64 s[2:3], 0
	s_and_saveexec_b64 s[6:7], vcc
	s_xor_b64 s[6:7], exec, s[6:7]
	s_cbranch_execz .LBB64_1197
; %bb.1178:
	s_movk_i32 s2, 0x80
	v_cmp_eq_u16_e32 vcc, s2, v1
	s_mov_b64 s[2:3], -1
	s_and_saveexec_b64 s[12:13], vcc
; %bb.1179:
	s_xor_b64 s[2:3], exec, -1
; %bb.1180:
	s_or_b64 exec, exec, s[12:13]
	s_and_b64 s[2:3], s[2:3], exec
	s_or_saveexec_b64 s[6:7], s[6:7]
	v_mov_b32_e32 v3, 0x7f800001
	s_xor_b64 exec, exec, s[6:7]
	s_cbranch_execnz .LBB64_1198
.LBB64_1181:
	s_or_b64 exec, exec, s[6:7]
	s_and_saveexec_b64 s[6:7], s[2:3]
	s_cbranch_execz .LBB64_1183
.LBB64_1182:
	v_lshlrev_b32_e32 v3, 24, v1
	v_and_b32_e32 v1, 0xffff, v1
	v_and_b32_e32 v5, 7, v1
	v_ffbh_u32_e32 v10, v5
	v_min_u32_e32 v10, 32, v10
	v_subrev_u32_e32 v14, 28, v10
	v_bfe_u32 v8, v1, 3, 4
	v_lshlrev_b32_e32 v1, v14, v1
	v_sub_u32_e32 v10, 29, v10
	v_and_b32_e32 v1, 7, v1
	v_cmp_eq_u32_e32 vcc, 0, v8
	v_cndmask_b32_e32 v8, v8, v10, vcc
	v_cndmask_b32_e32 v1, v5, v1, vcc
	v_mov_b32_e32 v5, 0x3b800000
	v_lshlrev_b32_e32 v1, 20, v1
	v_and_b32_e32 v3, 0x80000000, v3
	v_lshl_add_u32 v5, v8, 23, v5
	v_or3_b32 v3, v3, v5, v1
.LBB64_1183:
	s_or_b64 exec, exec, s[6:7]
	v_bfe_u32 v1, v3, 16, 1
	s_movk_i32 s2, 0x7fff
	v_add3_u32 v1, v3, v1, s2
	v_cmp_o_f32_e32 vcc, v3, v3
	v_mov_b32_e32 v3, 0x7fc0
	v_cndmask_b32_sdwa v1, v3, v1, vcc dst_sel:DWORD dst_unused:UNUSED_PAD src0_sel:DWORD src1_sel:WORD_1
.LBB64_1184:
	s_mov_b64 s[6:7], -1
.LBB64_1185:
	s_branch .LBB64_1217
.LBB64_1186:
	s_cmp_gt_i32 s15, 22
	s_cbranch_scc0 .LBB64_1196
; %bb.1187:
	s_cmp_lt_i32 s15, 24
	s_cbranch_scc1 .LBB64_1199
; %bb.1188:
	s_cmp_gt_i32 s15, 24
	s_cbranch_scc0 .LBB64_1200
; %bb.1189:
	global_load_ubyte v1, v[12:13], off
	s_movk_i32 s2, 0x7f
	s_waitcnt vmcnt(0)
	v_cmp_lt_i16_e32 vcc, s2, v1
	s_mov_b64 s[2:3], 0
	s_and_saveexec_b64 s[4:5], vcc
	s_xor_b64 s[4:5], exec, s[4:5]
	s_cbranch_execz .LBB64_1211
; %bb.1190:
	s_movk_i32 s2, 0x80
	v_cmp_eq_u16_e32 vcc, s2, v1
	s_mov_b64 s[2:3], -1
	s_and_saveexec_b64 s[6:7], vcc
; %bb.1191:
	s_xor_b64 s[2:3], exec, -1
; %bb.1192:
	s_or_b64 exec, exec, s[6:7]
	s_and_b64 s[2:3], s[2:3], exec
	s_or_saveexec_b64 s[4:5], s[4:5]
	v_mov_b32_e32 v3, 0x7f800001
	s_xor_b64 exec, exec, s[4:5]
	s_cbranch_execnz .LBB64_1212
.LBB64_1193:
	s_or_b64 exec, exec, s[4:5]
	s_and_saveexec_b64 s[4:5], s[2:3]
	s_cbranch_execz .LBB64_1195
.LBB64_1194:
	v_lshlrev_b32_e32 v3, 24, v1
	v_and_b32_e32 v1, 0xffff, v1
	v_and_b32_e32 v5, 3, v1
	v_ffbh_u32_e32 v10, v5
	v_min_u32_e32 v10, 32, v10
	v_subrev_u32_e32 v14, 29, v10
	v_bfe_u32 v8, v1, 2, 5
	v_lshlrev_b32_e32 v1, v14, v1
	v_sub_u32_e32 v10, 30, v10
	v_and_b32_e32 v1, 3, v1
	v_cmp_eq_u32_e32 vcc, 0, v8
	v_cndmask_b32_e32 v8, v8, v10, vcc
	v_cndmask_b32_e32 v1, v5, v1, vcc
	v_mov_b32_e32 v5, 0x37800000
	v_lshlrev_b32_e32 v1, 21, v1
	v_and_b32_e32 v3, 0x80000000, v3
	v_lshl_add_u32 v5, v8, 23, v5
	v_or3_b32 v3, v3, v5, v1
.LBB64_1195:
	s_or_b64 exec, exec, s[4:5]
	v_bfe_u32 v1, v3, 16, 1
	s_movk_i32 s2, 0x7fff
	v_add3_u32 v1, v3, v1, s2
	v_cmp_o_f32_e32 vcc, v3, v3
	v_mov_b32_e32 v3, 0x7fc0
	v_cndmask_b32_sdwa v1, v3, v1, vcc dst_sel:DWORD dst_unused:UNUSED_PAD src0_sel:DWORD src1_sel:WORD_1
	s_mov_b64 s[2:3], 0
	s_branch .LBB64_1201
.LBB64_1196:
                                        ; implicit-def: $vgpr1
	s_mov_b64 s[4:5], 0
	s_branch .LBB64_1207
.LBB64_1197:
	s_or_saveexec_b64 s[6:7], s[6:7]
	v_mov_b32_e32 v3, 0x7f800001
	s_xor_b64 exec, exec, s[6:7]
	s_cbranch_execz .LBB64_1181
.LBB64_1198:
	v_cmp_ne_u16_e32 vcc, 0, v1
	s_andn2_b64 s[2:3], s[2:3], exec
	s_and_b64 s[12:13], vcc, exec
	v_mov_b32_e32 v3, 0
	s_or_b64 s[2:3], s[2:3], s[12:13]
	s_or_b64 exec, exec, s[6:7]
	s_and_saveexec_b64 s[6:7], s[2:3]
	s_cbranch_execnz .LBB64_1182
	s_branch .LBB64_1183
.LBB64_1199:
	s_mov_b64 s[2:3], -1
                                        ; implicit-def: $vgpr1
	s_branch .LBB64_1204
.LBB64_1200:
	s_mov_b64 s[2:3], -1
                                        ; implicit-def: $vgpr1
.LBB64_1201:
	s_and_b64 vcc, exec, s[2:3]
	s_cbranch_vccz .LBB64_1203
; %bb.1202:
	global_load_ubyte v1, v[12:13], off
	s_mov_b32 s2, 0x7f800000
	s_brev_b32 s3, 1
	s_movk_i32 s4, 0x7fff
	s_waitcnt vmcnt(0)
	v_lshlrev_b32_e32 v1, 24, v1
	v_and_b32_e32 v3, 0x7f000000, v1
	v_ffbh_u32_e32 v5, v3
	v_min_u32_e32 v5, 32, v5
	v_sub_u32_e64 v5, v5, 4 clamp
	v_lshlrev_b32_e32 v10, v5, v3
	v_lshlrev_b32_e32 v5, 23, v5
	v_lshrrev_b32_e32 v10, 4, v10
	v_add_u32_e32 v8, 0x1000000, v3
	v_sub_u32_e32 v5, v10, v5
	v_ashrrev_i32_e32 v8, 8, v8
	v_add_u32_e32 v5, 0x3c000000, v5
	v_and_or_b32 v5, v8, s2, v5
	v_cmp_ne_u32_e32 vcc, 0, v3
	v_cndmask_b32_e32 v3, 0, v5, vcc
	v_and_or_b32 v1, v1, s3, v3
	v_bfe_u32 v3, v3, 16, 1
	v_add3_u32 v3, v1, v3, s4
	v_cmp_o_f32_e32 vcc, v1, v1
	v_mov_b32_e32 v1, 0x7fc0
	v_cndmask_b32_sdwa v1, v1, v3, vcc dst_sel:DWORD dst_unused:UNUSED_PAD src0_sel:DWORD src1_sel:WORD_1
.LBB64_1203:
	s_mov_b64 s[2:3], 0
.LBB64_1204:
	s_andn2_b64 vcc, exec, s[2:3]
	s_cbranch_vccnz .LBB64_1206
; %bb.1205:
	global_load_ubyte v1, v[12:13], off
	s_movk_i32 s2, 0x7f00
	s_brev_b32 s3, 16
	s_brev_b32 s4, 1
	s_movk_i32 s5, 0x7fff
	s_waitcnt vmcnt(0)
	v_lshlrev_b16_e32 v3, 8, v1
	v_lshlrev_b32_e32 v1, 25, v1
	v_lshrrev_b32_e32 v5, 4, v1
	v_and_or_b32 v8, v3, s2, 0.5
	v_or_b32_e32 v5, 0x70000000, v5
	v_add_f32_e32 v8, -0.5, v8
	v_mul_f32_e32 v5, 0x7800000, v5
	v_cmp_gt_u32_e32 vcc, s3, v1
	v_bfe_i32 v3, v3, 0, 16
	v_cndmask_b32_e32 v1, v5, v8, vcc
	v_and_or_b32 v3, v3, s4, v1
	v_bfe_u32 v1, v1, 16, 1
	v_add3_u32 v1, v3, v1, s5
	v_cmp_o_f32_e32 vcc, v3, v3
	v_mov_b32_e32 v3, 0x7fc0
	v_cndmask_b32_sdwa v1, v3, v1, vcc dst_sel:DWORD dst_unused:UNUSED_PAD src0_sel:DWORD src1_sel:WORD_1
.LBB64_1206:
	s_mov_b64 s[6:7], -1
	s_mov_b64 s[4:5], 0
	s_cbranch_execnz .LBB64_1217
.LBB64_1207:
	s_cmp_gt_i32 s15, 14
	s_cbranch_scc0 .LBB64_1210
; %bb.1208:
	s_cmp_eq_u32 s15, 15
	s_cbranch_scc0 .LBB64_1213
; %bb.1209:
	global_load_ushort v1, v[12:13], off
	s_mov_b64 s[0:1], 0
	s_mov_b64 s[6:7], -1
	s_branch .LBB64_1214
.LBB64_1210:
	s_mov_b64 s[2:3], -1
                                        ; implicit-def: $vgpr1
	s_branch .LBB64_1215
.LBB64_1211:
	s_or_saveexec_b64 s[4:5], s[4:5]
	v_mov_b32_e32 v3, 0x7f800001
	s_xor_b64 exec, exec, s[4:5]
	s_cbranch_execz .LBB64_1193
.LBB64_1212:
	v_cmp_ne_u16_e32 vcc, 0, v1
	s_andn2_b64 s[2:3], s[2:3], exec
	s_and_b64 s[6:7], vcc, exec
	v_mov_b32_e32 v3, 0
	s_or_b64 s[2:3], s[2:3], s[6:7]
	s_or_b64 exec, exec, s[4:5]
	s_and_saveexec_b64 s[4:5], s[2:3]
	s_cbranch_execnz .LBB64_1194
	s_branch .LBB64_1195
.LBB64_1213:
	s_mov_b64 s[0:1], -1
                                        ; implicit-def: $vgpr1
.LBB64_1214:
	s_mov_b64 s[2:3], 0
.LBB64_1215:
	s_and_b64 vcc, exec, s[2:3]
	s_cbranch_vccz .LBB64_1217
; %bb.1216:
	s_cmp_lg_u32 s15, 11
	s_mov_b64 s[4:5], -1
	s_cselect_b64 s[0:1], -1, 0
.LBB64_1217:
	s_and_b64 vcc, exec, s[0:1]
	s_mov_b64 s[2:3], s[28:29]
	s_cbranch_vccnz .LBB64_1278
; %bb.1218:
	s_andn2_b64 vcc, exec, s[4:5]
	s_cbranch_vccnz .LBB64_1220
.LBB64_1219:
	global_load_ubyte v1, v[12:13], off
	s_mov_b64 s[6:7], -1
	s_waitcnt vmcnt(0)
	v_cmp_ne_u16_e32 vcc, 0, v1
	v_cndmask_b32_e64 v1, 0, 1.0, vcc
	v_lshrrev_b32_e32 v1, 16, v1
.LBB64_1220:
	s_branch .LBB64_1151
.LBB64_1221:
	s_and_b32 s4, 0xffff, s14
	s_cmp_lt_i32 s4, 5
	s_cbranch_scc1 .LBB64_1226
; %bb.1222:
	s_cmp_lt_i32 s4, 8
	s_cbranch_scc1 .LBB64_1227
; %bb.1223:
	;; [unrolled: 3-line block ×3, first 2 shown]
	s_cmp_gt_i32 s4, 9
	s_cbranch_scc0 .LBB64_1229
; %bb.1225:
	global_load_dwordx2 v[14:15], v[12:13], off
	s_movk_i32 s0, 0x7fff
	s_waitcnt vmcnt(1)
	v_mov_b32_e32 v3, 0x7fc0
	s_waitcnt vmcnt(0)
	v_cvt_f32_f64_e32 v1, v[14:15]
	v_bfe_u32 v5, v1, 16, 1
	v_cmp_o_f32_e32 vcc, v1, v1
	v_add3_u32 v1, v1, v5, s0
	v_cndmask_b32_sdwa v1, v3, v1, vcc dst_sel:DWORD dst_unused:UNUSED_PAD src0_sel:DWORD src1_sel:WORD_1
	s_mov_b64 s[0:1], 0
	s_branch .LBB64_1230
.LBB64_1226:
                                        ; implicit-def: $vgpr1
	s_branch .LBB64_1247
.LBB64_1227:
                                        ; implicit-def: $vgpr1
	s_branch .LBB64_1236
.LBB64_1228:
	s_mov_b64 s[0:1], -1
                                        ; implicit-def: $vgpr1
	s_branch .LBB64_1233
.LBB64_1229:
	s_mov_b64 s[0:1], -1
                                        ; implicit-def: $vgpr1
.LBB64_1230:
	s_andn2_b64 vcc, exec, s[0:1]
	s_cbranch_vccnz .LBB64_1232
; %bb.1231:
	global_load_dword v1, v[12:13], off
	s_movk_i32 s0, 0x7fff
	s_waitcnt vmcnt(1)
	v_mov_b32_e32 v3, 0x7fc0
	s_waitcnt vmcnt(0)
	v_bfe_u32 v5, v1, 16, 1
	v_cmp_o_f32_e32 vcc, v1, v1
	v_add3_u32 v1, v1, v5, s0
	v_cndmask_b32_sdwa v1, v3, v1, vcc dst_sel:DWORD dst_unused:UNUSED_PAD src0_sel:DWORD src1_sel:WORD_1
.LBB64_1232:
	s_mov_b64 s[0:1], 0
.LBB64_1233:
	s_andn2_b64 vcc, exec, s[0:1]
	s_cbranch_vccnz .LBB64_1235
; %bb.1234:
	global_load_dword v1, v[12:13], off
	s_movk_i32 s0, 0x7fff
	v_mov_b32_e32 v5, 0x7fc0
	s_waitcnt vmcnt(0)
	v_cvt_f32_f16_e32 v3, v1
	v_cmp_o_f16_e32 vcc, v1, v1
	v_bfe_u32 v1, v3, 16, 1
	v_add3_u32 v1, v3, v1, s0
	v_cndmask_b32_sdwa v1, v5, v1, vcc dst_sel:DWORD dst_unused:UNUSED_PAD src0_sel:DWORD src1_sel:WORD_1
.LBB64_1235:
	s_cbranch_execnz .LBB64_1246
.LBB64_1236:
	s_cmp_lt_i32 s4, 6
	s_cbranch_scc1 .LBB64_1239
; %bb.1237:
	s_cmp_gt_i32 s4, 6
	s_cbranch_scc0 .LBB64_1240
; %bb.1238:
	global_load_dwordx2 v[14:15], v[12:13], off
	s_movk_i32 s0, 0x7fff
	s_waitcnt vmcnt(1)
	v_mov_b32_e32 v3, 0x7fc0
	s_waitcnt vmcnt(0)
	v_cvt_f32_f64_e32 v1, v[14:15]
	v_bfe_u32 v5, v1, 16, 1
	v_cmp_o_f32_e32 vcc, v1, v1
	v_add3_u32 v1, v1, v5, s0
	v_cndmask_b32_sdwa v1, v3, v1, vcc dst_sel:DWORD dst_unused:UNUSED_PAD src0_sel:DWORD src1_sel:WORD_1
	s_mov_b64 s[0:1], 0
	s_branch .LBB64_1241
.LBB64_1239:
	s_mov_b64 s[0:1], -1
                                        ; implicit-def: $vgpr1
	s_branch .LBB64_1244
.LBB64_1240:
	s_mov_b64 s[0:1], -1
                                        ; implicit-def: $vgpr1
.LBB64_1241:
	s_andn2_b64 vcc, exec, s[0:1]
	s_cbranch_vccnz .LBB64_1243
; %bb.1242:
	global_load_dword v1, v[12:13], off
	s_movk_i32 s0, 0x7fff
	s_waitcnt vmcnt(1)
	v_mov_b32_e32 v3, 0x7fc0
	s_waitcnt vmcnt(0)
	v_bfe_u32 v5, v1, 16, 1
	v_cmp_o_f32_e32 vcc, v1, v1
	v_add3_u32 v1, v1, v5, s0
	v_cndmask_b32_sdwa v1, v3, v1, vcc dst_sel:DWORD dst_unused:UNUSED_PAD src0_sel:DWORD src1_sel:WORD_1
.LBB64_1243:
	s_mov_b64 s[0:1], 0
.LBB64_1244:
	s_andn2_b64 vcc, exec, s[0:1]
	s_cbranch_vccnz .LBB64_1246
; %bb.1245:
	global_load_ushort v1, v[12:13], off
	s_movk_i32 s0, 0x7fff
	v_mov_b32_e32 v5, 0x7fc0
	s_waitcnt vmcnt(0)
	v_cvt_f32_f16_e32 v3, v1
	v_cmp_o_f16_e32 vcc, v1, v1
	v_bfe_u32 v1, v3, 16, 1
	v_add3_u32 v1, v3, v1, s0
	v_cndmask_b32_sdwa v1, v5, v1, vcc dst_sel:DWORD dst_unused:UNUSED_PAD src0_sel:DWORD src1_sel:WORD_1
.LBB64_1246:
	s_cbranch_execnz .LBB64_1265
.LBB64_1247:
	s_cmp_lt_i32 s4, 2
	s_cbranch_scc1 .LBB64_1251
; %bb.1248:
	s_cmp_lt_i32 s4, 3
	s_cbranch_scc1 .LBB64_1252
; %bb.1249:
	s_cmp_gt_i32 s4, 3
	s_cbranch_scc0 .LBB64_1253
; %bb.1250:
	global_load_dwordx2 v[14:15], v[12:13], off
	s_movk_i32 s0, 0x7fff
	s_waitcnt vmcnt(0)
	v_xor_b32_e32 v3, v14, v15
	v_ffbh_i32_e32 v1, v15
	v_ashrrev_i32_e32 v3, 31, v3
	v_add_u32_e32 v1, -1, v1
	v_add_u32_e32 v3, 32, v3
	v_min_u32_e32 v1, v1, v3
	v_lshlrev_b64 v[14:15], v1, v[14:15]
	v_sub_u32_e32 v1, 32, v1
	v_min_u32_e32 v3, 1, v14
	v_or_b32_e32 v3, v15, v3
	v_cvt_f32_i32_e32 v3, v3
	v_ldexp_f32 v1, v3, v1
	v_bfe_u32 v3, v1, 16, 1
	v_add3_u32 v1, v1, v3, s0
	v_lshrrev_b32_e32 v1, 16, v1
	s_mov_b64 s[0:1], 0
	s_branch .LBB64_1254
.LBB64_1251:
                                        ; implicit-def: $vgpr1
	s_branch .LBB64_1260
.LBB64_1252:
	s_mov_b64 s[0:1], -1
                                        ; implicit-def: $vgpr1
	s_branch .LBB64_1257
.LBB64_1253:
	s_mov_b64 s[0:1], -1
                                        ; implicit-def: $vgpr1
.LBB64_1254:
	s_andn2_b64 vcc, exec, s[0:1]
	s_cbranch_vccnz .LBB64_1256
; %bb.1255:
	global_load_dword v1, v[12:13], off
	s_movk_i32 s0, 0x7fff
	s_waitcnt vmcnt(0)
	v_cvt_f32_i32_e32 v1, v1
	v_bfe_u32 v3, v1, 16, 1
	v_add3_u32 v1, v1, v3, s0
	v_lshrrev_b32_e32 v1, 16, v1
.LBB64_1256:
	s_mov_b64 s[0:1], 0
.LBB64_1257:
	s_andn2_b64 vcc, exec, s[0:1]
	s_cbranch_vccnz .LBB64_1259
; %bb.1258:
	global_load_sshort v1, v[12:13], off
	s_movk_i32 s0, 0x7fff
	s_waitcnt vmcnt(0)
	v_cvt_f32_i32_e32 v1, v1
	v_bfe_u32 v3, v1, 16, 1
	v_add3_u32 v1, v1, v3, s0
	v_lshrrev_b32_e32 v1, 16, v1
.LBB64_1259:
	s_cbranch_execnz .LBB64_1265
.LBB64_1260:
	s_cmp_gt_i32 s4, 0
	s_cbranch_scc0 .LBB64_1262
; %bb.1261:
	global_load_sbyte v1, v[12:13], off
	s_movk_i32 s0, 0x7fff
	s_waitcnt vmcnt(0)
	v_cvt_f32_i32_e32 v1, v1
	v_bfe_u32 v3, v1, 16, 1
	v_add3_u32 v1, v1, v3, s0
	v_lshrrev_b32_e32 v1, 16, v1
	s_mov_b64 s[0:1], 0
	s_branch .LBB64_1263
.LBB64_1262:
	s_mov_b64 s[0:1], -1
                                        ; implicit-def: $vgpr1
.LBB64_1263:
	s_andn2_b64 vcc, exec, s[0:1]
	s_cbranch_vccnz .LBB64_1265
; %bb.1264:
	global_load_ubyte v1, v[12:13], off
	s_movk_i32 s0, 0x7fff
	s_waitcnt vmcnt(0)
	v_cvt_f32_ubyte0_e32 v1, v1
	v_bfe_u32 v3, v1, 16, 1
	v_add3_u32 v1, v1, v3, s0
	v_lshrrev_b32_e32 v1, 16, v1
.LBB64_1265:
.LBB64_1266:
	s_lshr_b32 s0, s16, 16
	s_waitcnt vmcnt(0)
	v_mov_b32_e32 v3, s11
	s_and_b32 s17, s0, 0xff
	v_add_co_u32_e32 v10, vcc, s10, v11
	s_cmp_lt_i32 s17, 11
	v_addc_co_u32_e32 v11, vcc, 0, v3, vcc
	s_cbranch_scc1 .LBB64_1273
; %bb.1267:
	s_and_b32 s18, 0xffff, s17
	s_cmp_gt_i32 s18, 25
	s_mov_b64 s[4:5], 0
	s_cbranch_scc0 .LBB64_1275
; %bb.1268:
	s_cmp_gt_i32 s18, 28
	s_cbranch_scc0 .LBB64_1276
; %bb.1269:
	s_cmp_gt_i32 s18, 43
	;; [unrolled: 3-line block ×3, first 2 shown]
	s_cbranch_scc0 .LBB64_1279
; %bb.1271:
	s_cmp_eq_u32 s18, 46
	s_mov_b64 s[12:13], 0
	s_cbranch_scc0 .LBB64_1282
; %bb.1272:
	global_load_dword v3, v[10:11], off
	s_mov_b64 s[0:1], 0
	s_mov_b64 s[6:7], -1
	s_branch .LBB64_1283
.LBB64_1273:
	s_mov_b64 s[6:7], 0
                                        ; implicit-def: $vgpr3
	s_cbranch_execnz .LBB64_1348
.LBB64_1274:
	s_andn2_b64 vcc, exec, s[6:7]
	s_cbranch_vccnz .LBB64_2087
	s_branch .LBB64_1395
.LBB64_1275:
	s_mov_b64 s[6:7], 0
	s_mov_b64 s[0:1], 0
                                        ; implicit-def: $vgpr3
	s_cbranch_execnz .LBB64_1312
	s_branch .LBB64_1344
.LBB64_1276:
	s_mov_b64 s[12:13], -1
	s_mov_b64 s[6:7], 0
	s_mov_b64 s[0:1], 0
                                        ; implicit-def: $vgpr3
	s_branch .LBB64_1293
.LBB64_1277:
	s_mov_b64 s[12:13], -1
	s_mov_b64 s[6:7], 0
	s_mov_b64 s[0:1], 0
                                        ; implicit-def: $vgpr3
	s_branch .LBB64_1288
.LBB64_1278:
	s_or_b64 s[2:3], s[28:29], exec
	s_trap 2
	s_cbranch_execz .LBB64_1219
	s_branch .LBB64_1220
.LBB64_1279:
	s_mov_b64 s[12:13], -1
	s_mov_b64 s[6:7], 0
	s_mov_b64 s[0:1], 0
                                        ; implicit-def: $vgpr3
	s_branch .LBB64_1283
.LBB64_1280:
	s_andn2_saveexec_b64 s[16:17], s[16:17]
	s_cbranch_execz .LBB64_1011
.LBB64_1281:
	s_mov_b32 s20, 0x42800000
	v_add_f32_e64 v4, |v5|, s20
	v_and_b32_e32 v4, 0xff, v4
	v_cmp_ne_u32_e32 vcc, 0, v4
	s_andn2_b64 s[14:15], s[14:15], exec
	s_and_b64 s[20:21], vcc, exec
	s_or_b64 s[14:15], s[14:15], s[20:21]
	s_or_b64 exec, exec, s[16:17]
	v_mov_b32_e32 v6, 0
	s_and_saveexec_b64 s[16:17], s[14:15]
	s_cbranch_execnz .LBB64_1012
	s_branch .LBB64_1013
.LBB64_1282:
	s_mov_b64 s[0:1], -1
                                        ; implicit-def: $vgpr3
	s_mov_b64 s[6:7], 0
.LBB64_1283:
	s_and_b64 vcc, exec, s[12:13]
	s_cbranch_vccz .LBB64_1287
; %bb.1284:
	s_cmp_eq_u32 s18, 44
	s_cbranch_scc0 .LBB64_1286
; %bb.1285:
	global_load_ubyte v3, v[10:11], off
	s_movk_i32 s6, 0xff
	v_mov_b32_e32 v5, 0x7f800001
	v_mov_b32_e32 v8, 0x400000
	;; [unrolled: 1-line block ×3, first 2 shown]
	s_mov_b64 s[0:1], 0
	s_waitcnt vmcnt(0)
	v_lshlrev_b32_e32 v13, 23, v3
	v_cmp_ne_u32_e32 vcc, s6, v3
	v_cndmask_b32_e32 v5, v5, v13, vcc
	v_cmp_ne_u32_e32 vcc, 0, v3
	v_cndmask_b32_e32 v3, v8, v5, vcc
	v_add_u32_e32 v5, 0x7fff, v3
	v_cmp_o_f32_e32 vcc, v3, v3
	v_cndmask_b32_sdwa v3, v12, v5, vcc dst_sel:DWORD dst_unused:UNUSED_PAD src0_sel:DWORD src1_sel:WORD_1
	s_mov_b64 s[6:7], -1
	s_branch .LBB64_1287
.LBB64_1286:
	s_mov_b64 s[0:1], -1
                                        ; implicit-def: $vgpr3
.LBB64_1287:
	s_mov_b64 s[12:13], 0
.LBB64_1288:
	s_and_b64 vcc, exec, s[12:13]
	s_cbranch_vccz .LBB64_1292
; %bb.1289:
	s_cmp_eq_u32 s18, 29
	s_cbranch_scc0 .LBB64_1291
; %bb.1290:
	global_load_dwordx2 v[12:13], v[10:11], off
	s_movk_i32 s6, 0x7fff
	s_mov_b64 s[0:1], 0
	s_mov_b64 s[12:13], 0
	s_waitcnt vmcnt(0)
	v_ffbh_u32_e32 v3, v13
	v_min_u32_e32 v3, 32, v3
	v_lshlrev_b64 v[12:13], v3, v[12:13]
	v_sub_u32_e32 v3, 32, v3
	v_min_u32_e32 v5, 1, v12
	v_or_b32_e32 v5, v13, v5
	v_cvt_f32_u32_e32 v5, v5
	v_ldexp_f32 v3, v5, v3
	v_bfe_u32 v5, v3, 16, 1
	v_add3_u32 v3, v3, v5, s6
	v_lshrrev_b32_e32 v3, 16, v3
	s_mov_b64 s[6:7], -1
	s_branch .LBB64_1293
.LBB64_1291:
	s_mov_b64 s[0:1], -1
                                        ; implicit-def: $vgpr3
.LBB64_1292:
	s_mov_b64 s[12:13], 0
.LBB64_1293:
	s_and_b64 vcc, exec, s[12:13]
	s_cbranch_vccz .LBB64_1311
; %bb.1294:
	s_cmp_lt_i32 s18, 27
	s_cbranch_scc1 .LBB64_1297
; %bb.1295:
	s_cmp_gt_i32 s18, 27
	s_cbranch_scc0 .LBB64_1298
; %bb.1296:
	global_load_dword v3, v[10:11], off
	s_movk_i32 s6, 0x7fff
	s_waitcnt vmcnt(0)
	v_cvt_f32_u32_e32 v3, v3
	v_bfe_u32 v5, v3, 16, 1
	v_add3_u32 v3, v3, v5, s6
	v_lshrrev_b32_e32 v3, 16, v3
	s_mov_b64 s[6:7], 0
	s_branch .LBB64_1299
.LBB64_1297:
	s_mov_b64 s[6:7], -1
                                        ; implicit-def: $vgpr3
	s_branch .LBB64_1302
.LBB64_1298:
	s_mov_b64 s[6:7], -1
                                        ; implicit-def: $vgpr3
.LBB64_1299:
	s_andn2_b64 vcc, exec, s[6:7]
	s_cbranch_vccnz .LBB64_1301
; %bb.1300:
	global_load_ushort v3, v[10:11], off
	s_movk_i32 s6, 0x7fff
	s_waitcnt vmcnt(0)
	v_cvt_f32_u32_e32 v3, v3
	v_bfe_u32 v5, v3, 16, 1
	v_add3_u32 v3, v3, v5, s6
	v_lshrrev_b32_e32 v3, 16, v3
.LBB64_1301:
	s_mov_b64 s[6:7], 0
.LBB64_1302:
	s_andn2_b64 vcc, exec, s[6:7]
	s_cbranch_vccnz .LBB64_1310
; %bb.1303:
	global_load_ubyte v3, v[10:11], off
	s_movk_i32 s6, 0x7f
	s_waitcnt vmcnt(0)
	v_cmp_lt_i16_e32 vcc, s6, v3
	s_mov_b64 s[6:7], 0
	s_and_saveexec_b64 s[12:13], vcc
	s_xor_b64 s[12:13], exec, s[12:13]
	s_cbranch_execz .LBB64_1323
; %bb.1304:
	s_movk_i32 s6, 0x80
	v_cmp_eq_u16_e32 vcc, s6, v3
	s_mov_b64 s[6:7], -1
	s_and_saveexec_b64 s[14:15], vcc
; %bb.1305:
	s_xor_b64 s[6:7], exec, -1
; %bb.1306:
	s_or_b64 exec, exec, s[14:15]
	s_and_b64 s[6:7], s[6:7], exec
	s_or_saveexec_b64 s[12:13], s[12:13]
	v_mov_b32_e32 v5, 0x7f800001
	s_xor_b64 exec, exec, s[12:13]
	s_cbranch_execnz .LBB64_1324
.LBB64_1307:
	s_or_b64 exec, exec, s[12:13]
	s_and_saveexec_b64 s[12:13], s[6:7]
	s_cbranch_execz .LBB64_1309
.LBB64_1308:
	v_lshlrev_b32_e32 v5, 24, v3
	v_and_b32_e32 v3, 0xffff, v3
	v_and_b32_e32 v8, 7, v3
	v_ffbh_u32_e32 v13, v8
	v_min_u32_e32 v13, 32, v13
	v_subrev_u32_e32 v14, 28, v13
	v_bfe_u32 v12, v3, 3, 4
	v_lshlrev_b32_e32 v3, v14, v3
	v_sub_u32_e32 v13, 29, v13
	v_and_b32_e32 v3, 7, v3
	v_cmp_eq_u32_e32 vcc, 0, v12
	v_cndmask_b32_e32 v12, v12, v13, vcc
	v_cndmask_b32_e32 v3, v8, v3, vcc
	v_mov_b32_e32 v8, 0x3b800000
	v_lshlrev_b32_e32 v3, 20, v3
	v_and_b32_e32 v5, 0x80000000, v5
	v_lshl_add_u32 v8, v12, 23, v8
	v_or3_b32 v5, v5, v8, v3
.LBB64_1309:
	s_or_b64 exec, exec, s[12:13]
	v_bfe_u32 v3, v5, 16, 1
	s_movk_i32 s6, 0x7fff
	v_add3_u32 v3, v5, v3, s6
	v_cmp_o_f32_e32 vcc, v5, v5
	v_mov_b32_e32 v5, 0x7fc0
	v_cndmask_b32_sdwa v3, v5, v3, vcc dst_sel:DWORD dst_unused:UNUSED_PAD src0_sel:DWORD src1_sel:WORD_1
.LBB64_1310:
	s_mov_b64 s[6:7], -1
.LBB64_1311:
	s_branch .LBB64_1344
.LBB64_1312:
	s_cmp_gt_i32 s18, 22
	s_cbranch_scc0 .LBB64_1322
; %bb.1313:
	s_cmp_lt_i32 s18, 24
	s_cbranch_scc1 .LBB64_1325
; %bb.1314:
	s_cmp_gt_i32 s18, 24
	s_cbranch_scc0 .LBB64_1326
; %bb.1315:
	global_load_ubyte v3, v[10:11], off
	s_movk_i32 s4, 0x7f
	s_waitcnt vmcnt(0)
	v_cmp_lt_i16_e32 vcc, s4, v3
	s_mov_b64 s[4:5], 0
	s_and_saveexec_b64 s[6:7], vcc
	s_xor_b64 s[6:7], exec, s[6:7]
	s_cbranch_execz .LBB64_1338
; %bb.1316:
	s_movk_i32 s4, 0x80
	v_cmp_eq_u16_e32 vcc, s4, v3
	s_mov_b64 s[4:5], -1
	s_and_saveexec_b64 s[12:13], vcc
; %bb.1317:
	s_xor_b64 s[4:5], exec, -1
; %bb.1318:
	s_or_b64 exec, exec, s[12:13]
	s_and_b64 s[4:5], s[4:5], exec
	s_or_saveexec_b64 s[6:7], s[6:7]
	v_mov_b32_e32 v5, 0x7f800001
	s_xor_b64 exec, exec, s[6:7]
	s_cbranch_execnz .LBB64_1339
.LBB64_1319:
	s_or_b64 exec, exec, s[6:7]
	s_and_saveexec_b64 s[6:7], s[4:5]
	s_cbranch_execz .LBB64_1321
.LBB64_1320:
	v_lshlrev_b32_e32 v5, 24, v3
	v_and_b32_e32 v3, 0xffff, v3
	v_and_b32_e32 v8, 3, v3
	v_ffbh_u32_e32 v13, v8
	v_min_u32_e32 v13, 32, v13
	v_subrev_u32_e32 v14, 29, v13
	v_bfe_u32 v12, v3, 2, 5
	v_lshlrev_b32_e32 v3, v14, v3
	v_sub_u32_e32 v13, 30, v13
	v_and_b32_e32 v3, 3, v3
	v_cmp_eq_u32_e32 vcc, 0, v12
	v_cndmask_b32_e32 v12, v12, v13, vcc
	v_cndmask_b32_e32 v3, v8, v3, vcc
	v_mov_b32_e32 v8, 0x37800000
	v_lshlrev_b32_e32 v3, 21, v3
	v_and_b32_e32 v5, 0x80000000, v5
	v_lshl_add_u32 v8, v12, 23, v8
	v_or3_b32 v5, v5, v8, v3
.LBB64_1321:
	s_or_b64 exec, exec, s[6:7]
	v_bfe_u32 v3, v5, 16, 1
	s_movk_i32 s4, 0x7fff
	v_add3_u32 v3, v5, v3, s4
	v_cmp_o_f32_e32 vcc, v5, v5
	v_mov_b32_e32 v5, 0x7fc0
	v_cndmask_b32_sdwa v3, v5, v3, vcc dst_sel:DWORD dst_unused:UNUSED_PAD src0_sel:DWORD src1_sel:WORD_1
	s_mov_b64 s[4:5], 0
	s_branch .LBB64_1327
.LBB64_1322:
	s_mov_b64 s[4:5], -1
                                        ; implicit-def: $vgpr3
	s_branch .LBB64_1333
.LBB64_1323:
	s_or_saveexec_b64 s[12:13], s[12:13]
	v_mov_b32_e32 v5, 0x7f800001
	s_xor_b64 exec, exec, s[12:13]
	s_cbranch_execz .LBB64_1307
.LBB64_1324:
	v_cmp_ne_u16_e32 vcc, 0, v3
	s_andn2_b64 s[6:7], s[6:7], exec
	s_and_b64 s[14:15], vcc, exec
	v_mov_b32_e32 v5, 0
	s_or_b64 s[6:7], s[6:7], s[14:15]
	s_or_b64 exec, exec, s[12:13]
	s_and_saveexec_b64 s[12:13], s[6:7]
	s_cbranch_execnz .LBB64_1308
	s_branch .LBB64_1309
.LBB64_1325:
	s_mov_b64 s[4:5], -1
                                        ; implicit-def: $vgpr3
	s_branch .LBB64_1330
.LBB64_1326:
	s_mov_b64 s[4:5], -1
                                        ; implicit-def: $vgpr3
.LBB64_1327:
	s_and_b64 vcc, exec, s[4:5]
	s_cbranch_vccz .LBB64_1329
; %bb.1328:
	global_load_ubyte v3, v[10:11], off
	s_mov_b32 s4, 0x7f800000
	s_brev_b32 s5, 1
	s_movk_i32 s6, 0x7fff
	s_waitcnt vmcnt(0)
	v_lshlrev_b32_e32 v3, 24, v3
	v_and_b32_e32 v5, 0x7f000000, v3
	v_ffbh_u32_e32 v8, v5
	v_min_u32_e32 v8, 32, v8
	v_sub_u32_e64 v8, v8, 4 clamp
	v_lshlrev_b32_e32 v13, v8, v5
	v_lshlrev_b32_e32 v8, 23, v8
	v_lshrrev_b32_e32 v13, 4, v13
	v_add_u32_e32 v12, 0x1000000, v5
	v_sub_u32_e32 v8, v13, v8
	v_ashrrev_i32_e32 v12, 8, v12
	v_add_u32_e32 v8, 0x3c000000, v8
	v_and_or_b32 v8, v12, s4, v8
	v_cmp_ne_u32_e32 vcc, 0, v5
	v_cndmask_b32_e32 v5, 0, v8, vcc
	v_and_or_b32 v3, v3, s5, v5
	v_bfe_u32 v5, v5, 16, 1
	v_add3_u32 v5, v3, v5, s6
	v_cmp_o_f32_e32 vcc, v3, v3
	v_mov_b32_e32 v3, 0x7fc0
	v_cndmask_b32_sdwa v3, v3, v5, vcc dst_sel:DWORD dst_unused:UNUSED_PAD src0_sel:DWORD src1_sel:WORD_1
.LBB64_1329:
	s_mov_b64 s[4:5], 0
.LBB64_1330:
	s_andn2_b64 vcc, exec, s[4:5]
	s_cbranch_vccnz .LBB64_1332
; %bb.1331:
	global_load_ubyte v3, v[10:11], off
	s_movk_i32 s4, 0x7f00
	s_brev_b32 s5, 16
	s_brev_b32 s6, 1
	s_movk_i32 s7, 0x7fff
	s_waitcnt vmcnt(0)
	v_lshlrev_b16_e32 v5, 8, v3
	v_lshlrev_b32_e32 v3, 25, v3
	v_lshrrev_b32_e32 v8, 4, v3
	v_and_or_b32 v12, v5, s4, 0.5
	v_or_b32_e32 v8, 0x70000000, v8
	v_add_f32_e32 v12, -0.5, v12
	v_mul_f32_e32 v8, 0x7800000, v8
	v_cmp_gt_u32_e32 vcc, s5, v3
	v_bfe_i32 v5, v5, 0, 16
	v_cndmask_b32_e32 v3, v8, v12, vcc
	v_and_or_b32 v5, v5, s6, v3
	v_bfe_u32 v3, v3, 16, 1
	v_add3_u32 v3, v5, v3, s7
	v_cmp_o_f32_e32 vcc, v5, v5
	v_mov_b32_e32 v5, 0x7fc0
	v_cndmask_b32_sdwa v3, v5, v3, vcc dst_sel:DWORD dst_unused:UNUSED_PAD src0_sel:DWORD src1_sel:WORD_1
.LBB64_1332:
	s_mov_b64 s[4:5], 0
	s_mov_b64 s[6:7], -1
.LBB64_1333:
	s_andn2_b64 vcc, exec, s[4:5]
	s_mov_b64 s[4:5], 0
	s_cbranch_vccnz .LBB64_1344
; %bb.1334:
	s_cmp_gt_i32 s18, 14
	s_cbranch_scc0 .LBB64_1337
; %bb.1335:
	s_cmp_eq_u32 s18, 15
	s_cbranch_scc0 .LBB64_1340
; %bb.1336:
	global_load_ushort v3, v[10:11], off
	s_mov_b64 s[0:1], 0
	s_mov_b64 s[6:7], -1
	s_branch .LBB64_1341
.LBB64_1337:
	s_mov_b64 s[12:13], -1
                                        ; implicit-def: $vgpr3
	s_branch .LBB64_1342
.LBB64_1338:
	s_or_saveexec_b64 s[6:7], s[6:7]
	v_mov_b32_e32 v5, 0x7f800001
	s_xor_b64 exec, exec, s[6:7]
	s_cbranch_execz .LBB64_1319
.LBB64_1339:
	v_cmp_ne_u16_e32 vcc, 0, v3
	s_andn2_b64 s[4:5], s[4:5], exec
	s_and_b64 s[12:13], vcc, exec
	v_mov_b32_e32 v5, 0
	s_or_b64 s[4:5], s[4:5], s[12:13]
	s_or_b64 exec, exec, s[6:7]
	s_and_saveexec_b64 s[6:7], s[4:5]
	s_cbranch_execnz .LBB64_1320
	s_branch .LBB64_1321
.LBB64_1340:
	s_mov_b64 s[0:1], -1
                                        ; implicit-def: $vgpr3
.LBB64_1341:
	s_mov_b64 s[12:13], 0
.LBB64_1342:
	s_and_b64 vcc, exec, s[12:13]
	s_cbranch_vccz .LBB64_1344
; %bb.1343:
	s_cmp_lg_u32 s18, 11
	s_mov_b64 s[4:5], -1
	s_cselect_b64 s[0:1], -1, 0
.LBB64_1344:
	s_and_b64 vcc, exec, s[0:1]
	s_cbranch_vccnz .LBB64_1407
; %bb.1345:
	s_andn2_b64 vcc, exec, s[4:5]
	s_cbranch_vccnz .LBB64_1347
.LBB64_1346:
	global_load_ubyte v3, v[10:11], off
	s_mov_b64 s[6:7], -1
	s_waitcnt vmcnt(0)
	v_cmp_ne_u16_e32 vcc, 0, v3
	v_cndmask_b32_e64 v3, 0, 1.0, vcc
	v_lshrrev_b32_e32 v3, 16, v3
.LBB64_1347:
	s_branch .LBB64_1274
.LBB64_1348:
	s_and_b32 s4, 0xffff, s17
	s_cmp_lt_i32 s4, 5
	s_cbranch_scc1 .LBB64_1353
; %bb.1349:
	s_cmp_lt_i32 s4, 8
	s_cbranch_scc1 .LBB64_1354
; %bb.1350:
	;; [unrolled: 3-line block ×3, first 2 shown]
	s_cmp_gt_i32 s4, 9
	s_cbranch_scc0 .LBB64_1356
; %bb.1352:
	global_load_dwordx2 v[12:13], v[10:11], off
	s_movk_i32 s0, 0x7fff
	v_mov_b32_e32 v5, 0x7fc0
	s_waitcnt vmcnt(0)
	v_cvt_f32_f64_e32 v3, v[12:13]
	v_bfe_u32 v8, v3, 16, 1
	v_cmp_o_f32_e32 vcc, v3, v3
	v_add3_u32 v3, v3, v8, s0
	v_cndmask_b32_sdwa v3, v5, v3, vcc dst_sel:DWORD dst_unused:UNUSED_PAD src0_sel:DWORD src1_sel:WORD_1
	s_mov_b64 s[0:1], 0
	s_branch .LBB64_1357
.LBB64_1353:
                                        ; implicit-def: $vgpr3
	s_branch .LBB64_1375
.LBB64_1354:
	s_mov_b64 s[0:1], -1
                                        ; implicit-def: $vgpr3
	s_branch .LBB64_1363
.LBB64_1355:
	s_mov_b64 s[0:1], -1
                                        ; implicit-def: $vgpr3
	s_branch .LBB64_1360
.LBB64_1356:
	s_mov_b64 s[0:1], -1
                                        ; implicit-def: $vgpr3
.LBB64_1357:
	s_andn2_b64 vcc, exec, s[0:1]
	s_cbranch_vccnz .LBB64_1359
; %bb.1358:
	global_load_dword v3, v[10:11], off
	s_movk_i32 s0, 0x7fff
	v_mov_b32_e32 v5, 0x7fc0
	s_waitcnt vmcnt(0)
	v_bfe_u32 v8, v3, 16, 1
	v_cmp_o_f32_e32 vcc, v3, v3
	v_add3_u32 v3, v3, v8, s0
	v_cndmask_b32_sdwa v3, v5, v3, vcc dst_sel:DWORD dst_unused:UNUSED_PAD src0_sel:DWORD src1_sel:WORD_1
.LBB64_1359:
	s_mov_b64 s[0:1], 0
.LBB64_1360:
	s_andn2_b64 vcc, exec, s[0:1]
	s_cbranch_vccnz .LBB64_1362
; %bb.1361:
	global_load_dword v3, v[10:11], off
	s_movk_i32 s0, 0x7fff
	v_mov_b32_e32 v8, 0x7fc0
	s_waitcnt vmcnt(0)
	v_cvt_f32_f16_e32 v5, v3
	v_cmp_o_f16_e32 vcc, v3, v3
	v_bfe_u32 v3, v5, 16, 1
	v_add3_u32 v3, v5, v3, s0
	v_cndmask_b32_sdwa v3, v8, v3, vcc dst_sel:DWORD dst_unused:UNUSED_PAD src0_sel:DWORD src1_sel:WORD_1
.LBB64_1362:
	s_mov_b64 s[0:1], 0
.LBB64_1363:
	s_andn2_b64 vcc, exec, s[0:1]
	s_cbranch_vccnz .LBB64_1374
; %bb.1364:
	s_cmp_lt_i32 s4, 6
	s_cbranch_scc1 .LBB64_1367
; %bb.1365:
	s_cmp_gt_i32 s4, 6
	s_cbranch_scc0 .LBB64_1368
; %bb.1366:
	global_load_dwordx2 v[12:13], v[10:11], off
	s_movk_i32 s0, 0x7fff
	v_mov_b32_e32 v5, 0x7fc0
	s_waitcnt vmcnt(0)
	v_cvt_f32_f64_e32 v3, v[12:13]
	v_bfe_u32 v8, v3, 16, 1
	v_cmp_o_f32_e32 vcc, v3, v3
	v_add3_u32 v3, v3, v8, s0
	v_cndmask_b32_sdwa v3, v5, v3, vcc dst_sel:DWORD dst_unused:UNUSED_PAD src0_sel:DWORD src1_sel:WORD_1
	s_mov_b64 s[0:1], 0
	s_branch .LBB64_1369
.LBB64_1367:
	s_mov_b64 s[0:1], -1
                                        ; implicit-def: $vgpr3
	s_branch .LBB64_1372
.LBB64_1368:
	s_mov_b64 s[0:1], -1
                                        ; implicit-def: $vgpr3
.LBB64_1369:
	s_andn2_b64 vcc, exec, s[0:1]
	s_cbranch_vccnz .LBB64_1371
; %bb.1370:
	global_load_dword v3, v[10:11], off
	s_movk_i32 s0, 0x7fff
	v_mov_b32_e32 v5, 0x7fc0
	s_waitcnt vmcnt(0)
	v_bfe_u32 v8, v3, 16, 1
	v_cmp_o_f32_e32 vcc, v3, v3
	v_add3_u32 v3, v3, v8, s0
	v_cndmask_b32_sdwa v3, v5, v3, vcc dst_sel:DWORD dst_unused:UNUSED_PAD src0_sel:DWORD src1_sel:WORD_1
.LBB64_1371:
	s_mov_b64 s[0:1], 0
.LBB64_1372:
	s_andn2_b64 vcc, exec, s[0:1]
	s_cbranch_vccnz .LBB64_1374
; %bb.1373:
	global_load_ushort v3, v[10:11], off
	s_movk_i32 s0, 0x7fff
	v_mov_b32_e32 v8, 0x7fc0
	s_waitcnt vmcnt(0)
	v_cvt_f32_f16_e32 v5, v3
	v_cmp_o_f16_e32 vcc, v3, v3
	v_bfe_u32 v3, v5, 16, 1
	v_add3_u32 v3, v5, v3, s0
	v_cndmask_b32_sdwa v3, v8, v3, vcc dst_sel:DWORD dst_unused:UNUSED_PAD src0_sel:DWORD src1_sel:WORD_1
.LBB64_1374:
	s_cbranch_execnz .LBB64_1394
.LBB64_1375:
	s_cmp_lt_i32 s4, 2
	s_cbranch_scc1 .LBB64_1379
; %bb.1376:
	s_cmp_lt_i32 s4, 3
	s_cbranch_scc1 .LBB64_1380
; %bb.1377:
	s_cmp_gt_i32 s4, 3
	s_cbranch_scc0 .LBB64_1381
; %bb.1378:
	global_load_dwordx2 v[12:13], v[10:11], off
	s_movk_i32 s0, 0x7fff
	s_waitcnt vmcnt(0)
	v_xor_b32_e32 v5, v12, v13
	v_ffbh_i32_e32 v3, v13
	v_ashrrev_i32_e32 v5, 31, v5
	v_add_u32_e32 v3, -1, v3
	v_add_u32_e32 v5, 32, v5
	v_min_u32_e32 v3, v3, v5
	v_lshlrev_b64 v[12:13], v3, v[12:13]
	v_sub_u32_e32 v3, 32, v3
	v_min_u32_e32 v5, 1, v12
	v_or_b32_e32 v5, v13, v5
	v_cvt_f32_i32_e32 v5, v5
	v_ldexp_f32 v3, v5, v3
	v_bfe_u32 v5, v3, 16, 1
	v_add3_u32 v3, v3, v5, s0
	v_lshrrev_b32_e32 v3, 16, v3
	s_mov_b64 s[0:1], 0
	s_branch .LBB64_1382
.LBB64_1379:
	s_mov_b64 s[0:1], -1
                                        ; implicit-def: $vgpr3
	s_branch .LBB64_1388
.LBB64_1380:
	s_mov_b64 s[0:1], -1
                                        ; implicit-def: $vgpr3
	s_branch .LBB64_1385
.LBB64_1381:
	s_mov_b64 s[0:1], -1
                                        ; implicit-def: $vgpr3
.LBB64_1382:
	s_andn2_b64 vcc, exec, s[0:1]
	s_cbranch_vccnz .LBB64_1384
; %bb.1383:
	global_load_dword v3, v[10:11], off
	s_movk_i32 s0, 0x7fff
	s_waitcnt vmcnt(0)
	v_cvt_f32_i32_e32 v3, v3
	v_bfe_u32 v5, v3, 16, 1
	v_add3_u32 v3, v3, v5, s0
	v_lshrrev_b32_e32 v3, 16, v3
.LBB64_1384:
	s_mov_b64 s[0:1], 0
.LBB64_1385:
	s_andn2_b64 vcc, exec, s[0:1]
	s_cbranch_vccnz .LBB64_1387
; %bb.1386:
	global_load_sshort v3, v[10:11], off
	s_movk_i32 s0, 0x7fff
	s_waitcnt vmcnt(0)
	v_cvt_f32_i32_e32 v3, v3
	v_bfe_u32 v5, v3, 16, 1
	v_add3_u32 v3, v3, v5, s0
	v_lshrrev_b32_e32 v3, 16, v3
.LBB64_1387:
	s_mov_b64 s[0:1], 0
.LBB64_1388:
	s_andn2_b64 vcc, exec, s[0:1]
	s_cbranch_vccnz .LBB64_1394
; %bb.1389:
	s_cmp_gt_i32 s4, 0
	s_cbranch_scc0 .LBB64_1391
; %bb.1390:
	global_load_sbyte v3, v[10:11], off
	s_movk_i32 s0, 0x7fff
	s_waitcnt vmcnt(0)
	v_cvt_f32_i32_e32 v3, v3
	v_bfe_u32 v5, v3, 16, 1
	v_add3_u32 v3, v3, v5, s0
	v_lshrrev_b32_e32 v3, 16, v3
	s_mov_b64 s[0:1], 0
	s_branch .LBB64_1392
.LBB64_1391:
	s_mov_b64 s[0:1], -1
                                        ; implicit-def: $vgpr3
.LBB64_1392:
	s_andn2_b64 vcc, exec, s[0:1]
	s_cbranch_vccnz .LBB64_1394
; %bb.1393:
	global_load_ubyte v3, v[10:11], off
	s_movk_i32 s0, 0x7fff
	s_waitcnt vmcnt(0)
	v_cvt_f32_ubyte0_e32 v3, v3
	v_bfe_u32 v5, v3, 16, 1
	v_add3_u32 v3, v3, v5, s0
	v_lshrrev_b32_e32 v3, 16, v3
.LBB64_1394:
.LBB64_1395:
	v_mov_b32_e32 v5, s11
	v_add_co_u32_e32 v8, vcc, s10, v9
	s_cmp_lt_i32 s17, 11
	v_addc_co_u32_e32 v9, vcc, 0, v5, vcc
	s_cbranch_scc1 .LBB64_1402
; %bb.1396:
	s_and_b32 s18, 0xffff, s17
	s_cmp_gt_i32 s18, 25
	s_mov_b64 s[4:5], 0
	s_cbranch_scc0 .LBB64_1404
; %bb.1397:
	s_cmp_gt_i32 s18, 28
	s_cbranch_scc0 .LBB64_1405
; %bb.1398:
	s_cmp_gt_i32 s18, 43
	;; [unrolled: 3-line block ×3, first 2 shown]
	s_cbranch_scc0 .LBB64_1408
; %bb.1400:
	s_cmp_eq_u32 s18, 46
	s_mov_b64 s[12:13], 0
	s_cbranch_scc0 .LBB64_1409
; %bb.1401:
	global_load_dword v10, v[8:9], off
	s_mov_b64 s[0:1], 0
	s_mov_b64 s[6:7], -1
	s_branch .LBB64_1410
.LBB64_1402:
	s_mov_b64 s[6:7], 0
                                        ; implicit-def: $vgpr10
	s_cbranch_execnz .LBB64_1476
.LBB64_1403:
	s_andn2_b64 vcc, exec, s[6:7]
	s_cbranch_vccnz .LBB64_2087
	s_branch .LBB64_1524
.LBB64_1404:
	s_mov_b64 s[12:13], -1
	s_mov_b64 s[6:7], 0
	s_mov_b64 s[0:1], 0
                                        ; implicit-def: $vgpr10
	s_branch .LBB64_1439
.LBB64_1405:
	s_mov_b64 s[12:13], -1
	s_mov_b64 s[6:7], 0
	s_mov_b64 s[0:1], 0
                                        ; implicit-def: $vgpr10
	s_branch .LBB64_1420
.LBB64_1406:
	s_mov_b64 s[12:13], -1
	s_mov_b64 s[6:7], 0
	s_mov_b64 s[0:1], 0
                                        ; implicit-def: $vgpr10
	s_branch .LBB64_1415
.LBB64_1407:
	s_trap 2
	s_or_b64 s[2:3], s[2:3], exec
	s_cbranch_execz .LBB64_1346
	s_branch .LBB64_1347
.LBB64_1408:
	s_mov_b64 s[12:13], -1
	s_mov_b64 s[6:7], 0
	s_mov_b64 s[0:1], 0
                                        ; implicit-def: $vgpr10
	s_branch .LBB64_1410
.LBB64_1409:
	s_mov_b64 s[0:1], -1
                                        ; implicit-def: $vgpr10
	s_mov_b64 s[6:7], 0
.LBB64_1410:
	s_and_b64 vcc, exec, s[12:13]
	s_cbranch_vccz .LBB64_1414
; %bb.1411:
	s_cmp_eq_u32 s18, 44
	s_cbranch_scc0 .LBB64_1413
; %bb.1412:
	global_load_ubyte v5, v[8:9], off
	s_movk_i32 s6, 0xff
	s_waitcnt vmcnt(1)
	v_mov_b32_e32 v10, 0x7f800001
	v_mov_b32_e32 v11, 0x400000
	;; [unrolled: 1-line block ×3, first 2 shown]
	s_mov_b64 s[0:1], 0
	s_waitcnt vmcnt(0)
	v_lshlrev_b32_e32 v13, 23, v5
	v_cmp_ne_u32_e32 vcc, s6, v5
	v_cndmask_b32_e32 v10, v10, v13, vcc
	v_cmp_ne_u32_e32 vcc, 0, v5
	v_cndmask_b32_e32 v5, v11, v10, vcc
	v_add_u32_e32 v10, 0x7fff, v5
	v_cmp_o_f32_e32 vcc, v5, v5
	v_cndmask_b32_sdwa v10, v12, v10, vcc dst_sel:DWORD dst_unused:UNUSED_PAD src0_sel:DWORD src1_sel:WORD_1
	s_mov_b64 s[6:7], -1
	s_branch .LBB64_1414
.LBB64_1413:
	s_mov_b64 s[0:1], -1
                                        ; implicit-def: $vgpr10
.LBB64_1414:
	s_mov_b64 s[12:13], 0
.LBB64_1415:
	s_and_b64 vcc, exec, s[12:13]
	s_cbranch_vccz .LBB64_1419
; %bb.1416:
	s_cmp_eq_u32 s18, 29
	s_cbranch_scc0 .LBB64_1418
; %bb.1417:
	global_load_dwordx2 v[10:11], v[8:9], off
	s_movk_i32 s6, 0x7fff
	s_mov_b64 s[0:1], 0
	s_mov_b64 s[12:13], 0
	s_waitcnt vmcnt(0)
	v_ffbh_u32_e32 v5, v11
	v_min_u32_e32 v5, 32, v5
	v_lshlrev_b64 v[10:11], v5, v[10:11]
	v_sub_u32_e32 v5, 32, v5
	v_min_u32_e32 v10, 1, v10
	v_or_b32_e32 v10, v11, v10
	v_cvt_f32_u32_e32 v10, v10
	v_ldexp_f32 v5, v10, v5
	v_bfe_u32 v10, v5, 16, 1
	v_add3_u32 v5, v5, v10, s6
	v_lshrrev_b32_e32 v10, 16, v5
	s_mov_b64 s[6:7], -1
	s_branch .LBB64_1420
.LBB64_1418:
	s_mov_b64 s[0:1], -1
                                        ; implicit-def: $vgpr10
.LBB64_1419:
	s_mov_b64 s[12:13], 0
.LBB64_1420:
	s_and_b64 vcc, exec, s[12:13]
	s_cbranch_vccz .LBB64_1438
; %bb.1421:
	s_cmp_lt_i32 s18, 27
	s_cbranch_scc1 .LBB64_1424
; %bb.1422:
	s_cmp_gt_i32 s18, 27
	s_cbranch_scc0 .LBB64_1425
; %bb.1423:
	global_load_dword v5, v[8:9], off
	s_movk_i32 s6, 0x7fff
	s_waitcnt vmcnt(0)
	v_cvt_f32_u32_e32 v5, v5
	v_bfe_u32 v10, v5, 16, 1
	v_add3_u32 v5, v5, v10, s6
	v_lshrrev_b32_e32 v10, 16, v5
	s_mov_b64 s[6:7], 0
	s_branch .LBB64_1426
.LBB64_1424:
	s_mov_b64 s[6:7], -1
                                        ; implicit-def: $vgpr10
	s_branch .LBB64_1429
.LBB64_1425:
	s_mov_b64 s[6:7], -1
                                        ; implicit-def: $vgpr10
.LBB64_1426:
	s_andn2_b64 vcc, exec, s[6:7]
	s_cbranch_vccnz .LBB64_1428
; %bb.1427:
	global_load_ushort v5, v[8:9], off
	s_movk_i32 s6, 0x7fff
	s_waitcnt vmcnt(0)
	v_cvt_f32_u32_e32 v5, v5
	v_bfe_u32 v10, v5, 16, 1
	v_add3_u32 v5, v5, v10, s6
	v_lshrrev_b32_e32 v10, 16, v5
.LBB64_1428:
	s_mov_b64 s[6:7], 0
.LBB64_1429:
	s_andn2_b64 vcc, exec, s[6:7]
	s_cbranch_vccnz .LBB64_1437
; %bb.1430:
	global_load_ubyte v5, v[8:9], off
	s_movk_i32 s6, 0x7f
	s_waitcnt vmcnt(0)
	v_cmp_lt_i16_e32 vcc, s6, v5
	s_mov_b64 s[6:7], 0
	s_and_saveexec_b64 s[12:13], vcc
	s_xor_b64 s[12:13], exec, s[12:13]
	s_cbranch_execz .LBB64_1451
; %bb.1431:
	s_movk_i32 s6, 0x80
	v_cmp_eq_u16_e32 vcc, s6, v5
	s_mov_b64 s[6:7], -1
	s_and_saveexec_b64 s[14:15], vcc
; %bb.1432:
	s_xor_b64 s[6:7], exec, -1
; %bb.1433:
	s_or_b64 exec, exec, s[14:15]
	s_and_b64 s[6:7], s[6:7], exec
	s_or_saveexec_b64 s[12:13], s[12:13]
	v_mov_b32_e32 v10, 0x7f800001
	s_xor_b64 exec, exec, s[12:13]
	s_cbranch_execnz .LBB64_1452
.LBB64_1434:
	s_or_b64 exec, exec, s[12:13]
	s_and_saveexec_b64 s[12:13], s[6:7]
	s_cbranch_execz .LBB64_1436
.LBB64_1435:
	v_lshlrev_b32_e32 v10, 24, v5
	v_and_b32_e32 v5, 0xffff, v5
	v_and_b32_e32 v11, 7, v5
	v_ffbh_u32_e32 v13, v11
	v_min_u32_e32 v13, 32, v13
	v_subrev_u32_e32 v14, 28, v13
	v_bfe_u32 v12, v5, 3, 4
	v_lshlrev_b32_e32 v5, v14, v5
	v_sub_u32_e32 v13, 29, v13
	v_and_b32_e32 v5, 7, v5
	v_cmp_eq_u32_e32 vcc, 0, v12
	v_cndmask_b32_e32 v12, v12, v13, vcc
	v_cndmask_b32_e32 v5, v11, v5, vcc
	v_mov_b32_e32 v11, 0x3b800000
	v_lshlrev_b32_e32 v5, 20, v5
	v_and_b32_e32 v10, 0x80000000, v10
	v_lshl_add_u32 v11, v12, 23, v11
	v_or3_b32 v10, v10, v11, v5
.LBB64_1436:
	s_or_b64 exec, exec, s[12:13]
	v_bfe_u32 v5, v10, 16, 1
	s_movk_i32 s6, 0x7fff
	v_add3_u32 v5, v10, v5, s6
	v_cmp_o_f32_e32 vcc, v10, v10
	v_mov_b32_e32 v10, 0x7fc0
	v_cndmask_b32_sdwa v10, v10, v5, vcc dst_sel:DWORD dst_unused:UNUSED_PAD src0_sel:DWORD src1_sel:WORD_1
.LBB64_1437:
	s_mov_b64 s[6:7], -1
.LBB64_1438:
	s_mov_b64 s[12:13], 0
.LBB64_1439:
	s_and_b64 vcc, exec, s[12:13]
	s_cbranch_vccz .LBB64_1472
; %bb.1440:
	s_cmp_gt_i32 s18, 22
	s_cbranch_scc0 .LBB64_1450
; %bb.1441:
	s_cmp_lt_i32 s18, 24
	s_cbranch_scc1 .LBB64_1453
; %bb.1442:
	s_cmp_gt_i32 s18, 24
	s_cbranch_scc0 .LBB64_1454
; %bb.1443:
	global_load_ubyte v5, v[8:9], off
	s_movk_i32 s4, 0x7f
	s_waitcnt vmcnt(0)
	v_cmp_lt_i16_e32 vcc, s4, v5
	s_mov_b64 s[4:5], 0
	s_and_saveexec_b64 s[6:7], vcc
	s_xor_b64 s[6:7], exec, s[6:7]
	s_cbranch_execz .LBB64_1466
; %bb.1444:
	s_movk_i32 s4, 0x80
	v_cmp_eq_u16_e32 vcc, s4, v5
	s_mov_b64 s[4:5], -1
	s_and_saveexec_b64 s[12:13], vcc
; %bb.1445:
	s_xor_b64 s[4:5], exec, -1
; %bb.1446:
	s_or_b64 exec, exec, s[12:13]
	s_and_b64 s[4:5], s[4:5], exec
	s_or_saveexec_b64 s[6:7], s[6:7]
	v_mov_b32_e32 v10, 0x7f800001
	s_xor_b64 exec, exec, s[6:7]
	s_cbranch_execnz .LBB64_1467
.LBB64_1447:
	s_or_b64 exec, exec, s[6:7]
	s_and_saveexec_b64 s[6:7], s[4:5]
	s_cbranch_execz .LBB64_1449
.LBB64_1448:
	v_lshlrev_b32_e32 v10, 24, v5
	v_and_b32_e32 v5, 0xffff, v5
	v_and_b32_e32 v11, 3, v5
	v_ffbh_u32_e32 v13, v11
	v_min_u32_e32 v13, 32, v13
	v_subrev_u32_e32 v14, 29, v13
	v_bfe_u32 v12, v5, 2, 5
	v_lshlrev_b32_e32 v5, v14, v5
	v_sub_u32_e32 v13, 30, v13
	v_and_b32_e32 v5, 3, v5
	v_cmp_eq_u32_e32 vcc, 0, v12
	v_cndmask_b32_e32 v12, v12, v13, vcc
	v_cndmask_b32_e32 v5, v11, v5, vcc
	v_mov_b32_e32 v11, 0x37800000
	v_lshlrev_b32_e32 v5, 21, v5
	v_and_b32_e32 v10, 0x80000000, v10
	v_lshl_add_u32 v11, v12, 23, v11
	v_or3_b32 v10, v10, v11, v5
.LBB64_1449:
	s_or_b64 exec, exec, s[6:7]
	v_bfe_u32 v5, v10, 16, 1
	s_movk_i32 s4, 0x7fff
	v_add3_u32 v5, v10, v5, s4
	v_cmp_o_f32_e32 vcc, v10, v10
	v_mov_b32_e32 v10, 0x7fc0
	v_cndmask_b32_sdwa v10, v10, v5, vcc dst_sel:DWORD dst_unused:UNUSED_PAD src0_sel:DWORD src1_sel:WORD_1
	s_mov_b64 s[4:5], 0
	s_branch .LBB64_1455
.LBB64_1450:
	s_mov_b64 s[4:5], -1
                                        ; implicit-def: $vgpr10
	s_branch .LBB64_1461
.LBB64_1451:
	s_or_saveexec_b64 s[12:13], s[12:13]
	v_mov_b32_e32 v10, 0x7f800001
	s_xor_b64 exec, exec, s[12:13]
	s_cbranch_execz .LBB64_1434
.LBB64_1452:
	v_cmp_ne_u16_e32 vcc, 0, v5
	s_andn2_b64 s[6:7], s[6:7], exec
	s_and_b64 s[14:15], vcc, exec
	v_mov_b32_e32 v10, 0
	s_or_b64 s[6:7], s[6:7], s[14:15]
	s_or_b64 exec, exec, s[12:13]
	s_and_saveexec_b64 s[12:13], s[6:7]
	s_cbranch_execnz .LBB64_1435
	s_branch .LBB64_1436
.LBB64_1453:
	s_mov_b64 s[4:5], -1
                                        ; implicit-def: $vgpr10
	s_branch .LBB64_1458
.LBB64_1454:
	s_mov_b64 s[4:5], -1
                                        ; implicit-def: $vgpr10
.LBB64_1455:
	s_and_b64 vcc, exec, s[4:5]
	s_cbranch_vccz .LBB64_1457
; %bb.1456:
	global_load_ubyte v5, v[8:9], off
	s_mov_b32 s4, 0x7f800000
	s_brev_b32 s5, 1
	s_movk_i32 s6, 0x7fff
	s_waitcnt vmcnt(0)
	v_lshlrev_b32_e32 v5, 24, v5
	v_and_b32_e32 v10, 0x7f000000, v5
	v_ffbh_u32_e32 v11, v10
	v_min_u32_e32 v11, 32, v11
	v_sub_u32_e64 v11, v11, 4 clamp
	v_lshlrev_b32_e32 v13, v11, v10
	v_lshlrev_b32_e32 v11, 23, v11
	v_lshrrev_b32_e32 v13, 4, v13
	v_add_u32_e32 v12, 0x1000000, v10
	v_sub_u32_e32 v11, v13, v11
	v_ashrrev_i32_e32 v12, 8, v12
	v_add_u32_e32 v11, 0x3c000000, v11
	v_and_or_b32 v11, v12, s4, v11
	v_cmp_ne_u32_e32 vcc, 0, v10
	v_cndmask_b32_e32 v10, 0, v11, vcc
	v_and_or_b32 v5, v5, s5, v10
	v_bfe_u32 v10, v10, 16, 1
	v_add3_u32 v10, v5, v10, s6
	v_cmp_o_f32_e32 vcc, v5, v5
	v_mov_b32_e32 v5, 0x7fc0
	v_cndmask_b32_sdwa v10, v5, v10, vcc dst_sel:DWORD dst_unused:UNUSED_PAD src0_sel:DWORD src1_sel:WORD_1
.LBB64_1457:
	s_mov_b64 s[4:5], 0
.LBB64_1458:
	s_andn2_b64 vcc, exec, s[4:5]
	s_cbranch_vccnz .LBB64_1460
; %bb.1459:
	global_load_ubyte v5, v[8:9], off
	s_movk_i32 s4, 0x7f00
	s_brev_b32 s5, 16
	s_brev_b32 s6, 1
	s_movk_i32 s7, 0x7fff
	s_waitcnt vmcnt(0)
	v_lshlrev_b16_e32 v10, 8, v5
	v_lshlrev_b32_e32 v5, 25, v5
	v_lshrrev_b32_e32 v11, 4, v5
	v_and_or_b32 v12, v10, s4, 0.5
	v_or_b32_e32 v11, 0x70000000, v11
	v_add_f32_e32 v12, -0.5, v12
	v_mul_f32_e32 v11, 0x7800000, v11
	v_cmp_gt_u32_e32 vcc, s5, v5
	v_bfe_i32 v10, v10, 0, 16
	v_cndmask_b32_e32 v5, v11, v12, vcc
	v_and_or_b32 v10, v10, s6, v5
	v_bfe_u32 v5, v5, 16, 1
	v_add3_u32 v5, v10, v5, s7
	v_cmp_o_f32_e32 vcc, v10, v10
	v_mov_b32_e32 v10, 0x7fc0
	v_cndmask_b32_sdwa v10, v10, v5, vcc dst_sel:DWORD dst_unused:UNUSED_PAD src0_sel:DWORD src1_sel:WORD_1
.LBB64_1460:
	s_mov_b64 s[4:5], 0
	s_mov_b64 s[6:7], -1
.LBB64_1461:
	s_andn2_b64 vcc, exec, s[4:5]
	s_mov_b64 s[4:5], 0
	s_cbranch_vccnz .LBB64_1472
; %bb.1462:
	s_cmp_gt_i32 s18, 14
	s_cbranch_scc0 .LBB64_1465
; %bb.1463:
	s_cmp_eq_u32 s18, 15
	s_cbranch_scc0 .LBB64_1468
; %bb.1464:
	global_load_ushort v10, v[8:9], off
	s_mov_b64 s[0:1], 0
	s_mov_b64 s[6:7], -1
	s_branch .LBB64_1469
.LBB64_1465:
	s_mov_b64 s[12:13], -1
                                        ; implicit-def: $vgpr10
	s_branch .LBB64_1470
.LBB64_1466:
	s_or_saveexec_b64 s[6:7], s[6:7]
	v_mov_b32_e32 v10, 0x7f800001
	s_xor_b64 exec, exec, s[6:7]
	s_cbranch_execz .LBB64_1447
.LBB64_1467:
	v_cmp_ne_u16_e32 vcc, 0, v5
	s_andn2_b64 s[4:5], s[4:5], exec
	s_and_b64 s[12:13], vcc, exec
	v_mov_b32_e32 v10, 0
	s_or_b64 s[4:5], s[4:5], s[12:13]
	s_or_b64 exec, exec, s[6:7]
	s_and_saveexec_b64 s[6:7], s[4:5]
	s_cbranch_execnz .LBB64_1448
	s_branch .LBB64_1449
.LBB64_1468:
	s_mov_b64 s[0:1], -1
                                        ; implicit-def: $vgpr10
.LBB64_1469:
	s_mov_b64 s[12:13], 0
.LBB64_1470:
	s_and_b64 vcc, exec, s[12:13]
	s_cbranch_vccz .LBB64_1472
; %bb.1471:
	s_cmp_lg_u32 s18, 11
	s_mov_b64 s[4:5], -1
	s_cselect_b64 s[0:1], -1, 0
.LBB64_1472:
	s_and_b64 vcc, exec, s[0:1]
	s_cbranch_vccnz .LBB64_1535
; %bb.1473:
	s_andn2_b64 vcc, exec, s[4:5]
	s_cbranch_vccnz .LBB64_1475
.LBB64_1474:
	global_load_ubyte v5, v[8:9], off
	s_mov_b64 s[6:7], -1
	s_waitcnt vmcnt(0)
	v_cmp_ne_u16_e32 vcc, 0, v5
	v_cndmask_b32_e64 v5, 0, 1.0, vcc
	v_lshrrev_b32_e32 v10, 16, v5
.LBB64_1475:
	s_branch .LBB64_1403
.LBB64_1476:
	s_and_b32 s4, 0xffff, s17
	s_cmp_lt_i32 s4, 5
	s_cbranch_scc1 .LBB64_1481
; %bb.1477:
	s_cmp_lt_i32 s4, 8
	s_cbranch_scc1 .LBB64_1482
; %bb.1478:
	s_cmp_lt_i32 s4, 9
	s_cbranch_scc1 .LBB64_1483
; %bb.1479:
	s_cmp_gt_i32 s4, 9
	s_cbranch_scc0 .LBB64_1484
; %bb.1480:
	global_load_dwordx2 v[10:11], v[8:9], off
	s_movk_i32 s0, 0x7fff
	s_waitcnt vmcnt(0)
	v_cvt_f32_f64_e32 v5, v[10:11]
	v_mov_b32_e32 v10, 0x7fc0
	v_bfe_u32 v11, v5, 16, 1
	v_cmp_o_f32_e32 vcc, v5, v5
	v_add3_u32 v5, v5, v11, s0
	v_cndmask_b32_sdwa v10, v10, v5, vcc dst_sel:DWORD dst_unused:UNUSED_PAD src0_sel:DWORD src1_sel:WORD_1
	s_mov_b64 s[0:1], 0
	s_branch .LBB64_1485
.LBB64_1481:
	s_mov_b64 s[0:1], -1
                                        ; implicit-def: $vgpr10
	s_branch .LBB64_1503
.LBB64_1482:
	s_mov_b64 s[0:1], -1
                                        ; implicit-def: $vgpr10
	s_branch .LBB64_1491
.LBB64_1483:
	s_mov_b64 s[0:1], -1
                                        ; implicit-def: $vgpr10
	s_branch .LBB64_1488
.LBB64_1484:
	s_mov_b64 s[0:1], -1
                                        ; implicit-def: $vgpr10
.LBB64_1485:
	s_andn2_b64 vcc, exec, s[0:1]
	s_cbranch_vccnz .LBB64_1487
; %bb.1486:
	global_load_dword v5, v[8:9], off
	s_movk_i32 s0, 0x7fff
	s_waitcnt vmcnt(1)
	v_mov_b32_e32 v10, 0x7fc0
	s_waitcnt vmcnt(0)
	v_bfe_u32 v11, v5, 16, 1
	v_cmp_o_f32_e32 vcc, v5, v5
	v_add3_u32 v5, v5, v11, s0
	v_cndmask_b32_sdwa v10, v10, v5, vcc dst_sel:DWORD dst_unused:UNUSED_PAD src0_sel:DWORD src1_sel:WORD_1
.LBB64_1487:
	s_mov_b64 s[0:1], 0
.LBB64_1488:
	s_andn2_b64 vcc, exec, s[0:1]
	s_cbranch_vccnz .LBB64_1490
; %bb.1489:
	global_load_dword v5, v[8:9], off
	s_movk_i32 s0, 0x7fff
	v_mov_b32_e32 v11, 0x7fc0
	s_waitcnt vmcnt(0)
	v_cvt_f32_f16_e32 v10, v5
	v_cmp_o_f16_e32 vcc, v5, v5
	v_bfe_u32 v5, v10, 16, 1
	v_add3_u32 v5, v10, v5, s0
	v_cndmask_b32_sdwa v10, v11, v5, vcc dst_sel:DWORD dst_unused:UNUSED_PAD src0_sel:DWORD src1_sel:WORD_1
.LBB64_1490:
	s_mov_b64 s[0:1], 0
.LBB64_1491:
	s_andn2_b64 vcc, exec, s[0:1]
	s_cbranch_vccnz .LBB64_1502
; %bb.1492:
	s_cmp_lt_i32 s4, 6
	s_cbranch_scc1 .LBB64_1495
; %bb.1493:
	s_cmp_gt_i32 s4, 6
	s_cbranch_scc0 .LBB64_1496
; %bb.1494:
	global_load_dwordx2 v[10:11], v[8:9], off
	s_movk_i32 s0, 0x7fff
	s_waitcnt vmcnt(0)
	v_cvt_f32_f64_e32 v5, v[10:11]
	v_mov_b32_e32 v10, 0x7fc0
	v_bfe_u32 v11, v5, 16, 1
	v_cmp_o_f32_e32 vcc, v5, v5
	v_add3_u32 v5, v5, v11, s0
	v_cndmask_b32_sdwa v10, v10, v5, vcc dst_sel:DWORD dst_unused:UNUSED_PAD src0_sel:DWORD src1_sel:WORD_1
	s_mov_b64 s[0:1], 0
	s_branch .LBB64_1497
.LBB64_1495:
	s_mov_b64 s[0:1], -1
                                        ; implicit-def: $vgpr10
	s_branch .LBB64_1500
.LBB64_1496:
	s_mov_b64 s[0:1], -1
                                        ; implicit-def: $vgpr10
.LBB64_1497:
	s_andn2_b64 vcc, exec, s[0:1]
	s_cbranch_vccnz .LBB64_1499
; %bb.1498:
	global_load_dword v5, v[8:9], off
	s_movk_i32 s0, 0x7fff
	s_waitcnt vmcnt(1)
	v_mov_b32_e32 v10, 0x7fc0
	s_waitcnt vmcnt(0)
	v_bfe_u32 v11, v5, 16, 1
	v_cmp_o_f32_e32 vcc, v5, v5
	v_add3_u32 v5, v5, v11, s0
	v_cndmask_b32_sdwa v10, v10, v5, vcc dst_sel:DWORD dst_unused:UNUSED_PAD src0_sel:DWORD src1_sel:WORD_1
.LBB64_1499:
	s_mov_b64 s[0:1], 0
.LBB64_1500:
	s_andn2_b64 vcc, exec, s[0:1]
	s_cbranch_vccnz .LBB64_1502
; %bb.1501:
	global_load_ushort v5, v[8:9], off
	s_movk_i32 s0, 0x7fff
	v_mov_b32_e32 v11, 0x7fc0
	s_waitcnt vmcnt(0)
	v_cvt_f32_f16_e32 v10, v5
	v_cmp_o_f16_e32 vcc, v5, v5
	v_bfe_u32 v5, v10, 16, 1
	v_add3_u32 v5, v10, v5, s0
	v_cndmask_b32_sdwa v10, v11, v5, vcc dst_sel:DWORD dst_unused:UNUSED_PAD src0_sel:DWORD src1_sel:WORD_1
.LBB64_1502:
	s_mov_b64 s[0:1], 0
.LBB64_1503:
	s_andn2_b64 vcc, exec, s[0:1]
	s_cbranch_vccnz .LBB64_1523
; %bb.1504:
	s_cmp_lt_i32 s4, 2
	s_cbranch_scc1 .LBB64_1508
; %bb.1505:
	s_cmp_lt_i32 s4, 3
	s_cbranch_scc1 .LBB64_1509
; %bb.1506:
	s_cmp_gt_i32 s4, 3
	s_cbranch_scc0 .LBB64_1510
; %bb.1507:
	global_load_dwordx2 v[10:11], v[8:9], off
	s_movk_i32 s0, 0x7fff
	s_waitcnt vmcnt(0)
	v_xor_b32_e32 v12, v10, v11
	v_ffbh_i32_e32 v5, v11
	v_ashrrev_i32_e32 v12, 31, v12
	v_add_u32_e32 v5, -1, v5
	v_add_u32_e32 v12, 32, v12
	v_min_u32_e32 v5, v5, v12
	v_lshlrev_b64 v[10:11], v5, v[10:11]
	v_sub_u32_e32 v5, 32, v5
	v_min_u32_e32 v10, 1, v10
	v_or_b32_e32 v10, v11, v10
	v_cvt_f32_i32_e32 v10, v10
	v_ldexp_f32 v5, v10, v5
	v_bfe_u32 v10, v5, 16, 1
	v_add3_u32 v5, v5, v10, s0
	v_lshrrev_b32_e32 v10, 16, v5
	s_mov_b64 s[0:1], 0
	s_branch .LBB64_1511
.LBB64_1508:
	s_mov_b64 s[0:1], -1
                                        ; implicit-def: $vgpr10
	s_branch .LBB64_1517
.LBB64_1509:
	s_mov_b64 s[0:1], -1
                                        ; implicit-def: $vgpr10
	s_branch .LBB64_1514
.LBB64_1510:
	s_mov_b64 s[0:1], -1
                                        ; implicit-def: $vgpr10
.LBB64_1511:
	s_andn2_b64 vcc, exec, s[0:1]
	s_cbranch_vccnz .LBB64_1513
; %bb.1512:
	global_load_dword v5, v[8:9], off
	s_movk_i32 s0, 0x7fff
	s_waitcnt vmcnt(0)
	v_cvt_f32_i32_e32 v5, v5
	v_bfe_u32 v10, v5, 16, 1
	v_add3_u32 v5, v5, v10, s0
	v_lshrrev_b32_e32 v10, 16, v5
.LBB64_1513:
	s_mov_b64 s[0:1], 0
.LBB64_1514:
	s_andn2_b64 vcc, exec, s[0:1]
	s_cbranch_vccnz .LBB64_1516
; %bb.1515:
	global_load_sshort v5, v[8:9], off
	s_movk_i32 s0, 0x7fff
	s_waitcnt vmcnt(0)
	v_cvt_f32_i32_e32 v5, v5
	v_bfe_u32 v10, v5, 16, 1
	v_add3_u32 v5, v5, v10, s0
	v_lshrrev_b32_e32 v10, 16, v5
.LBB64_1516:
	s_mov_b64 s[0:1], 0
.LBB64_1517:
	s_andn2_b64 vcc, exec, s[0:1]
	s_cbranch_vccnz .LBB64_1523
; %bb.1518:
	s_cmp_gt_i32 s4, 0
	s_cbranch_scc0 .LBB64_1520
; %bb.1519:
	global_load_sbyte v5, v[8:9], off
	s_movk_i32 s0, 0x7fff
	s_waitcnt vmcnt(0)
	v_cvt_f32_i32_e32 v5, v5
	v_bfe_u32 v10, v5, 16, 1
	v_add3_u32 v5, v5, v10, s0
	v_lshrrev_b32_e32 v10, 16, v5
	s_mov_b64 s[0:1], 0
	s_branch .LBB64_1521
.LBB64_1520:
	s_mov_b64 s[0:1], -1
                                        ; implicit-def: $vgpr10
.LBB64_1521:
	s_andn2_b64 vcc, exec, s[0:1]
	s_cbranch_vccnz .LBB64_1523
; %bb.1522:
	global_load_ubyte v5, v[8:9], off
	s_movk_i32 s0, 0x7fff
	s_waitcnt vmcnt(0)
	v_cvt_f32_ubyte0_e32 v5, v5
	v_bfe_u32 v8, v5, 16, 1
	v_add3_u32 v5, v5, v8, s0
	v_lshrrev_b32_e32 v10, 16, v5
.LBB64_1523:
.LBB64_1524:
	v_mov_b32_e32 v5, s11
	v_add_co_u32_e32 v7, vcc, s10, v7
	s_cmp_lt_i32 s17, 11
	v_addc_co_u32_e32 v8, vcc, 0, v5, vcc
	s_cbranch_scc1 .LBB64_1531
; %bb.1525:
	s_and_b32 s14, 0xffff, s17
	s_cmp_gt_i32 s14, 25
	s_mov_b64 s[4:5], 0
	s_cbranch_scc0 .LBB64_1532
; %bb.1526:
	s_cmp_gt_i32 s14, 28
	s_cbranch_scc0 .LBB64_1533
; %bb.1527:
	s_cmp_gt_i32 s14, 43
	;; [unrolled: 3-line block ×3, first 2 shown]
	s_cbranch_scc0 .LBB64_1536
; %bb.1529:
	s_cmp_eq_u32 s14, 46
	s_mov_b64 s[10:11], 0
	s_cbranch_scc0 .LBB64_1537
; %bb.1530:
	global_load_dword v9, v[7:8], off
	s_mov_b64 s[0:1], 0
	s_mov_b64 s[6:7], -1
	s_branch .LBB64_1538
.LBB64_1531:
	s_mov_b64 s[0:1], -1
	s_mov_b64 s[6:7], 0
                                        ; implicit-def: $vgpr9
	s_branch .LBB64_1604
.LBB64_1532:
	s_mov_b64 s[10:11], -1
	s_mov_b64 s[6:7], 0
	s_mov_b64 s[0:1], 0
                                        ; implicit-def: $vgpr9
	s_branch .LBB64_1567
.LBB64_1533:
	s_mov_b64 s[10:11], -1
	s_mov_b64 s[6:7], 0
	s_mov_b64 s[0:1], 0
                                        ; implicit-def: $vgpr9
	s_branch .LBB64_1548
.LBB64_1534:
	s_mov_b64 s[10:11], -1
	s_mov_b64 s[6:7], 0
	s_mov_b64 s[0:1], 0
                                        ; implicit-def: $vgpr9
	s_branch .LBB64_1543
.LBB64_1535:
	s_trap 2
	s_or_b64 s[2:3], s[2:3], exec
	s_cbranch_execz .LBB64_1474
	s_branch .LBB64_1475
.LBB64_1536:
	s_mov_b64 s[10:11], -1
	s_mov_b64 s[6:7], 0
	s_mov_b64 s[0:1], 0
                                        ; implicit-def: $vgpr9
	s_branch .LBB64_1538
.LBB64_1537:
	s_mov_b64 s[0:1], -1
                                        ; implicit-def: $vgpr9
	s_mov_b64 s[6:7], 0
.LBB64_1538:
	s_and_b64 vcc, exec, s[10:11]
	s_cbranch_vccz .LBB64_1542
; %bb.1539:
	s_cmp_eq_u32 s14, 44
	s_cbranch_scc0 .LBB64_1541
; %bb.1540:
	global_load_ubyte v5, v[7:8], off
	s_movk_i32 s6, 0xff
	s_waitcnt vmcnt(1)
	v_mov_b32_e32 v9, 0x7f800001
	v_mov_b32_e32 v11, 0x400000
	;; [unrolled: 1-line block ×3, first 2 shown]
	s_mov_b64 s[0:1], 0
	s_waitcnt vmcnt(0)
	v_lshlrev_b32_e32 v13, 23, v5
	v_cmp_ne_u32_e32 vcc, s6, v5
	v_cndmask_b32_e32 v9, v9, v13, vcc
	v_cmp_ne_u32_e32 vcc, 0, v5
	v_cndmask_b32_e32 v5, v11, v9, vcc
	v_add_u32_e32 v9, 0x7fff, v5
	v_cmp_o_f32_e32 vcc, v5, v5
	v_cndmask_b32_sdwa v9, v12, v9, vcc dst_sel:DWORD dst_unused:UNUSED_PAD src0_sel:DWORD src1_sel:WORD_1
	s_mov_b64 s[6:7], -1
	s_branch .LBB64_1542
.LBB64_1541:
	s_mov_b64 s[0:1], -1
                                        ; implicit-def: $vgpr9
.LBB64_1542:
	s_mov_b64 s[10:11], 0
.LBB64_1543:
	s_and_b64 vcc, exec, s[10:11]
	s_cbranch_vccz .LBB64_1547
; %bb.1544:
	s_cmp_eq_u32 s14, 29
	s_cbranch_scc0 .LBB64_1546
; %bb.1545:
	global_load_dwordx2 v[11:12], v[7:8], off
	s_movk_i32 s6, 0x7fff
	s_mov_b64 s[0:1], 0
	s_mov_b64 s[10:11], 0
	s_waitcnt vmcnt(0)
	v_ffbh_u32_e32 v5, v12
	v_min_u32_e32 v5, 32, v5
	v_lshlrev_b64 v[11:12], v5, v[11:12]
	v_sub_u32_e32 v5, 32, v5
	v_min_u32_e32 v9, 1, v11
	v_or_b32_e32 v9, v12, v9
	v_cvt_f32_u32_e32 v9, v9
	v_ldexp_f32 v5, v9, v5
	v_bfe_u32 v9, v5, 16, 1
	v_add3_u32 v5, v5, v9, s6
	v_lshrrev_b32_e32 v9, 16, v5
	s_mov_b64 s[6:7], -1
	s_branch .LBB64_1548
.LBB64_1546:
	s_mov_b64 s[0:1], -1
                                        ; implicit-def: $vgpr9
.LBB64_1547:
	s_mov_b64 s[10:11], 0
.LBB64_1548:
	s_and_b64 vcc, exec, s[10:11]
	s_cbranch_vccz .LBB64_1566
; %bb.1549:
	s_cmp_lt_i32 s14, 27
	s_cbranch_scc1 .LBB64_1552
; %bb.1550:
	s_cmp_gt_i32 s14, 27
	s_cbranch_scc0 .LBB64_1553
; %bb.1551:
	global_load_dword v5, v[7:8], off
	s_movk_i32 s6, 0x7fff
	s_waitcnt vmcnt(0)
	v_cvt_f32_u32_e32 v5, v5
	v_bfe_u32 v9, v5, 16, 1
	v_add3_u32 v5, v5, v9, s6
	v_lshrrev_b32_e32 v9, 16, v5
	s_mov_b64 s[6:7], 0
	s_branch .LBB64_1554
.LBB64_1552:
	s_mov_b64 s[6:7], -1
                                        ; implicit-def: $vgpr9
	s_branch .LBB64_1557
.LBB64_1553:
	s_mov_b64 s[6:7], -1
                                        ; implicit-def: $vgpr9
.LBB64_1554:
	s_andn2_b64 vcc, exec, s[6:7]
	s_cbranch_vccnz .LBB64_1556
; %bb.1555:
	global_load_ushort v5, v[7:8], off
	s_movk_i32 s6, 0x7fff
	s_waitcnt vmcnt(0)
	v_cvt_f32_u32_e32 v5, v5
	v_bfe_u32 v9, v5, 16, 1
	v_add3_u32 v5, v5, v9, s6
	v_lshrrev_b32_e32 v9, 16, v5
.LBB64_1556:
	s_mov_b64 s[6:7], 0
.LBB64_1557:
	s_andn2_b64 vcc, exec, s[6:7]
	s_cbranch_vccnz .LBB64_1565
; %bb.1558:
	global_load_ubyte v5, v[7:8], off
	s_movk_i32 s6, 0x7f
	s_waitcnt vmcnt(0)
	v_cmp_lt_i16_e32 vcc, s6, v5
	s_mov_b64 s[6:7], 0
	s_and_saveexec_b64 s[10:11], vcc
	s_xor_b64 s[10:11], exec, s[10:11]
	s_cbranch_execz .LBB64_1579
; %bb.1559:
	s_movk_i32 s6, 0x80
	v_cmp_eq_u16_e32 vcc, s6, v5
	s_mov_b64 s[6:7], -1
	s_and_saveexec_b64 s[12:13], vcc
; %bb.1560:
	s_xor_b64 s[6:7], exec, -1
; %bb.1561:
	s_or_b64 exec, exec, s[12:13]
	s_and_b64 s[6:7], s[6:7], exec
	s_or_saveexec_b64 s[10:11], s[10:11]
	v_mov_b32_e32 v9, 0x7f800001
	s_xor_b64 exec, exec, s[10:11]
	s_cbranch_execnz .LBB64_1580
.LBB64_1562:
	s_or_b64 exec, exec, s[10:11]
	s_and_saveexec_b64 s[10:11], s[6:7]
	s_cbranch_execz .LBB64_1564
.LBB64_1563:
	v_lshlrev_b32_e32 v9, 24, v5
	v_and_b32_e32 v5, 0xffff, v5
	v_and_b32_e32 v11, 7, v5
	v_ffbh_u32_e32 v13, v11
	v_min_u32_e32 v13, 32, v13
	v_subrev_u32_e32 v14, 28, v13
	v_bfe_u32 v12, v5, 3, 4
	v_lshlrev_b32_e32 v5, v14, v5
	v_sub_u32_e32 v13, 29, v13
	v_and_b32_e32 v5, 7, v5
	v_cmp_eq_u32_e32 vcc, 0, v12
	v_cndmask_b32_e32 v12, v12, v13, vcc
	v_cndmask_b32_e32 v5, v11, v5, vcc
	v_mov_b32_e32 v11, 0x3b800000
	v_lshlrev_b32_e32 v5, 20, v5
	v_and_b32_e32 v9, 0x80000000, v9
	v_lshl_add_u32 v11, v12, 23, v11
	v_or3_b32 v9, v9, v11, v5
.LBB64_1564:
	s_or_b64 exec, exec, s[10:11]
	v_bfe_u32 v5, v9, 16, 1
	s_movk_i32 s6, 0x7fff
	v_add3_u32 v5, v9, v5, s6
	v_cmp_o_f32_e32 vcc, v9, v9
	v_mov_b32_e32 v9, 0x7fc0
	v_cndmask_b32_sdwa v9, v9, v5, vcc dst_sel:DWORD dst_unused:UNUSED_PAD src0_sel:DWORD src1_sel:WORD_1
.LBB64_1565:
	s_mov_b64 s[6:7], -1
.LBB64_1566:
	s_mov_b64 s[10:11], 0
.LBB64_1567:
	s_and_b64 vcc, exec, s[10:11]
	s_cbranch_vccz .LBB64_1600
; %bb.1568:
	s_cmp_gt_i32 s14, 22
	s_cbranch_scc0 .LBB64_1578
; %bb.1569:
	s_cmp_lt_i32 s14, 24
	s_cbranch_scc1 .LBB64_1581
; %bb.1570:
	s_cmp_gt_i32 s14, 24
	s_cbranch_scc0 .LBB64_1582
; %bb.1571:
	global_load_ubyte v5, v[7:8], off
	s_movk_i32 s4, 0x7f
	s_waitcnt vmcnt(0)
	v_cmp_lt_i16_e32 vcc, s4, v5
	s_mov_b64 s[4:5], 0
	s_and_saveexec_b64 s[6:7], vcc
	s_xor_b64 s[6:7], exec, s[6:7]
	s_cbranch_execz .LBB64_1594
; %bb.1572:
	s_movk_i32 s4, 0x80
	v_cmp_eq_u16_e32 vcc, s4, v5
	s_mov_b64 s[4:5], -1
	s_and_saveexec_b64 s[10:11], vcc
; %bb.1573:
	s_xor_b64 s[4:5], exec, -1
; %bb.1574:
	s_or_b64 exec, exec, s[10:11]
	s_and_b64 s[4:5], s[4:5], exec
	s_or_saveexec_b64 s[6:7], s[6:7]
	v_mov_b32_e32 v9, 0x7f800001
	s_xor_b64 exec, exec, s[6:7]
	s_cbranch_execnz .LBB64_1595
.LBB64_1575:
	s_or_b64 exec, exec, s[6:7]
	s_and_saveexec_b64 s[6:7], s[4:5]
	s_cbranch_execz .LBB64_1577
.LBB64_1576:
	v_lshlrev_b32_e32 v9, 24, v5
	v_and_b32_e32 v5, 0xffff, v5
	v_and_b32_e32 v11, 3, v5
	v_ffbh_u32_e32 v13, v11
	v_min_u32_e32 v13, 32, v13
	v_subrev_u32_e32 v14, 29, v13
	v_bfe_u32 v12, v5, 2, 5
	v_lshlrev_b32_e32 v5, v14, v5
	v_sub_u32_e32 v13, 30, v13
	v_and_b32_e32 v5, 3, v5
	v_cmp_eq_u32_e32 vcc, 0, v12
	v_cndmask_b32_e32 v12, v12, v13, vcc
	v_cndmask_b32_e32 v5, v11, v5, vcc
	v_mov_b32_e32 v11, 0x37800000
	v_lshlrev_b32_e32 v5, 21, v5
	v_and_b32_e32 v9, 0x80000000, v9
	v_lshl_add_u32 v11, v12, 23, v11
	v_or3_b32 v9, v9, v11, v5
.LBB64_1577:
	s_or_b64 exec, exec, s[6:7]
	v_bfe_u32 v5, v9, 16, 1
	s_movk_i32 s4, 0x7fff
	v_add3_u32 v5, v9, v5, s4
	v_cmp_o_f32_e32 vcc, v9, v9
	v_mov_b32_e32 v9, 0x7fc0
	v_cndmask_b32_sdwa v9, v9, v5, vcc dst_sel:DWORD dst_unused:UNUSED_PAD src0_sel:DWORD src1_sel:WORD_1
	s_mov_b64 s[4:5], 0
	s_branch .LBB64_1583
.LBB64_1578:
	s_mov_b64 s[4:5], -1
                                        ; implicit-def: $vgpr9
	s_branch .LBB64_1589
.LBB64_1579:
	s_or_saveexec_b64 s[10:11], s[10:11]
	v_mov_b32_e32 v9, 0x7f800001
	s_xor_b64 exec, exec, s[10:11]
	s_cbranch_execz .LBB64_1562
.LBB64_1580:
	v_cmp_ne_u16_e32 vcc, 0, v5
	s_andn2_b64 s[6:7], s[6:7], exec
	s_and_b64 s[12:13], vcc, exec
	v_mov_b32_e32 v9, 0
	s_or_b64 s[6:7], s[6:7], s[12:13]
	s_or_b64 exec, exec, s[10:11]
	s_and_saveexec_b64 s[10:11], s[6:7]
	s_cbranch_execnz .LBB64_1563
	s_branch .LBB64_1564
.LBB64_1581:
	s_mov_b64 s[4:5], -1
                                        ; implicit-def: $vgpr9
	s_branch .LBB64_1586
.LBB64_1582:
	s_mov_b64 s[4:5], -1
                                        ; implicit-def: $vgpr9
.LBB64_1583:
	s_and_b64 vcc, exec, s[4:5]
	s_cbranch_vccz .LBB64_1585
; %bb.1584:
	global_load_ubyte v5, v[7:8], off
	s_mov_b32 s4, 0x7f800000
	s_brev_b32 s5, 1
	s_movk_i32 s6, 0x7fff
	s_waitcnt vmcnt(0)
	v_lshlrev_b32_e32 v5, 24, v5
	v_and_b32_e32 v9, 0x7f000000, v5
	v_ffbh_u32_e32 v11, v9
	v_min_u32_e32 v11, 32, v11
	v_sub_u32_e64 v11, v11, 4 clamp
	v_lshlrev_b32_e32 v13, v11, v9
	v_lshlrev_b32_e32 v11, 23, v11
	v_lshrrev_b32_e32 v13, 4, v13
	v_add_u32_e32 v12, 0x1000000, v9
	v_sub_u32_e32 v11, v13, v11
	v_ashrrev_i32_e32 v12, 8, v12
	v_add_u32_e32 v11, 0x3c000000, v11
	v_and_or_b32 v11, v12, s4, v11
	v_cmp_ne_u32_e32 vcc, 0, v9
	v_cndmask_b32_e32 v9, 0, v11, vcc
	v_and_or_b32 v5, v5, s5, v9
	v_bfe_u32 v9, v9, 16, 1
	v_add3_u32 v9, v5, v9, s6
	v_cmp_o_f32_e32 vcc, v5, v5
	v_mov_b32_e32 v5, 0x7fc0
	v_cndmask_b32_sdwa v9, v5, v9, vcc dst_sel:DWORD dst_unused:UNUSED_PAD src0_sel:DWORD src1_sel:WORD_1
.LBB64_1585:
	s_mov_b64 s[4:5], 0
.LBB64_1586:
	s_andn2_b64 vcc, exec, s[4:5]
	s_cbranch_vccnz .LBB64_1588
; %bb.1587:
	global_load_ubyte v5, v[7:8], off
	s_movk_i32 s4, 0x7f00
	s_brev_b32 s5, 16
	s_brev_b32 s6, 1
	s_movk_i32 s7, 0x7fff
	s_waitcnt vmcnt(0)
	v_lshlrev_b16_e32 v9, 8, v5
	v_lshlrev_b32_e32 v5, 25, v5
	v_lshrrev_b32_e32 v11, 4, v5
	v_and_or_b32 v12, v9, s4, 0.5
	v_or_b32_e32 v11, 0x70000000, v11
	v_add_f32_e32 v12, -0.5, v12
	v_mul_f32_e32 v11, 0x7800000, v11
	v_cmp_gt_u32_e32 vcc, s5, v5
	v_bfe_i32 v9, v9, 0, 16
	v_cndmask_b32_e32 v5, v11, v12, vcc
	v_and_or_b32 v9, v9, s6, v5
	v_bfe_u32 v5, v5, 16, 1
	v_add3_u32 v5, v9, v5, s7
	v_cmp_o_f32_e32 vcc, v9, v9
	v_mov_b32_e32 v9, 0x7fc0
	v_cndmask_b32_sdwa v9, v9, v5, vcc dst_sel:DWORD dst_unused:UNUSED_PAD src0_sel:DWORD src1_sel:WORD_1
.LBB64_1588:
	s_mov_b64 s[4:5], 0
	s_mov_b64 s[6:7], -1
.LBB64_1589:
	s_andn2_b64 vcc, exec, s[4:5]
	s_mov_b64 s[4:5], 0
	s_cbranch_vccnz .LBB64_1600
; %bb.1590:
	s_cmp_gt_i32 s14, 14
	s_cbranch_scc0 .LBB64_1593
; %bb.1591:
	s_cmp_eq_u32 s14, 15
	s_cbranch_scc0 .LBB64_1596
; %bb.1592:
	global_load_ushort v9, v[7:8], off
	s_mov_b64 s[0:1], 0
	s_mov_b64 s[6:7], -1
	s_branch .LBB64_1597
.LBB64_1593:
	s_mov_b64 s[10:11], -1
                                        ; implicit-def: $vgpr9
	s_branch .LBB64_1598
.LBB64_1594:
	s_or_saveexec_b64 s[6:7], s[6:7]
	v_mov_b32_e32 v9, 0x7f800001
	s_xor_b64 exec, exec, s[6:7]
	s_cbranch_execz .LBB64_1575
.LBB64_1595:
	v_cmp_ne_u16_e32 vcc, 0, v5
	s_andn2_b64 s[4:5], s[4:5], exec
	s_and_b64 s[10:11], vcc, exec
	v_mov_b32_e32 v9, 0
	s_or_b64 s[4:5], s[4:5], s[10:11]
	s_or_b64 exec, exec, s[6:7]
	s_and_saveexec_b64 s[6:7], s[4:5]
	s_cbranch_execnz .LBB64_1576
	s_branch .LBB64_1577
.LBB64_1596:
	s_mov_b64 s[0:1], -1
                                        ; implicit-def: $vgpr9
.LBB64_1597:
	s_mov_b64 s[10:11], 0
.LBB64_1598:
	s_and_b64 vcc, exec, s[10:11]
	s_cbranch_vccz .LBB64_1600
; %bb.1599:
	s_cmp_lg_u32 s14, 11
	s_mov_b64 s[4:5], -1
	s_cselect_b64 s[0:1], -1, 0
.LBB64_1600:
	s_and_b64 vcc, exec, s[0:1]
	s_cbranch_vccnz .LBB64_2133
; %bb.1601:
	s_andn2_b64 vcc, exec, s[4:5]
	s_cbranch_vccnz .LBB64_1603
.LBB64_1602:
	global_load_ubyte v5, v[7:8], off
	s_mov_b64 s[6:7], -1
	s_waitcnt vmcnt(0)
	v_cmp_ne_u16_e32 vcc, 0, v5
	v_cndmask_b32_e64 v5, 0, 1.0, vcc
	v_lshrrev_b32_e32 v9, 16, v5
.LBB64_1603:
	s_mov_b64 s[0:1], 0
.LBB64_1604:
	s_and_b64 vcc, exec, s[0:1]
	s_cbranch_vccz .LBB64_1653
; %bb.1605:
	s_and_b32 s4, 0xffff, s17
	s_cmp_lt_i32 s4, 5
	s_cbranch_scc1 .LBB64_1610
; %bb.1606:
	s_cmp_lt_i32 s4, 8
	s_cbranch_scc1 .LBB64_1611
; %bb.1607:
	;; [unrolled: 3-line block ×3, first 2 shown]
	s_cmp_gt_i32 s4, 9
	s_cbranch_scc0 .LBB64_1613
; %bb.1609:
	global_load_dwordx2 v[11:12], v[7:8], off
	s_movk_i32 s0, 0x7fff
	s_waitcnt vmcnt(1)
	v_mov_b32_e32 v9, 0x7fc0
	s_waitcnt vmcnt(0)
	v_cvt_f32_f64_e32 v5, v[11:12]
	v_bfe_u32 v11, v5, 16, 1
	v_cmp_o_f32_e32 vcc, v5, v5
	v_add3_u32 v5, v5, v11, s0
	v_cndmask_b32_sdwa v9, v9, v5, vcc dst_sel:DWORD dst_unused:UNUSED_PAD src0_sel:DWORD src1_sel:WORD_1
	s_mov_b64 s[0:1], 0
	s_branch .LBB64_1614
.LBB64_1610:
	s_mov_b64 s[0:1], -1
                                        ; implicit-def: $vgpr9
	s_branch .LBB64_1632
.LBB64_1611:
	s_mov_b64 s[0:1], -1
                                        ; implicit-def: $vgpr9
	s_branch .LBB64_1620
.LBB64_1612:
	s_mov_b64 s[0:1], -1
                                        ; implicit-def: $vgpr9
	s_branch .LBB64_1617
.LBB64_1613:
	s_mov_b64 s[0:1], -1
                                        ; implicit-def: $vgpr9
.LBB64_1614:
	s_andn2_b64 vcc, exec, s[0:1]
	s_cbranch_vccnz .LBB64_1616
; %bb.1615:
	global_load_dword v5, v[7:8], off
	s_movk_i32 s0, 0x7fff
	s_waitcnt vmcnt(1)
	v_mov_b32_e32 v9, 0x7fc0
	s_waitcnt vmcnt(0)
	v_bfe_u32 v11, v5, 16, 1
	v_cmp_o_f32_e32 vcc, v5, v5
	v_add3_u32 v5, v5, v11, s0
	v_cndmask_b32_sdwa v9, v9, v5, vcc dst_sel:DWORD dst_unused:UNUSED_PAD src0_sel:DWORD src1_sel:WORD_1
.LBB64_1616:
	s_mov_b64 s[0:1], 0
.LBB64_1617:
	s_andn2_b64 vcc, exec, s[0:1]
	s_cbranch_vccnz .LBB64_1619
; %bb.1618:
	global_load_dword v5, v[7:8], off
	s_movk_i32 s0, 0x7fff
	v_mov_b32_e32 v11, 0x7fc0
	s_waitcnt vmcnt(0)
	v_cvt_f32_f16_e32 v9, v5
	v_cmp_o_f16_e32 vcc, v5, v5
	v_bfe_u32 v5, v9, 16, 1
	v_add3_u32 v5, v9, v5, s0
	v_cndmask_b32_sdwa v9, v11, v5, vcc dst_sel:DWORD dst_unused:UNUSED_PAD src0_sel:DWORD src1_sel:WORD_1
.LBB64_1619:
	s_mov_b64 s[0:1], 0
.LBB64_1620:
	s_andn2_b64 vcc, exec, s[0:1]
	s_cbranch_vccnz .LBB64_1631
; %bb.1621:
	s_cmp_lt_i32 s4, 6
	s_cbranch_scc1 .LBB64_1624
; %bb.1622:
	s_cmp_gt_i32 s4, 6
	s_cbranch_scc0 .LBB64_1625
; %bb.1623:
	global_load_dwordx2 v[11:12], v[7:8], off
	s_movk_i32 s0, 0x7fff
	s_waitcnt vmcnt(1)
	v_mov_b32_e32 v9, 0x7fc0
	s_waitcnt vmcnt(0)
	v_cvt_f32_f64_e32 v5, v[11:12]
	v_bfe_u32 v11, v5, 16, 1
	v_cmp_o_f32_e32 vcc, v5, v5
	v_add3_u32 v5, v5, v11, s0
	v_cndmask_b32_sdwa v9, v9, v5, vcc dst_sel:DWORD dst_unused:UNUSED_PAD src0_sel:DWORD src1_sel:WORD_1
	s_mov_b64 s[0:1], 0
	s_branch .LBB64_1626
.LBB64_1624:
	s_mov_b64 s[0:1], -1
                                        ; implicit-def: $vgpr9
	s_branch .LBB64_1629
.LBB64_1625:
	s_mov_b64 s[0:1], -1
                                        ; implicit-def: $vgpr9
.LBB64_1626:
	s_andn2_b64 vcc, exec, s[0:1]
	s_cbranch_vccnz .LBB64_1628
; %bb.1627:
	global_load_dword v5, v[7:8], off
	s_movk_i32 s0, 0x7fff
	s_waitcnt vmcnt(1)
	v_mov_b32_e32 v9, 0x7fc0
	s_waitcnt vmcnt(0)
	v_bfe_u32 v11, v5, 16, 1
	v_cmp_o_f32_e32 vcc, v5, v5
	v_add3_u32 v5, v5, v11, s0
	v_cndmask_b32_sdwa v9, v9, v5, vcc dst_sel:DWORD dst_unused:UNUSED_PAD src0_sel:DWORD src1_sel:WORD_1
.LBB64_1628:
	s_mov_b64 s[0:1], 0
.LBB64_1629:
	s_andn2_b64 vcc, exec, s[0:1]
	s_cbranch_vccnz .LBB64_1631
; %bb.1630:
	global_load_ushort v5, v[7:8], off
	s_movk_i32 s0, 0x7fff
	v_mov_b32_e32 v11, 0x7fc0
	s_waitcnt vmcnt(0)
	v_cvt_f32_f16_e32 v9, v5
	v_cmp_o_f16_e32 vcc, v5, v5
	v_bfe_u32 v5, v9, 16, 1
	v_add3_u32 v5, v9, v5, s0
	v_cndmask_b32_sdwa v9, v11, v5, vcc dst_sel:DWORD dst_unused:UNUSED_PAD src0_sel:DWORD src1_sel:WORD_1
.LBB64_1631:
	s_mov_b64 s[0:1], 0
.LBB64_1632:
	s_andn2_b64 vcc, exec, s[0:1]
	s_cbranch_vccnz .LBB64_1652
; %bb.1633:
	s_cmp_lt_i32 s4, 2
	s_cbranch_scc1 .LBB64_1637
; %bb.1634:
	s_cmp_lt_i32 s4, 3
	s_cbranch_scc1 .LBB64_1638
; %bb.1635:
	s_cmp_gt_i32 s4, 3
	s_cbranch_scc0 .LBB64_1639
; %bb.1636:
	global_load_dwordx2 v[11:12], v[7:8], off
	s_movk_i32 s0, 0x7fff
	s_waitcnt vmcnt(0)
	v_xor_b32_e32 v9, v11, v12
	v_ffbh_i32_e32 v5, v12
	v_ashrrev_i32_e32 v9, 31, v9
	v_add_u32_e32 v5, -1, v5
	v_add_u32_e32 v9, 32, v9
	v_min_u32_e32 v5, v5, v9
	v_lshlrev_b64 v[11:12], v5, v[11:12]
	v_sub_u32_e32 v5, 32, v5
	v_min_u32_e32 v9, 1, v11
	v_or_b32_e32 v9, v12, v9
	v_cvt_f32_i32_e32 v9, v9
	v_ldexp_f32 v5, v9, v5
	v_bfe_u32 v9, v5, 16, 1
	v_add3_u32 v5, v5, v9, s0
	v_lshrrev_b32_e32 v9, 16, v5
	s_mov_b64 s[0:1], 0
	s_branch .LBB64_1640
.LBB64_1637:
	s_mov_b64 s[0:1], -1
                                        ; implicit-def: $vgpr9
	s_branch .LBB64_1646
.LBB64_1638:
	s_mov_b64 s[0:1], -1
                                        ; implicit-def: $vgpr9
	s_branch .LBB64_1643
.LBB64_1639:
	s_mov_b64 s[0:1], -1
                                        ; implicit-def: $vgpr9
.LBB64_1640:
	s_andn2_b64 vcc, exec, s[0:1]
	s_cbranch_vccnz .LBB64_1642
; %bb.1641:
	global_load_dword v5, v[7:8], off
	s_movk_i32 s0, 0x7fff
	s_waitcnt vmcnt(0)
	v_cvt_f32_i32_e32 v5, v5
	v_bfe_u32 v9, v5, 16, 1
	v_add3_u32 v5, v5, v9, s0
	v_lshrrev_b32_e32 v9, 16, v5
.LBB64_1642:
	s_mov_b64 s[0:1], 0
.LBB64_1643:
	s_andn2_b64 vcc, exec, s[0:1]
	s_cbranch_vccnz .LBB64_1645
; %bb.1644:
	global_load_sshort v5, v[7:8], off
	s_movk_i32 s0, 0x7fff
	s_waitcnt vmcnt(0)
	v_cvt_f32_i32_e32 v5, v5
	v_bfe_u32 v9, v5, 16, 1
	v_add3_u32 v5, v5, v9, s0
	v_lshrrev_b32_e32 v9, 16, v5
.LBB64_1645:
	s_mov_b64 s[0:1], 0
.LBB64_1646:
	s_andn2_b64 vcc, exec, s[0:1]
	s_cbranch_vccnz .LBB64_1652
; %bb.1647:
	s_cmp_gt_i32 s4, 0
	s_cbranch_scc0 .LBB64_1649
; %bb.1648:
	global_load_sbyte v5, v[7:8], off
	s_movk_i32 s0, 0x7fff
	s_waitcnt vmcnt(0)
	v_cvt_f32_i32_e32 v5, v5
	v_bfe_u32 v9, v5, 16, 1
	v_add3_u32 v5, v5, v9, s0
	v_lshrrev_b32_e32 v9, 16, v5
	s_mov_b64 s[0:1], 0
	s_branch .LBB64_1650
.LBB64_1649:
	s_mov_b64 s[0:1], -1
                                        ; implicit-def: $vgpr9
.LBB64_1650:
	s_andn2_b64 vcc, exec, s[0:1]
	s_cbranch_vccnz .LBB64_1652
; %bb.1651:
	global_load_ubyte v5, v[7:8], off
	s_movk_i32 s0, 0x7fff
	s_waitcnt vmcnt(0)
	v_cvt_f32_ubyte0_e32 v5, v5
	v_bfe_u32 v7, v5, 16, 1
	v_add3_u32 v5, v5, v7, s0
	v_lshrrev_b32_e32 v9, 16, v5
.LBB64_1652:
	s_mov_b64 s[6:7], -1
.LBB64_1653:
	s_andn2_b64 vcc, exec, s[6:7]
	s_cbranch_vccnz .LBB64_2087
; %bb.1654:
	v_lshlrev_b32_e32 v1, 16, v1
	v_fma_f32 v5, |v1|, -0.5, 0.5
	v_mul_f32_e32 v7, v1, v1
	v_cmp_ge_f32_e64 vcc, |v1|, 0.5
	v_cndmask_b32_e32 v5, v7, v5, vcc
	v_mov_b32_e32 v7, 0x3c5fc5da
	v_fmac_f32_e32 v7, 0x3d1c21a7, v5
	v_mov_b32_e32 v8, 0x3d034c3c
	v_fmac_f32_e32 v8, v5, v7
	;; [unrolled: 2-line block ×4, first 2 shown]
	v_sqrt_f32_e32 v7, v5
	v_mov_b32_e32 v11, 0x3e2aaaac
	v_fmac_f32_e32 v11, v5, v8
	v_mul_f32_e32 v5, v5, v11
	v_fmac_f32_e32 v7, v7, v5
	v_add_f32_e32 v7, v7, v7
	v_sub_f32_e32 v7, 0x3fc90fdb, v7
	v_fma_f32 v5, |v1|, v5, |v1|
	v_cmp_lt_f32_e64 vcc, |v1|, 0.5
	v_cndmask_b32_e32 v5, v7, v5, vcc
	s_brev_b32 s0, -2
	v_bfi_b32 v1, s0, v5, v1
	v_bfe_u32 v5, v1, 16, 1
	s_movk_i32 s0, 0x7fff
	v_add3_u32 v5, v1, v5, s0
	v_cmp_o_f32_e32 vcc, v1, v1
	v_mov_b32_e32 v1, 0x7fc0
	s_bfe_u32 s14, s16, 0x80008
	v_cndmask_b32_sdwa v1, v1, v5, vcc dst_sel:DWORD dst_unused:UNUSED_PAD src0_sel:DWORD src1_sel:WORD_1
	v_mov_b32_e32 v7, s9
	v_add_co_u32_e32 v5, vcc, s8, v6
	s_cmp_lt_i32 s14, 11
	v_addc_co_u32_e32 v6, vcc, 0, v7, vcc
	s_cbranch_scc1 .LBB64_1732
; %bb.1655:
	s_and_b32 s15, 0xffff, s14
	s_mov_b64 s[10:11], -1
	s_mov_b64 s[4:5], 0
	s_cmp_gt_i32 s15, 25
	s_mov_b64 s[6:7], 0
	s_mov_b64 s[0:1], 0
	s_cbranch_scc0 .LBB64_1688
; %bb.1656:
	s_cmp_gt_i32 s15, 28
	s_cbranch_scc0 .LBB64_1671
; %bb.1657:
	s_cmp_gt_i32 s15, 43
	;; [unrolled: 3-line block ×3, first 2 shown]
	s_cbranch_scc0 .LBB64_1661
; %bb.1659:
	s_mov_b64 s[0:1], -1
	s_mov_b64 s[10:11], 0
	s_cmp_eq_u32 s15, 46
	s_cbranch_scc0 .LBB64_1661
; %bb.1660:
	v_and_b32_e32 v7, 0xffff, v1
	global_store_dword v[5:6], v7, off
	s_mov_b64 s[0:1], 0
	s_mov_b64 s[6:7], -1
.LBB64_1661:
	s_and_b64 vcc, exec, s[10:11]
	s_cbranch_vccz .LBB64_1666
; %bb.1662:
	s_cmp_eq_u32 s15, 44
	s_mov_b64 s[0:1], -1
	s_cbranch_scc0 .LBB64_1666
; %bb.1663:
	v_and_b32_e32 v8, 0xffff, v1
	v_bfe_u32 v7, v8, 7, 8
	s_movk_i32 s0, 0xff
	v_cmp_ne_u32_e32 vcc, s0, v7
	v_mov_b32_e32 v11, 0xff
	s_and_saveexec_b64 s[6:7], vcc
	s_cbranch_execz .LBB64_1665
; %bb.1664:
	v_lshlrev_b32_e32 v12, 16, v8
	s_mov_b32 s0, 0x3f0000
	v_lshrrev_b32_e32 v11, 7, v8
	v_and_b32_e32 v8, 64, v8
	v_and_or_b32 v7, v12, s0, v7
	v_cmp_ne_u32_e32 vcc, 0, v8
	v_cmp_ne_u32_e64 s[0:1], 0, v7
	s_and_b64 s[0:1], vcc, s[0:1]
	v_cndmask_b32_e64 v7, 0, 1, s[0:1]
	v_add_u32_e32 v11, v11, v7
.LBB64_1665:
	s_or_b64 exec, exec, s[6:7]
	s_mov_b64 s[0:1], 0
	s_mov_b64 s[6:7], -1
	global_store_byte v[5:6], v11, off
.LBB64_1666:
	s_mov_b64 s[10:11], 0
.LBB64_1667:
	s_and_b64 vcc, exec, s[10:11]
	s_cbranch_vccz .LBB64_1670
; %bb.1668:
	s_cmp_eq_u32 s15, 29
	s_mov_b64 s[0:1], -1
	s_cbranch_scc0 .LBB64_1670
; %bb.1669:
	v_lshlrev_b32_e32 v7, 16, v1
	v_trunc_f32_e32 v7, v7
	v_mul_f32_e32 v8, 0x2f800000, v7
	v_floor_f32_e32 v11, v8
	v_fmac_f32_e32 v7, 0xcf800000, v11
	v_cvt_u32_f32_e32 v8, v11
	v_cvt_u32_f32_e32 v7, v7
	s_mov_b64 s[0:1], 0
	s_mov_b64 s[6:7], -1
	global_store_dwordx2 v[5:6], v[7:8], off
.LBB64_1670:
	s_mov_b64 s[10:11], 0
.LBB64_1671:
	s_and_b64 vcc, exec, s[10:11]
	s_cbranch_vccz .LBB64_1687
; %bb.1672:
	s_cmp_lt_i32 s15, 27
	s_mov_b64 s[6:7], -1
	s_cbranch_scc1 .LBB64_1678
; %bb.1673:
	s_cmp_gt_i32 s15, 27
	s_cbranch_scc0 .LBB64_1675
; %bb.1674:
	v_lshlrev_b32_e32 v7, 16, v1
	v_cvt_u32_f32_e32 v7, v7
	s_mov_b64 s[6:7], 0
	global_store_dword v[5:6], v7, off
.LBB64_1675:
	s_andn2_b64 vcc, exec, s[6:7]
	s_cbranch_vccnz .LBB64_1677
; %bb.1676:
	v_lshlrev_b32_e32 v7, 16, v1
	v_cvt_u32_f32_e32 v7, v7
	global_store_short v[5:6], v7, off
.LBB64_1677:
	s_mov_b64 s[6:7], 0
.LBB64_1678:
	s_andn2_b64 vcc, exec, s[6:7]
	s_cbranch_vccnz .LBB64_1686
; %bb.1679:
	v_lshlrev_b32_e32 v11, 16, v1
	v_and_b32_e32 v8, 0x7fffffff, v11
	s_mov_b32 s6, 0x43800000
	v_cmp_gt_u32_e32 vcc, s6, v8
	v_mov_b32_e32 v12, 0x80
	s_and_saveexec_b64 s[6:7], vcc
	s_cbranch_execz .LBB64_1685
; %bb.1680:
	s_mov_b32 s10, 0x3bffffff
	v_and_b32_e32 v7, 0xffff, v1
	v_cmp_lt_u32_e32 vcc, s10, v8
	s_mov_b64 s[10:11], 0
                                        ; implicit-def: $vgpr8
	s_and_saveexec_b64 s[12:13], vcc
	s_xor_b64 s[12:13], exec, s[12:13]
	s_cbranch_execz .LBB64_2134
; %bb.1681:
	v_bfe_u32 v8, v7, 4, 1
	s_mov_b32 s17, 0x487ffff
	v_add3_u32 v8, v11, v8, s17
	s_mov_b64 s[10:11], exec
	v_lshrrev_b32_e32 v8, 20, v8
                                        ; implicit-def: $vgpr11
	s_andn2_saveexec_b64 s[12:13], s[12:13]
	s_cbranch_execnz .LBB64_2135
.LBB64_1682:
	s_or_b64 exec, exec, s[12:13]
	v_mov_b32_e32 v12, 0
	s_and_saveexec_b64 s[12:13], s[10:11]
.LBB64_1683:
	v_lshrrev_b32_e32 v7, 8, v7
	s_movk_i32 s10, 0x80
	v_and_or_b32 v12, v7, s10, v8
.LBB64_1684:
	s_or_b64 exec, exec, s[12:13]
.LBB64_1685:
	s_or_b64 exec, exec, s[6:7]
	global_store_byte v[5:6], v12, off
.LBB64_1686:
	s_mov_b64 s[6:7], -1
.LBB64_1687:
	s_mov_b64 s[10:11], 0
.LBB64_1688:
	s_and_b64 vcc, exec, s[10:11]
	s_cbranch_vccz .LBB64_1728
; %bb.1689:
	s_cmp_gt_i32 s15, 22
	s_mov_b64 s[4:5], -1
	s_cbranch_scc0 .LBB64_1721
; %bb.1690:
	s_cmp_lt_i32 s15, 24
	s_cbranch_scc1 .LBB64_1710
; %bb.1691:
	s_cmp_gt_i32 s15, 24
	s_cbranch_scc0 .LBB64_1699
; %bb.1692:
	v_lshlrev_b32_e32 v11, 16, v1
	v_and_b32_e32 v8, 0x7fffffff, v11
	s_mov_b32 s4, 0x47800000
	v_cmp_gt_u32_e32 vcc, s4, v8
	v_mov_b32_e32 v12, 0x80
	s_and_saveexec_b64 s[4:5], vcc
	s_cbranch_execz .LBB64_1698
; %bb.1693:
	s_mov_b32 s6, 0x37ffffff
	v_and_b32_e32 v7, 0xffff, v1
	v_cmp_lt_u32_e32 vcc, s6, v8
	s_mov_b64 s[6:7], 0
                                        ; implicit-def: $vgpr8
	s_and_saveexec_b64 s[10:11], vcc
	s_xor_b64 s[10:11], exec, s[10:11]
	s_cbranch_execz .LBB64_2137
; %bb.1694:
	v_bfe_u32 v8, v7, 5, 1
	s_mov_b32 s12, 0x88fffff
	v_add3_u32 v8, v11, v8, s12
	s_mov_b64 s[6:7], exec
	v_lshrrev_b32_e32 v8, 21, v8
                                        ; implicit-def: $vgpr11
	s_andn2_saveexec_b64 s[10:11], s[10:11]
	s_cbranch_execnz .LBB64_2138
.LBB64_1695:
	s_or_b64 exec, exec, s[10:11]
	v_mov_b32_e32 v12, 0
	s_and_saveexec_b64 s[10:11], s[6:7]
.LBB64_1696:
	v_lshrrev_b32_e32 v7, 8, v7
	s_movk_i32 s6, 0x80
	v_and_or_b32 v12, v7, s6, v8
.LBB64_1697:
	s_or_b64 exec, exec, s[10:11]
.LBB64_1698:
	s_or_b64 exec, exec, s[4:5]
	s_mov_b64 s[4:5], 0
	global_store_byte v[5:6], v12, off
.LBB64_1699:
	s_and_b64 vcc, exec, s[4:5]
	s_cbranch_vccz .LBB64_1709
; %bb.1700:
	v_lshlrev_b32_e32 v11, 16, v1
	v_and_b32_e32 v12, 0x7fffffff, v11
	s_mov_b32 s4, 0x43f00000
	v_and_b32_e32 v7, 0xffff, v1
	v_cmp_gt_u32_e32 vcc, s4, v12
                                        ; implicit-def: $vgpr8
	s_and_saveexec_b64 s[4:5], vcc
	s_xor_b64 s[4:5], exec, s[4:5]
	s_cbranch_execz .LBB64_1706
; %bb.1701:
	s_mov_b32 s6, 0x3c7fffff
	v_cmp_lt_u32_e32 vcc, s6, v12
                                        ; implicit-def: $vgpr8
	s_and_saveexec_b64 s[6:7], vcc
	s_xor_b64 s[6:7], exec, s[6:7]
; %bb.1702:
	v_bfe_u32 v8, v7, 4, 1
	s_mov_b32 s10, 0x407ffff
	v_add3_u32 v8, v11, v8, s10
	v_lshrrev_b32_e32 v11, 20, v8
	v_and_b32_e32 v8, 0xff00000, v8
	s_mov_b32 s10, 0x7f00000
	v_mov_b32_e32 v12, 0x7e
	v_cmp_ne_u32_e32 vcc, s10, v8
	v_cndmask_b32_e32 v8, v12, v11, vcc
                                        ; implicit-def: $vgpr11
; %bb.1703:
	s_andn2_saveexec_b64 s[6:7], s[6:7]
; %bb.1704:
	s_mov_b32 s10, 0x46800000
	v_add_f32_e64 v8, |v11|, s10
; %bb.1705:
	s_or_b64 exec, exec, s[6:7]
                                        ; implicit-def: $vgpr12
.LBB64_1706:
	s_andn2_saveexec_b64 s[4:5], s[4:5]
; %bb.1707:
	s_mov_b32 s6, 0x7f800000
	v_mov_b32_e32 v8, 0x7e
	v_mov_b32_e32 v11, 0x7f
	v_cmp_lt_u32_e32 vcc, s6, v12
	v_cndmask_b32_e32 v8, v8, v11, vcc
; %bb.1708:
	s_or_b64 exec, exec, s[4:5]
	v_lshrrev_b32_e32 v7, 8, v7
	s_movk_i32 s4, 0x80
	v_and_or_b32 v7, v7, s4, v8
	global_store_byte v[5:6], v7, off
.LBB64_1709:
	s_mov_b64 s[4:5], 0
.LBB64_1710:
	s_andn2_b64 vcc, exec, s[4:5]
	s_cbranch_vccnz .LBB64_1720
; %bb.1711:
	v_lshlrev_b32_e32 v11, 16, v1
	v_and_b32_e32 v12, 0x7fffffff, v11
	s_mov_b32 s4, 0x47800000
	v_and_b32_e32 v7, 0xffff, v1
	v_cmp_gt_u32_e32 vcc, s4, v12
                                        ; implicit-def: $vgpr8
	s_and_saveexec_b64 s[4:5], vcc
	s_xor_b64 s[4:5], exec, s[4:5]
	s_cbranch_execz .LBB64_1717
; %bb.1712:
	s_mov_b32 s6, 0x387fffff
	v_cmp_lt_u32_e32 vcc, s6, v12
                                        ; implicit-def: $vgpr8
	s_and_saveexec_b64 s[6:7], vcc
	s_xor_b64 s[6:7], exec, s[6:7]
; %bb.1713:
	v_bfe_u32 v8, v7, 5, 1
	s_mov_b32 s10, 0x80fffff
	v_add3_u32 v8, v11, v8, s10
	v_lshrrev_b32_e32 v8, 21, v8
                                        ; implicit-def: $vgpr11
; %bb.1714:
	s_andn2_saveexec_b64 s[6:7], s[6:7]
; %bb.1715:
	s_mov_b32 s10, 0x43000000
	v_add_f32_e64 v8, |v11|, s10
; %bb.1716:
	s_or_b64 exec, exec, s[6:7]
                                        ; implicit-def: $vgpr12
.LBB64_1717:
	s_andn2_saveexec_b64 s[4:5], s[4:5]
; %bb.1718:
	s_mov_b32 s6, 0x7f800000
	v_mov_b32_e32 v8, 0x7c
	v_mov_b32_e32 v11, 0x7f
	v_cmp_lt_u32_e32 vcc, s6, v12
	v_cndmask_b32_e32 v8, v8, v11, vcc
; %bb.1719:
	s_or_b64 exec, exec, s[4:5]
	v_lshrrev_b32_e32 v7, 8, v7
	s_movk_i32 s4, 0x80
	v_and_or_b32 v7, v7, s4, v8
	global_store_byte v[5:6], v7, off
.LBB64_1720:
	s_mov_b64 s[4:5], 0
	s_mov_b64 s[6:7], -1
.LBB64_1721:
	s_andn2_b64 vcc, exec, s[4:5]
	s_mov_b64 s[4:5], 0
	s_cbranch_vccnz .LBB64_1728
; %bb.1722:
	s_cmp_gt_i32 s15, 14
	s_mov_b64 s[10:11], -1
	s_cbranch_scc0 .LBB64_1726
; %bb.1723:
	s_cmp_eq_u32 s15, 15
	s_mov_b64 s[0:1], -1
	s_cbranch_scc0 .LBB64_1725
; %bb.1724:
	global_store_short v[5:6], v1, off
	s_mov_b64 s[0:1], 0
	s_mov_b64 s[6:7], -1
.LBB64_1725:
	s_mov_b64 s[10:11], 0
.LBB64_1726:
	s_and_b64 vcc, exec, s[10:11]
	s_cbranch_vccz .LBB64_1728
; %bb.1727:
	s_cmp_lg_u32 s15, 11
	s_mov_b64 s[4:5], -1
	s_cselect_b64 s[0:1], -1, 0
.LBB64_1728:
	s_and_b64 vcc, exec, s[0:1]
	s_cbranch_vccnz .LBB64_2136
; %bb.1729:
	s_andn2_b64 vcc, exec, s[4:5]
	s_cbranch_vccnz .LBB64_1731
.LBB64_1730:
	v_and_b32_e32 v7, 0x7fff, v1
	v_cmp_ne_u16_e32 vcc, 0, v7
	v_cndmask_b32_e64 v7, 0, 1, vcc
	s_mov_b64 s[6:7], -1
	global_store_byte v[5:6], v7, off
.LBB64_1731:
	s_mov_b64 s[0:1], 0
	s_branch .LBB64_1733
.LBB64_1732:
	s_mov_b64 s[0:1], -1
	s_mov_b64 s[6:7], 0
.LBB64_1733:
	s_and_b64 vcc, exec, s[0:1]
	s_cbranch_vccz .LBB64_1772
; %bb.1734:
	s_and_b32 s4, 0xffff, s14
	s_cmp_lt_i32 s4, 5
	s_mov_b64 s[0:1], -1
	s_cbranch_scc1 .LBB64_1755
; %bb.1735:
	s_cmp_lt_i32 s4, 8
	s_cbranch_scc1 .LBB64_1745
; %bb.1736:
	s_cmp_lt_i32 s4, 9
	s_cbranch_scc1 .LBB64_1742
; %bb.1737:
	s_cmp_gt_i32 s4, 9
	s_cbranch_scc0 .LBB64_1739
; %bb.1738:
	v_lshlrev_b32_e32 v7, 16, v1
	v_cvt_f64_f32_e32 v[11:12], v7
	v_mov_b32_e32 v13, 0
	v_mov_b32_e32 v14, v13
	s_mov_b64 s[0:1], 0
	global_store_dwordx4 v[5:6], v[11:14], off
.LBB64_1739:
	s_andn2_b64 vcc, exec, s[0:1]
	s_cbranch_vccnz .LBB64_1741
; %bb.1740:
	v_lshlrev_b32_e32 v7, 16, v1
	v_mov_b32_e32 v8, 0
	global_store_dwordx2 v[5:6], v[7:8], off
.LBB64_1741:
	s_mov_b64 s[0:1], 0
.LBB64_1742:
	s_andn2_b64 vcc, exec, s[0:1]
	s_cbranch_vccnz .LBB64_1744
; %bb.1743:
	v_lshlrev_b32_e32 v7, 16, v1
	v_cvt_f16_f32_e32 v7, v7
	global_store_dword v[5:6], v7, off
.LBB64_1744:
	s_mov_b64 s[0:1], 0
.LBB64_1745:
	s_andn2_b64 vcc, exec, s[0:1]
	s_cbranch_vccnz .LBB64_1754
; %bb.1746:
	s_cmp_lt_i32 s4, 6
	s_mov_b64 s[0:1], -1
	s_cbranch_scc1 .LBB64_1752
; %bb.1747:
	s_cmp_gt_i32 s4, 6
	s_cbranch_scc0 .LBB64_1749
; %bb.1748:
	v_lshlrev_b32_e32 v7, 16, v1
	v_cvt_f64_f32_e32 v[7:8], v7
	s_mov_b64 s[0:1], 0
	global_store_dwordx2 v[5:6], v[7:8], off
.LBB64_1749:
	s_andn2_b64 vcc, exec, s[0:1]
	s_cbranch_vccnz .LBB64_1751
; %bb.1750:
	v_lshlrev_b32_e32 v7, 16, v1
	global_store_dword v[5:6], v7, off
.LBB64_1751:
	s_mov_b64 s[0:1], 0
.LBB64_1752:
	s_andn2_b64 vcc, exec, s[0:1]
	s_cbranch_vccnz .LBB64_1754
; %bb.1753:
	v_lshlrev_b32_e32 v7, 16, v1
	v_cvt_f16_f32_e32 v7, v7
	global_store_short v[5:6], v7, off
.LBB64_1754:
	s_mov_b64 s[0:1], 0
.LBB64_1755:
	s_andn2_b64 vcc, exec, s[0:1]
	s_cbranch_vccnz .LBB64_1771
; %bb.1756:
	s_cmp_lt_i32 s4, 2
	s_mov_b64 s[0:1], -1
	s_cbranch_scc1 .LBB64_1766
; %bb.1757:
	s_cmp_lt_i32 s4, 3
	s_cbranch_scc1 .LBB64_1763
; %bb.1758:
	s_cmp_gt_i32 s4, 3
	s_cbranch_scc0 .LBB64_1760
; %bb.1759:
	v_lshlrev_b32_e32 v7, 16, v1
	v_trunc_f32_e32 v7, v7
	s_mov_b32 s0, 0x2f800000
	v_mul_f32_e64 v8, |v7|, s0
	v_floor_f32_e32 v8, v8
	s_mov_b32 s0, 0xcf800000
	v_cvt_u32_f32_e32 v11, v8
	v_fma_f32 v8, v8, s0, |v7|
	v_cvt_u32_f32_e32 v8, v8
	v_ashrrev_i32_e32 v12, 31, v7
	v_xor_b32_e32 v11, v11, v12
	s_mov_b64 s[0:1], 0
	v_xor_b32_e32 v7, v8, v12
	v_sub_co_u32_e32 v7, vcc, v7, v12
	v_subb_co_u32_e32 v8, vcc, v11, v12, vcc
	global_store_dwordx2 v[5:6], v[7:8], off
.LBB64_1760:
	s_andn2_b64 vcc, exec, s[0:1]
	s_cbranch_vccnz .LBB64_1762
; %bb.1761:
	v_lshlrev_b32_e32 v7, 16, v1
	v_cvt_i32_f32_e32 v7, v7
	global_store_dword v[5:6], v7, off
.LBB64_1762:
	s_mov_b64 s[0:1], 0
.LBB64_1763:
	s_andn2_b64 vcc, exec, s[0:1]
	s_cbranch_vccnz .LBB64_1765
; %bb.1764:
	v_lshlrev_b32_e32 v7, 16, v1
	v_cvt_i32_f32_e32 v7, v7
	global_store_short v[5:6], v7, off
.LBB64_1765:
	s_mov_b64 s[0:1], 0
.LBB64_1766:
	s_andn2_b64 vcc, exec, s[0:1]
	s_cbranch_vccnz .LBB64_1771
; %bb.1767:
	s_mov_b64 s[0:1], -1
	s_cmp_gt_i32 s4, 0
	v_lshlrev_b32_e32 v1, 16, v1
	s_cbranch_scc0 .LBB64_1769
; %bb.1768:
	v_cvt_i32_f32_e32 v7, v1
	s_mov_b64 s[0:1], 0
	global_store_byte v[5:6], v7, off
.LBB64_1769:
	s_andn2_b64 vcc, exec, s[0:1]
	s_cbranch_vccnz .LBB64_1771
; %bb.1770:
	v_trunc_f32_e32 v1, v1
	s_mov_b32 s0, 0x2f800000
	v_mul_f32_e64 v7, |v1|, s0
	v_floor_f32_e32 v7, v7
	s_mov_b32 s0, 0xcf800000
	v_fma_f32 v7, v7, s0, |v1|
	v_cvt_u32_f32_e32 v7, v7
	v_ashrrev_i32_e32 v1, 31, v1
	v_xor_b32_e32 v7, v7, v1
	v_sub_u32_e32 v1, v7, v1
	global_store_byte v[5:6], v1, off
.LBB64_1771:
	s_mov_b64 s[6:7], -1
.LBB64_1772:
	s_andn2_b64 vcc, exec, s[6:7]
	s_cbranch_vccnz .LBB64_2087
; %bb.1773:
	s_waitcnt vmcnt(0)
	v_lshlrev_b32_e32 v1, 16, v3
	v_fma_f32 v3, |v1|, -0.5, 0.5
	v_mul_f32_e32 v5, v1, v1
	v_cmp_ge_f32_e64 vcc, |v1|, 0.5
	v_cndmask_b32_e32 v3, v5, v3, vcc
	v_mov_b32_e32 v5, 0x3c5fc5da
	v_fmac_f32_e32 v5, 0x3d1c21a7, v3
	v_mov_b32_e32 v6, 0x3d034c3c
	v_fmac_f32_e32 v6, v3, v5
	;; [unrolled: 2-line block ×4, first 2 shown]
	v_sqrt_f32_e32 v5, v3
	v_mov_b32_e32 v7, 0x3e2aaaac
	v_fmac_f32_e32 v7, v3, v6
	v_mul_f32_e32 v3, v3, v7
	v_fmac_f32_e32 v5, v5, v3
	v_add_f32_e32 v5, v5, v5
	s_lshr_b32 s0, s16, 8
	v_sub_f32_e32 v5, 0x3fc90fdb, v5
	v_fma_f32 v3, |v1|, v3, |v1|
	v_cmp_lt_f32_e64 vcc, |v1|, 0.5
	s_and_b32 s14, s0, 0xff
	v_cndmask_b32_e32 v3, v5, v3, vcc
	s_brev_b32 s0, -2
	v_bfi_b32 v1, s0, v3, v1
	v_bfe_u32 v3, v1, 16, 1
	s_movk_i32 s0, 0x7fff
	v_add3_u32 v3, v1, v3, s0
	v_cmp_o_f32_e32 vcc, v1, v1
	v_mov_b32_e32 v1, 0x7fc0
	v_cndmask_b32_sdwa v1, v1, v3, vcc dst_sel:DWORD dst_unused:UNUSED_PAD src0_sel:DWORD src1_sel:WORD_1
	v_mov_b32_e32 v5, s9
	v_add_co_u32_e32 v3, vcc, s8, v4
	s_cmp_lt_i32 s14, 11
	v_addc_co_u32_e32 v4, vcc, 0, v5, vcc
	s_cbranch_scc1 .LBB64_1851
; %bb.1774:
	s_and_b32 s15, 0xffff, s14
	s_mov_b64 s[10:11], -1
	s_mov_b64 s[4:5], 0
	s_cmp_gt_i32 s15, 25
	s_mov_b64 s[6:7], 0
	s_mov_b64 s[0:1], 0
	s_cbranch_scc0 .LBB64_1807
; %bb.1775:
	s_cmp_gt_i32 s15, 28
	s_cbranch_scc0 .LBB64_1790
; %bb.1776:
	s_cmp_gt_i32 s15, 43
	;; [unrolled: 3-line block ×3, first 2 shown]
	s_cbranch_scc0 .LBB64_1780
; %bb.1778:
	s_mov_b64 s[0:1], -1
	s_mov_b64 s[10:11], 0
	s_cmp_eq_u32 s15, 46
	s_cbranch_scc0 .LBB64_1780
; %bb.1779:
	v_and_b32_e32 v5, 0xffff, v1
	global_store_dword v[3:4], v5, off
	s_mov_b64 s[0:1], 0
	s_mov_b64 s[6:7], -1
.LBB64_1780:
	s_and_b64 vcc, exec, s[10:11]
	s_cbranch_vccz .LBB64_1785
; %bb.1781:
	s_cmp_eq_u32 s15, 44
	s_mov_b64 s[0:1], -1
	s_cbranch_scc0 .LBB64_1785
; %bb.1782:
	v_and_b32_e32 v6, 0xffff, v1
	v_bfe_u32 v5, v6, 7, 8
	s_movk_i32 s0, 0xff
	v_cmp_ne_u32_e32 vcc, s0, v5
	v_mov_b32_e32 v7, 0xff
	s_and_saveexec_b64 s[6:7], vcc
	s_cbranch_execz .LBB64_1784
; %bb.1783:
	v_lshlrev_b32_e32 v8, 16, v6
	s_mov_b32 s0, 0x3f0000
	v_lshrrev_b32_e32 v7, 7, v6
	v_and_b32_e32 v6, 64, v6
	v_and_or_b32 v5, v8, s0, v5
	v_cmp_ne_u32_e32 vcc, 0, v6
	v_cmp_ne_u32_e64 s[0:1], 0, v5
	s_and_b64 s[0:1], vcc, s[0:1]
	v_cndmask_b32_e64 v5, 0, 1, s[0:1]
	v_add_u32_e32 v7, v7, v5
.LBB64_1784:
	s_or_b64 exec, exec, s[6:7]
	s_mov_b64 s[0:1], 0
	s_mov_b64 s[6:7], -1
	global_store_byte v[3:4], v7, off
.LBB64_1785:
	s_mov_b64 s[10:11], 0
.LBB64_1786:
	s_and_b64 vcc, exec, s[10:11]
	s_cbranch_vccz .LBB64_1789
; %bb.1787:
	s_cmp_eq_u32 s15, 29
	s_mov_b64 s[0:1], -1
	s_cbranch_scc0 .LBB64_1789
; %bb.1788:
	v_lshlrev_b32_e32 v5, 16, v1
	v_trunc_f32_e32 v5, v5
	v_mul_f32_e32 v6, 0x2f800000, v5
	v_floor_f32_e32 v7, v6
	v_fmac_f32_e32 v5, 0xcf800000, v7
	v_cvt_u32_f32_e32 v6, v7
	v_cvt_u32_f32_e32 v5, v5
	s_mov_b64 s[0:1], 0
	s_mov_b64 s[6:7], -1
	global_store_dwordx2 v[3:4], v[5:6], off
.LBB64_1789:
	s_mov_b64 s[10:11], 0
.LBB64_1790:
	s_and_b64 vcc, exec, s[10:11]
	s_cbranch_vccz .LBB64_1806
; %bb.1791:
	s_cmp_lt_i32 s15, 27
	s_mov_b64 s[6:7], -1
	s_cbranch_scc1 .LBB64_1797
; %bb.1792:
	s_cmp_gt_i32 s15, 27
	s_cbranch_scc0 .LBB64_1794
; %bb.1793:
	v_lshlrev_b32_e32 v5, 16, v1
	v_cvt_u32_f32_e32 v5, v5
	s_mov_b64 s[6:7], 0
	global_store_dword v[3:4], v5, off
.LBB64_1794:
	s_andn2_b64 vcc, exec, s[6:7]
	s_cbranch_vccnz .LBB64_1796
; %bb.1795:
	v_lshlrev_b32_e32 v5, 16, v1
	v_cvt_u32_f32_e32 v5, v5
	global_store_short v[3:4], v5, off
.LBB64_1796:
	s_mov_b64 s[6:7], 0
.LBB64_1797:
	s_andn2_b64 vcc, exec, s[6:7]
	s_cbranch_vccnz .LBB64_1805
; %bb.1798:
	v_lshlrev_b32_e32 v7, 16, v1
	v_and_b32_e32 v6, 0x7fffffff, v7
	s_mov_b32 s6, 0x43800000
	v_cmp_gt_u32_e32 vcc, s6, v6
	v_mov_b32_e32 v8, 0x80
	s_and_saveexec_b64 s[6:7], vcc
	s_cbranch_execz .LBB64_1804
; %bb.1799:
	s_mov_b32 s10, 0x3bffffff
	v_and_b32_e32 v5, 0xffff, v1
	v_cmp_lt_u32_e32 vcc, s10, v6
	s_mov_b64 s[10:11], 0
                                        ; implicit-def: $vgpr6
	s_and_saveexec_b64 s[12:13], vcc
	s_xor_b64 s[12:13], exec, s[12:13]
	s_cbranch_execz .LBB64_2139
; %bb.1800:
	v_bfe_u32 v6, v5, 4, 1
	s_mov_b32 s16, 0x487ffff
	v_add3_u32 v6, v7, v6, s16
	s_mov_b64 s[10:11], exec
	v_lshrrev_b32_e32 v6, 20, v6
                                        ; implicit-def: $vgpr7
	s_andn2_saveexec_b64 s[12:13], s[12:13]
	s_cbranch_execnz .LBB64_2140
.LBB64_1801:
	s_or_b64 exec, exec, s[12:13]
	v_mov_b32_e32 v8, 0
	s_and_saveexec_b64 s[12:13], s[10:11]
.LBB64_1802:
	v_lshrrev_b32_e32 v5, 8, v5
	s_movk_i32 s10, 0x80
	v_and_or_b32 v8, v5, s10, v6
.LBB64_1803:
	s_or_b64 exec, exec, s[12:13]
.LBB64_1804:
	s_or_b64 exec, exec, s[6:7]
	global_store_byte v[3:4], v8, off
.LBB64_1805:
	s_mov_b64 s[6:7], -1
.LBB64_1806:
	s_mov_b64 s[10:11], 0
.LBB64_1807:
	s_and_b64 vcc, exec, s[10:11]
	s_cbranch_vccz .LBB64_1847
; %bb.1808:
	s_cmp_gt_i32 s15, 22
	s_mov_b64 s[4:5], -1
	s_cbranch_scc0 .LBB64_1840
; %bb.1809:
	s_cmp_lt_i32 s15, 24
	s_cbranch_scc1 .LBB64_1829
; %bb.1810:
	s_cmp_gt_i32 s15, 24
	s_cbranch_scc0 .LBB64_1818
; %bb.1811:
	v_lshlrev_b32_e32 v7, 16, v1
	v_and_b32_e32 v6, 0x7fffffff, v7
	s_mov_b32 s4, 0x47800000
	v_cmp_gt_u32_e32 vcc, s4, v6
	v_mov_b32_e32 v8, 0x80
	s_and_saveexec_b64 s[4:5], vcc
	s_cbranch_execz .LBB64_1817
; %bb.1812:
	s_mov_b32 s6, 0x37ffffff
	v_and_b32_e32 v5, 0xffff, v1
	v_cmp_lt_u32_e32 vcc, s6, v6
	s_mov_b64 s[6:7], 0
                                        ; implicit-def: $vgpr6
	s_and_saveexec_b64 s[10:11], vcc
	s_xor_b64 s[10:11], exec, s[10:11]
	s_cbranch_execz .LBB64_2142
; %bb.1813:
	v_bfe_u32 v6, v5, 5, 1
	s_mov_b32 s12, 0x88fffff
	v_add3_u32 v6, v7, v6, s12
	s_mov_b64 s[6:7], exec
	v_lshrrev_b32_e32 v6, 21, v6
                                        ; implicit-def: $vgpr7
	s_andn2_saveexec_b64 s[10:11], s[10:11]
	s_cbranch_execnz .LBB64_2143
.LBB64_1814:
	s_or_b64 exec, exec, s[10:11]
	v_mov_b32_e32 v8, 0
	s_and_saveexec_b64 s[10:11], s[6:7]
.LBB64_1815:
	v_lshrrev_b32_e32 v5, 8, v5
	s_movk_i32 s6, 0x80
	v_and_or_b32 v8, v5, s6, v6
.LBB64_1816:
	s_or_b64 exec, exec, s[10:11]
.LBB64_1817:
	s_or_b64 exec, exec, s[4:5]
	s_mov_b64 s[4:5], 0
	global_store_byte v[3:4], v8, off
.LBB64_1818:
	s_and_b64 vcc, exec, s[4:5]
	s_cbranch_vccz .LBB64_1828
; %bb.1819:
	v_lshlrev_b32_e32 v7, 16, v1
	v_and_b32_e32 v8, 0x7fffffff, v7
	s_mov_b32 s4, 0x43f00000
	v_and_b32_e32 v5, 0xffff, v1
	v_cmp_gt_u32_e32 vcc, s4, v8
                                        ; implicit-def: $vgpr6
	s_and_saveexec_b64 s[4:5], vcc
	s_xor_b64 s[4:5], exec, s[4:5]
	s_cbranch_execz .LBB64_1825
; %bb.1820:
	s_mov_b32 s6, 0x3c7fffff
	v_cmp_lt_u32_e32 vcc, s6, v8
                                        ; implicit-def: $vgpr6
	s_and_saveexec_b64 s[6:7], vcc
	s_xor_b64 s[6:7], exec, s[6:7]
; %bb.1821:
	v_bfe_u32 v6, v5, 4, 1
	s_mov_b32 s10, 0x407ffff
	v_add3_u32 v6, v7, v6, s10
	v_lshrrev_b32_e32 v7, 20, v6
	v_and_b32_e32 v6, 0xff00000, v6
	s_mov_b32 s10, 0x7f00000
	v_mov_b32_e32 v8, 0x7e
	v_cmp_ne_u32_e32 vcc, s10, v6
	v_cndmask_b32_e32 v6, v8, v7, vcc
                                        ; implicit-def: $vgpr7
; %bb.1822:
	s_andn2_saveexec_b64 s[6:7], s[6:7]
; %bb.1823:
	s_mov_b32 s10, 0x46800000
	v_add_f32_e64 v6, |v7|, s10
; %bb.1824:
	s_or_b64 exec, exec, s[6:7]
                                        ; implicit-def: $vgpr8
.LBB64_1825:
	s_andn2_saveexec_b64 s[4:5], s[4:5]
; %bb.1826:
	s_mov_b32 s6, 0x7f800000
	v_mov_b32_e32 v6, 0x7e
	v_mov_b32_e32 v7, 0x7f
	v_cmp_lt_u32_e32 vcc, s6, v8
	v_cndmask_b32_e32 v6, v6, v7, vcc
; %bb.1827:
	s_or_b64 exec, exec, s[4:5]
	v_lshrrev_b32_e32 v5, 8, v5
	s_movk_i32 s4, 0x80
	v_and_or_b32 v5, v5, s4, v6
	global_store_byte v[3:4], v5, off
.LBB64_1828:
	s_mov_b64 s[4:5], 0
.LBB64_1829:
	s_andn2_b64 vcc, exec, s[4:5]
	s_cbranch_vccnz .LBB64_1839
; %bb.1830:
	v_lshlrev_b32_e32 v7, 16, v1
	v_and_b32_e32 v8, 0x7fffffff, v7
	s_mov_b32 s4, 0x47800000
	v_and_b32_e32 v5, 0xffff, v1
	v_cmp_gt_u32_e32 vcc, s4, v8
                                        ; implicit-def: $vgpr6
	s_and_saveexec_b64 s[4:5], vcc
	s_xor_b64 s[4:5], exec, s[4:5]
	s_cbranch_execz .LBB64_1836
; %bb.1831:
	s_mov_b32 s6, 0x387fffff
	v_cmp_lt_u32_e32 vcc, s6, v8
                                        ; implicit-def: $vgpr6
	s_and_saveexec_b64 s[6:7], vcc
	s_xor_b64 s[6:7], exec, s[6:7]
; %bb.1832:
	v_bfe_u32 v6, v5, 5, 1
	s_mov_b32 s10, 0x80fffff
	v_add3_u32 v6, v7, v6, s10
	v_lshrrev_b32_e32 v6, 21, v6
                                        ; implicit-def: $vgpr7
; %bb.1833:
	s_andn2_saveexec_b64 s[6:7], s[6:7]
; %bb.1834:
	s_mov_b32 s10, 0x43000000
	v_add_f32_e64 v6, |v7|, s10
; %bb.1835:
	s_or_b64 exec, exec, s[6:7]
                                        ; implicit-def: $vgpr8
.LBB64_1836:
	s_andn2_saveexec_b64 s[4:5], s[4:5]
; %bb.1837:
	s_mov_b32 s6, 0x7f800000
	v_mov_b32_e32 v6, 0x7c
	v_mov_b32_e32 v7, 0x7f
	v_cmp_lt_u32_e32 vcc, s6, v8
	v_cndmask_b32_e32 v6, v6, v7, vcc
; %bb.1838:
	s_or_b64 exec, exec, s[4:5]
	v_lshrrev_b32_e32 v5, 8, v5
	s_movk_i32 s4, 0x80
	v_and_or_b32 v5, v5, s4, v6
	global_store_byte v[3:4], v5, off
.LBB64_1839:
	s_mov_b64 s[4:5], 0
	s_mov_b64 s[6:7], -1
.LBB64_1840:
	s_andn2_b64 vcc, exec, s[4:5]
	s_mov_b64 s[4:5], 0
	s_cbranch_vccnz .LBB64_1847
; %bb.1841:
	s_cmp_gt_i32 s15, 14
	s_mov_b64 s[10:11], -1
	s_cbranch_scc0 .LBB64_1845
; %bb.1842:
	s_cmp_eq_u32 s15, 15
	s_mov_b64 s[0:1], -1
	s_cbranch_scc0 .LBB64_1844
; %bb.1843:
	global_store_short v[3:4], v1, off
	s_mov_b64 s[0:1], 0
	s_mov_b64 s[6:7], -1
.LBB64_1844:
	s_mov_b64 s[10:11], 0
.LBB64_1845:
	s_and_b64 vcc, exec, s[10:11]
	s_cbranch_vccz .LBB64_1847
; %bb.1846:
	s_cmp_lg_u32 s15, 11
	s_mov_b64 s[4:5], -1
	s_cselect_b64 s[0:1], -1, 0
.LBB64_1847:
	s_and_b64 vcc, exec, s[0:1]
	s_cbranch_vccnz .LBB64_2141
; %bb.1848:
	s_andn2_b64 vcc, exec, s[4:5]
	s_cbranch_vccnz .LBB64_1850
.LBB64_1849:
	v_and_b32_e32 v5, 0x7fff, v1
	v_cmp_ne_u16_e32 vcc, 0, v5
	v_cndmask_b32_e64 v5, 0, 1, vcc
	s_mov_b64 s[6:7], -1
	global_store_byte v[3:4], v5, off
.LBB64_1850:
	s_mov_b64 s[0:1], 0
	s_branch .LBB64_1852
.LBB64_1851:
	s_mov_b64 s[0:1], -1
	s_mov_b64 s[6:7], 0
.LBB64_1852:
	s_and_b64 vcc, exec, s[0:1]
	s_cbranch_vccz .LBB64_1891
; %bb.1853:
	s_and_b32 s4, 0xffff, s14
	s_cmp_lt_i32 s4, 5
	s_mov_b64 s[0:1], -1
	s_cbranch_scc1 .LBB64_1874
; %bb.1854:
	s_cmp_lt_i32 s4, 8
	s_cbranch_scc1 .LBB64_1864
; %bb.1855:
	s_cmp_lt_i32 s4, 9
	s_cbranch_scc1 .LBB64_1861
; %bb.1856:
	s_cmp_gt_i32 s4, 9
	s_cbranch_scc0 .LBB64_1858
; %bb.1857:
	v_lshlrev_b32_e32 v5, 16, v1
	v_cvt_f64_f32_e32 v[5:6], v5
	v_mov_b32_e32 v7, 0
	v_mov_b32_e32 v8, v7
	s_mov_b64 s[0:1], 0
	global_store_dwordx4 v[3:4], v[5:8], off
.LBB64_1858:
	s_andn2_b64 vcc, exec, s[0:1]
	s_cbranch_vccnz .LBB64_1860
; %bb.1859:
	v_lshlrev_b32_e32 v5, 16, v1
	v_mov_b32_e32 v6, 0
	global_store_dwordx2 v[3:4], v[5:6], off
.LBB64_1860:
	s_mov_b64 s[0:1], 0
.LBB64_1861:
	s_andn2_b64 vcc, exec, s[0:1]
	s_cbranch_vccnz .LBB64_1863
; %bb.1862:
	v_lshlrev_b32_e32 v5, 16, v1
	v_cvt_f16_f32_e32 v5, v5
	global_store_dword v[3:4], v5, off
.LBB64_1863:
	s_mov_b64 s[0:1], 0
.LBB64_1864:
	s_andn2_b64 vcc, exec, s[0:1]
	s_cbranch_vccnz .LBB64_1873
; %bb.1865:
	s_cmp_lt_i32 s4, 6
	s_mov_b64 s[0:1], -1
	s_cbranch_scc1 .LBB64_1871
; %bb.1866:
	s_cmp_gt_i32 s4, 6
	s_cbranch_scc0 .LBB64_1868
; %bb.1867:
	v_lshlrev_b32_e32 v5, 16, v1
	v_cvt_f64_f32_e32 v[5:6], v5
	s_mov_b64 s[0:1], 0
	global_store_dwordx2 v[3:4], v[5:6], off
.LBB64_1868:
	s_andn2_b64 vcc, exec, s[0:1]
	s_cbranch_vccnz .LBB64_1870
; %bb.1869:
	v_lshlrev_b32_e32 v5, 16, v1
	global_store_dword v[3:4], v5, off
.LBB64_1870:
	s_mov_b64 s[0:1], 0
.LBB64_1871:
	s_andn2_b64 vcc, exec, s[0:1]
	s_cbranch_vccnz .LBB64_1873
; %bb.1872:
	v_lshlrev_b32_e32 v5, 16, v1
	v_cvt_f16_f32_e32 v5, v5
	global_store_short v[3:4], v5, off
.LBB64_1873:
	s_mov_b64 s[0:1], 0
.LBB64_1874:
	s_andn2_b64 vcc, exec, s[0:1]
	s_cbranch_vccnz .LBB64_1890
; %bb.1875:
	s_cmp_lt_i32 s4, 2
	s_mov_b64 s[0:1], -1
	s_cbranch_scc1 .LBB64_1885
; %bb.1876:
	s_cmp_lt_i32 s4, 3
	s_cbranch_scc1 .LBB64_1882
; %bb.1877:
	s_cmp_gt_i32 s4, 3
	s_cbranch_scc0 .LBB64_1879
; %bb.1878:
	v_lshlrev_b32_e32 v5, 16, v1
	v_trunc_f32_e32 v5, v5
	s_mov_b32 s0, 0x2f800000
	v_mul_f32_e64 v6, |v5|, s0
	v_floor_f32_e32 v6, v6
	s_mov_b32 s0, 0xcf800000
	v_cvt_u32_f32_e32 v7, v6
	v_fma_f32 v6, v6, s0, |v5|
	v_cvt_u32_f32_e32 v6, v6
	v_ashrrev_i32_e32 v8, 31, v5
	v_xor_b32_e32 v7, v7, v8
	s_mov_b64 s[0:1], 0
	v_xor_b32_e32 v5, v6, v8
	v_sub_co_u32_e32 v5, vcc, v5, v8
	v_subb_co_u32_e32 v6, vcc, v7, v8, vcc
	global_store_dwordx2 v[3:4], v[5:6], off
.LBB64_1879:
	s_andn2_b64 vcc, exec, s[0:1]
	s_cbranch_vccnz .LBB64_1881
; %bb.1880:
	v_lshlrev_b32_e32 v5, 16, v1
	v_cvt_i32_f32_e32 v5, v5
	global_store_dword v[3:4], v5, off
.LBB64_1881:
	s_mov_b64 s[0:1], 0
.LBB64_1882:
	s_andn2_b64 vcc, exec, s[0:1]
	s_cbranch_vccnz .LBB64_1884
; %bb.1883:
	v_lshlrev_b32_e32 v5, 16, v1
	v_cvt_i32_f32_e32 v5, v5
	global_store_short v[3:4], v5, off
.LBB64_1884:
	s_mov_b64 s[0:1], 0
.LBB64_1885:
	s_andn2_b64 vcc, exec, s[0:1]
	s_cbranch_vccnz .LBB64_1890
; %bb.1886:
	s_mov_b64 s[0:1], -1
	s_cmp_gt_i32 s4, 0
	v_lshlrev_b32_e32 v1, 16, v1
	s_cbranch_scc0 .LBB64_1888
; %bb.1887:
	v_cvt_i32_f32_e32 v5, v1
	s_mov_b64 s[0:1], 0
	global_store_byte v[3:4], v5, off
.LBB64_1888:
	s_andn2_b64 vcc, exec, s[0:1]
	s_cbranch_vccnz .LBB64_1890
; %bb.1889:
	v_trunc_f32_e32 v1, v1
	s_mov_b32 s0, 0x2f800000
	v_mul_f32_e64 v5, |v1|, s0
	v_floor_f32_e32 v5, v5
	s_mov_b32 s0, 0xcf800000
	v_fma_f32 v5, v5, s0, |v1|
	v_cvt_u32_f32_e32 v5, v5
	v_ashrrev_i32_e32 v1, 31, v1
	v_xor_b32_e32 v5, v5, v1
	v_sub_u32_e32 v1, v5, v1
	global_store_byte v[3:4], v1, off
.LBB64_1890:
	s_mov_b64 s[6:7], -1
.LBB64_1891:
	s_andn2_b64 vcc, exec, s[6:7]
	s_cbranch_vccnz .LBB64_2087
; %bb.1892:
	v_lshlrev_b32_e32 v1, 16, v10
	v_fma_f32 v3, |v1|, -0.5, 0.5
	v_mul_f32_e32 v4, v1, v1
	v_cmp_ge_f32_e64 vcc, |v1|, 0.5
	v_cndmask_b32_e32 v3, v4, v3, vcc
	v_mov_b32_e32 v4, 0x3c5fc5da
	v_fmac_f32_e32 v4, 0x3d1c21a7, v3
	v_mov_b32_e32 v5, 0x3d034c3c
	v_fmac_f32_e32 v5, v3, v4
	;; [unrolled: 2-line block ×4, first 2 shown]
	v_sqrt_f32_e32 v4, v3
	v_mov_b32_e32 v6, 0x3e2aaaac
	v_fmac_f32_e32 v6, v3, v5
	v_mul_f32_e32 v3, v3, v6
	v_fmac_f32_e32 v4, v4, v3
	v_add_f32_e32 v4, v4, v4
	v_sub_f32_e32 v4, 0x3fc90fdb, v4
	v_fma_f32 v3, |v1|, v3, |v1|
	v_cmp_lt_f32_e64 vcc, |v1|, 0.5
	v_cndmask_b32_e32 v3, v4, v3, vcc
	s_brev_b32 s0, -2
	v_bfi_b32 v1, s0, v3, v1
	v_bfe_u32 v3, v1, 16, 1
	s_movk_i32 s0, 0x7fff
	v_add3_u32 v3, v1, v3, s0
	v_cmp_o_f32_e32 vcc, v1, v1
	v_mov_b32_e32 v1, 0x7fc0
	v_cndmask_b32_sdwa v3, v1, v3, vcc dst_sel:DWORD dst_unused:UNUSED_PAD src0_sel:DWORD src1_sel:WORD_1
	v_mov_b32_e32 v4, s9
	v_add_co_u32_e32 v1, vcc, s8, v2
	s_cmp_lt_i32 s14, 11
	v_addc_co_u32_e32 v2, vcc, 0, v4, vcc
	s_cbranch_scc1 .LBB64_1970
; %bb.1893:
	s_and_b32 s15, 0xffff, s14
	s_mov_b64 s[10:11], -1
	s_mov_b64 s[4:5], 0
	s_cmp_gt_i32 s15, 25
	s_mov_b64 s[6:7], 0
	s_mov_b64 s[0:1], 0
	s_cbranch_scc0 .LBB64_1926
; %bb.1894:
	s_cmp_gt_i32 s15, 28
	s_cbranch_scc0 .LBB64_1909
; %bb.1895:
	s_cmp_gt_i32 s15, 43
	;; [unrolled: 3-line block ×3, first 2 shown]
	s_cbranch_scc0 .LBB64_1899
; %bb.1897:
	s_mov_b64 s[0:1], -1
	s_mov_b64 s[10:11], 0
	s_cmp_eq_u32 s15, 46
	s_cbranch_scc0 .LBB64_1899
; %bb.1898:
	v_and_b32_e32 v4, 0xffff, v3
	global_store_dword v[1:2], v4, off
	s_mov_b64 s[0:1], 0
	s_mov_b64 s[6:7], -1
.LBB64_1899:
	s_and_b64 vcc, exec, s[10:11]
	s_cbranch_vccz .LBB64_1904
; %bb.1900:
	s_cmp_eq_u32 s15, 44
	s_mov_b64 s[0:1], -1
	s_cbranch_scc0 .LBB64_1904
; %bb.1901:
	v_and_b32_e32 v5, 0xffff, v3
	v_bfe_u32 v4, v5, 7, 8
	s_movk_i32 s0, 0xff
	v_cmp_ne_u32_e32 vcc, s0, v4
	v_mov_b32_e32 v6, 0xff
	s_and_saveexec_b64 s[6:7], vcc
	s_cbranch_execz .LBB64_1903
; %bb.1902:
	v_lshlrev_b32_e32 v7, 16, v5
	s_mov_b32 s0, 0x3f0000
	v_lshrrev_b32_e32 v6, 7, v5
	v_and_b32_e32 v5, 64, v5
	v_and_or_b32 v4, v7, s0, v4
	v_cmp_ne_u32_e32 vcc, 0, v5
	v_cmp_ne_u32_e64 s[0:1], 0, v4
	s_and_b64 s[0:1], vcc, s[0:1]
	v_cndmask_b32_e64 v4, 0, 1, s[0:1]
	v_add_u32_e32 v6, v6, v4
.LBB64_1903:
	s_or_b64 exec, exec, s[6:7]
	s_mov_b64 s[0:1], 0
	s_mov_b64 s[6:7], -1
	global_store_byte v[1:2], v6, off
.LBB64_1904:
	s_mov_b64 s[10:11], 0
.LBB64_1905:
	s_and_b64 vcc, exec, s[10:11]
	s_cbranch_vccz .LBB64_1908
; %bb.1906:
	s_cmp_eq_u32 s15, 29
	s_mov_b64 s[0:1], -1
	s_cbranch_scc0 .LBB64_1908
; %bb.1907:
	v_lshlrev_b32_e32 v4, 16, v3
	v_trunc_f32_e32 v4, v4
	v_mul_f32_e32 v5, 0x2f800000, v4
	v_floor_f32_e32 v6, v5
	v_fmac_f32_e32 v4, 0xcf800000, v6
	v_cvt_u32_f32_e32 v5, v6
	v_cvt_u32_f32_e32 v4, v4
	s_mov_b64 s[0:1], 0
	s_mov_b64 s[6:7], -1
	global_store_dwordx2 v[1:2], v[4:5], off
.LBB64_1908:
	s_mov_b64 s[10:11], 0
.LBB64_1909:
	s_and_b64 vcc, exec, s[10:11]
	s_cbranch_vccz .LBB64_1925
; %bb.1910:
	s_cmp_lt_i32 s15, 27
	s_mov_b64 s[6:7], -1
	s_cbranch_scc1 .LBB64_1916
; %bb.1911:
	s_cmp_gt_i32 s15, 27
	s_cbranch_scc0 .LBB64_1913
; %bb.1912:
	v_lshlrev_b32_e32 v4, 16, v3
	v_cvt_u32_f32_e32 v4, v4
	s_mov_b64 s[6:7], 0
	global_store_dword v[1:2], v4, off
.LBB64_1913:
	s_andn2_b64 vcc, exec, s[6:7]
	s_cbranch_vccnz .LBB64_1915
; %bb.1914:
	v_lshlrev_b32_e32 v4, 16, v3
	v_cvt_u32_f32_e32 v4, v4
	global_store_short v[1:2], v4, off
.LBB64_1915:
	s_mov_b64 s[6:7], 0
.LBB64_1916:
	s_andn2_b64 vcc, exec, s[6:7]
	s_cbranch_vccnz .LBB64_1924
; %bb.1917:
	v_lshlrev_b32_e32 v6, 16, v3
	v_and_b32_e32 v5, 0x7fffffff, v6
	s_mov_b32 s6, 0x43800000
	v_cmp_gt_u32_e32 vcc, s6, v5
	v_mov_b32_e32 v7, 0x80
	s_and_saveexec_b64 s[6:7], vcc
	s_cbranch_execz .LBB64_1923
; %bb.1918:
	s_mov_b32 s10, 0x3bffffff
	v_and_b32_e32 v4, 0xffff, v3
	v_cmp_lt_u32_e32 vcc, s10, v5
	s_mov_b64 s[10:11], 0
                                        ; implicit-def: $vgpr5
	s_and_saveexec_b64 s[12:13], vcc
	s_xor_b64 s[12:13], exec, s[12:13]
	s_cbranch_execz .LBB64_2144
; %bb.1919:
	v_bfe_u32 v5, v4, 4, 1
	s_mov_b32 s16, 0x487ffff
	v_add3_u32 v5, v6, v5, s16
	s_mov_b64 s[10:11], exec
	v_lshrrev_b32_e32 v5, 20, v5
                                        ; implicit-def: $vgpr6
	s_andn2_saveexec_b64 s[12:13], s[12:13]
	s_cbranch_execnz .LBB64_2145
.LBB64_1920:
	s_or_b64 exec, exec, s[12:13]
	v_mov_b32_e32 v7, 0
	s_and_saveexec_b64 s[12:13], s[10:11]
.LBB64_1921:
	v_lshrrev_b32_e32 v4, 8, v4
	s_movk_i32 s10, 0x80
	v_and_or_b32 v7, v4, s10, v5
.LBB64_1922:
	s_or_b64 exec, exec, s[12:13]
.LBB64_1923:
	s_or_b64 exec, exec, s[6:7]
	global_store_byte v[1:2], v7, off
.LBB64_1924:
	s_mov_b64 s[6:7], -1
.LBB64_1925:
	s_mov_b64 s[10:11], 0
.LBB64_1926:
	s_and_b64 vcc, exec, s[10:11]
	s_cbranch_vccz .LBB64_1966
; %bb.1927:
	s_cmp_gt_i32 s15, 22
	s_mov_b64 s[4:5], -1
	s_cbranch_scc0 .LBB64_1959
; %bb.1928:
	s_cmp_lt_i32 s15, 24
	s_cbranch_scc1 .LBB64_1948
; %bb.1929:
	s_cmp_gt_i32 s15, 24
	s_cbranch_scc0 .LBB64_1937
; %bb.1930:
	v_lshlrev_b32_e32 v6, 16, v3
	v_and_b32_e32 v5, 0x7fffffff, v6
	s_mov_b32 s4, 0x47800000
	v_cmp_gt_u32_e32 vcc, s4, v5
	v_mov_b32_e32 v7, 0x80
	s_and_saveexec_b64 s[4:5], vcc
	s_cbranch_execz .LBB64_1936
; %bb.1931:
	s_mov_b32 s6, 0x37ffffff
	v_and_b32_e32 v4, 0xffff, v3
	v_cmp_lt_u32_e32 vcc, s6, v5
	s_mov_b64 s[6:7], 0
                                        ; implicit-def: $vgpr5
	s_and_saveexec_b64 s[10:11], vcc
	s_xor_b64 s[10:11], exec, s[10:11]
	s_cbranch_execz .LBB64_2147
; %bb.1932:
	v_bfe_u32 v5, v4, 5, 1
	s_mov_b32 s12, 0x88fffff
	v_add3_u32 v5, v6, v5, s12
	s_mov_b64 s[6:7], exec
	v_lshrrev_b32_e32 v5, 21, v5
                                        ; implicit-def: $vgpr6
	s_andn2_saveexec_b64 s[10:11], s[10:11]
	s_cbranch_execnz .LBB64_2148
.LBB64_1933:
	s_or_b64 exec, exec, s[10:11]
	v_mov_b32_e32 v7, 0
	s_and_saveexec_b64 s[10:11], s[6:7]
.LBB64_1934:
	v_lshrrev_b32_e32 v4, 8, v4
	s_movk_i32 s6, 0x80
	v_and_or_b32 v7, v4, s6, v5
.LBB64_1935:
	s_or_b64 exec, exec, s[10:11]
.LBB64_1936:
	s_or_b64 exec, exec, s[4:5]
	s_mov_b64 s[4:5], 0
	global_store_byte v[1:2], v7, off
.LBB64_1937:
	s_and_b64 vcc, exec, s[4:5]
	s_cbranch_vccz .LBB64_1947
; %bb.1938:
	v_lshlrev_b32_e32 v6, 16, v3
	v_and_b32_e32 v7, 0x7fffffff, v6
	s_mov_b32 s4, 0x43f00000
	v_and_b32_e32 v4, 0xffff, v3
	v_cmp_gt_u32_e32 vcc, s4, v7
                                        ; implicit-def: $vgpr5
	s_and_saveexec_b64 s[4:5], vcc
	s_xor_b64 s[4:5], exec, s[4:5]
	s_cbranch_execz .LBB64_1944
; %bb.1939:
	s_mov_b32 s6, 0x3c7fffff
	v_cmp_lt_u32_e32 vcc, s6, v7
                                        ; implicit-def: $vgpr5
	s_and_saveexec_b64 s[6:7], vcc
	s_xor_b64 s[6:7], exec, s[6:7]
; %bb.1940:
	v_bfe_u32 v5, v4, 4, 1
	s_mov_b32 s10, 0x407ffff
	v_add3_u32 v5, v6, v5, s10
	v_lshrrev_b32_e32 v6, 20, v5
	v_and_b32_e32 v5, 0xff00000, v5
	s_mov_b32 s10, 0x7f00000
	v_mov_b32_e32 v7, 0x7e
	v_cmp_ne_u32_e32 vcc, s10, v5
	v_cndmask_b32_e32 v5, v7, v6, vcc
                                        ; implicit-def: $vgpr6
; %bb.1941:
	s_andn2_saveexec_b64 s[6:7], s[6:7]
; %bb.1942:
	s_mov_b32 s10, 0x46800000
	v_add_f32_e64 v5, |v6|, s10
; %bb.1943:
	s_or_b64 exec, exec, s[6:7]
                                        ; implicit-def: $vgpr7
.LBB64_1944:
	s_andn2_saveexec_b64 s[4:5], s[4:5]
; %bb.1945:
	s_mov_b32 s6, 0x7f800000
	v_mov_b32_e32 v5, 0x7e
	v_mov_b32_e32 v6, 0x7f
	v_cmp_lt_u32_e32 vcc, s6, v7
	v_cndmask_b32_e32 v5, v5, v6, vcc
; %bb.1946:
	s_or_b64 exec, exec, s[4:5]
	v_lshrrev_b32_e32 v4, 8, v4
	s_movk_i32 s4, 0x80
	v_and_or_b32 v4, v4, s4, v5
	global_store_byte v[1:2], v4, off
.LBB64_1947:
	s_mov_b64 s[4:5], 0
.LBB64_1948:
	s_andn2_b64 vcc, exec, s[4:5]
	s_cbranch_vccnz .LBB64_1958
; %bb.1949:
	v_lshlrev_b32_e32 v6, 16, v3
	v_and_b32_e32 v7, 0x7fffffff, v6
	s_mov_b32 s4, 0x47800000
	v_and_b32_e32 v4, 0xffff, v3
	v_cmp_gt_u32_e32 vcc, s4, v7
                                        ; implicit-def: $vgpr5
	s_and_saveexec_b64 s[4:5], vcc
	s_xor_b64 s[4:5], exec, s[4:5]
	s_cbranch_execz .LBB64_1955
; %bb.1950:
	s_mov_b32 s6, 0x387fffff
	v_cmp_lt_u32_e32 vcc, s6, v7
                                        ; implicit-def: $vgpr5
	s_and_saveexec_b64 s[6:7], vcc
	s_xor_b64 s[6:7], exec, s[6:7]
; %bb.1951:
	v_bfe_u32 v5, v4, 5, 1
	s_mov_b32 s10, 0x80fffff
	v_add3_u32 v5, v6, v5, s10
	v_lshrrev_b32_e32 v5, 21, v5
                                        ; implicit-def: $vgpr6
; %bb.1952:
	s_andn2_saveexec_b64 s[6:7], s[6:7]
; %bb.1953:
	s_mov_b32 s10, 0x43000000
	v_add_f32_e64 v5, |v6|, s10
; %bb.1954:
	s_or_b64 exec, exec, s[6:7]
                                        ; implicit-def: $vgpr7
.LBB64_1955:
	s_andn2_saveexec_b64 s[4:5], s[4:5]
; %bb.1956:
	s_mov_b32 s6, 0x7f800000
	v_mov_b32_e32 v5, 0x7c
	v_mov_b32_e32 v6, 0x7f
	v_cmp_lt_u32_e32 vcc, s6, v7
	v_cndmask_b32_e32 v5, v5, v6, vcc
; %bb.1957:
	s_or_b64 exec, exec, s[4:5]
	v_lshrrev_b32_e32 v4, 8, v4
	s_movk_i32 s4, 0x80
	v_and_or_b32 v4, v4, s4, v5
	global_store_byte v[1:2], v4, off
.LBB64_1958:
	s_mov_b64 s[4:5], 0
	s_mov_b64 s[6:7], -1
.LBB64_1959:
	s_andn2_b64 vcc, exec, s[4:5]
	s_mov_b64 s[4:5], 0
	s_cbranch_vccnz .LBB64_1966
; %bb.1960:
	s_cmp_gt_i32 s15, 14
	s_mov_b64 s[10:11], -1
	s_cbranch_scc0 .LBB64_1964
; %bb.1961:
	s_cmp_eq_u32 s15, 15
	s_mov_b64 s[0:1], -1
	s_cbranch_scc0 .LBB64_1963
; %bb.1962:
	global_store_short v[1:2], v3, off
	s_mov_b64 s[0:1], 0
	s_mov_b64 s[6:7], -1
.LBB64_1963:
	s_mov_b64 s[10:11], 0
.LBB64_1964:
	s_and_b64 vcc, exec, s[10:11]
	s_cbranch_vccz .LBB64_1966
; %bb.1965:
	s_cmp_lg_u32 s15, 11
	s_mov_b64 s[4:5], -1
	s_cselect_b64 s[0:1], -1, 0
.LBB64_1966:
	s_and_b64 vcc, exec, s[0:1]
	s_cbranch_vccnz .LBB64_2146
; %bb.1967:
	s_andn2_b64 vcc, exec, s[4:5]
	s_cbranch_vccnz .LBB64_1969
.LBB64_1968:
	v_and_b32_e32 v4, 0x7fff, v3
	v_cmp_ne_u16_e32 vcc, 0, v4
	v_cndmask_b32_e64 v4, 0, 1, vcc
	s_mov_b64 s[6:7], -1
	global_store_byte v[1:2], v4, off
.LBB64_1969:
	s_mov_b64 s[0:1], 0
	s_branch .LBB64_1971
.LBB64_1970:
	s_mov_b64 s[0:1], -1
	s_mov_b64 s[6:7], 0
.LBB64_1971:
	s_and_b64 vcc, exec, s[0:1]
	s_cbranch_vccz .LBB64_2010
; %bb.1972:
	s_and_b32 s4, 0xffff, s14
	s_cmp_lt_i32 s4, 5
	s_mov_b64 s[0:1], -1
	s_cbranch_scc1 .LBB64_1993
; %bb.1973:
	s_cmp_lt_i32 s4, 8
	s_cbranch_scc1 .LBB64_1983
; %bb.1974:
	s_cmp_lt_i32 s4, 9
	s_cbranch_scc1 .LBB64_1980
; %bb.1975:
	s_cmp_gt_i32 s4, 9
	s_cbranch_scc0 .LBB64_1977
; %bb.1976:
	v_lshlrev_b32_e32 v4, 16, v3
	v_cvt_f64_f32_e32 v[4:5], v4
	v_mov_b32_e32 v6, 0
	v_mov_b32_e32 v7, v6
	s_mov_b64 s[0:1], 0
	global_store_dwordx4 v[1:2], v[4:7], off
.LBB64_1977:
	s_andn2_b64 vcc, exec, s[0:1]
	s_cbranch_vccnz .LBB64_1979
; %bb.1978:
	v_lshlrev_b32_e32 v4, 16, v3
	v_mov_b32_e32 v5, 0
	global_store_dwordx2 v[1:2], v[4:5], off
.LBB64_1979:
	s_mov_b64 s[0:1], 0
.LBB64_1980:
	s_andn2_b64 vcc, exec, s[0:1]
	s_cbranch_vccnz .LBB64_1982
; %bb.1981:
	v_lshlrev_b32_e32 v4, 16, v3
	v_cvt_f16_f32_e32 v4, v4
	global_store_dword v[1:2], v4, off
.LBB64_1982:
	s_mov_b64 s[0:1], 0
.LBB64_1983:
	s_andn2_b64 vcc, exec, s[0:1]
	s_cbranch_vccnz .LBB64_1992
; %bb.1984:
	s_cmp_lt_i32 s4, 6
	s_mov_b64 s[0:1], -1
	s_cbranch_scc1 .LBB64_1990
; %bb.1985:
	s_cmp_gt_i32 s4, 6
	s_cbranch_scc0 .LBB64_1987
; %bb.1986:
	v_lshlrev_b32_e32 v4, 16, v3
	v_cvt_f64_f32_e32 v[4:5], v4
	s_mov_b64 s[0:1], 0
	global_store_dwordx2 v[1:2], v[4:5], off
.LBB64_1987:
	s_andn2_b64 vcc, exec, s[0:1]
	s_cbranch_vccnz .LBB64_1989
; %bb.1988:
	v_lshlrev_b32_e32 v4, 16, v3
	global_store_dword v[1:2], v4, off
.LBB64_1989:
	s_mov_b64 s[0:1], 0
.LBB64_1990:
	s_andn2_b64 vcc, exec, s[0:1]
	s_cbranch_vccnz .LBB64_1992
; %bb.1991:
	v_lshlrev_b32_e32 v4, 16, v3
	v_cvt_f16_f32_e32 v4, v4
	global_store_short v[1:2], v4, off
.LBB64_1992:
	s_mov_b64 s[0:1], 0
.LBB64_1993:
	s_andn2_b64 vcc, exec, s[0:1]
	s_cbranch_vccnz .LBB64_2009
; %bb.1994:
	s_cmp_lt_i32 s4, 2
	s_mov_b64 s[0:1], -1
	s_cbranch_scc1 .LBB64_2004
; %bb.1995:
	s_cmp_lt_i32 s4, 3
	s_cbranch_scc1 .LBB64_2001
; %bb.1996:
	s_cmp_gt_i32 s4, 3
	s_cbranch_scc0 .LBB64_1998
; %bb.1997:
	v_lshlrev_b32_e32 v4, 16, v3
	v_trunc_f32_e32 v4, v4
	s_mov_b32 s0, 0x2f800000
	v_mul_f32_e64 v5, |v4|, s0
	v_floor_f32_e32 v5, v5
	s_mov_b32 s0, 0xcf800000
	v_cvt_u32_f32_e32 v6, v5
	v_fma_f32 v5, v5, s0, |v4|
	v_cvt_u32_f32_e32 v5, v5
	v_ashrrev_i32_e32 v7, 31, v4
	v_xor_b32_e32 v6, v6, v7
	s_mov_b64 s[0:1], 0
	v_xor_b32_e32 v4, v5, v7
	v_sub_co_u32_e32 v4, vcc, v4, v7
	v_subb_co_u32_e32 v5, vcc, v6, v7, vcc
	global_store_dwordx2 v[1:2], v[4:5], off
.LBB64_1998:
	s_andn2_b64 vcc, exec, s[0:1]
	s_cbranch_vccnz .LBB64_2000
; %bb.1999:
	v_lshlrev_b32_e32 v4, 16, v3
	v_cvt_i32_f32_e32 v4, v4
	global_store_dword v[1:2], v4, off
.LBB64_2000:
	s_mov_b64 s[0:1], 0
.LBB64_2001:
	s_andn2_b64 vcc, exec, s[0:1]
	s_cbranch_vccnz .LBB64_2003
; %bb.2002:
	v_lshlrev_b32_e32 v4, 16, v3
	v_cvt_i32_f32_e32 v4, v4
	global_store_short v[1:2], v4, off
.LBB64_2003:
	s_mov_b64 s[0:1], 0
.LBB64_2004:
	s_andn2_b64 vcc, exec, s[0:1]
	s_cbranch_vccnz .LBB64_2009
; %bb.2005:
	s_cmp_gt_i32 s4, 0
	s_mov_b64 s[0:1], -1
	s_cbranch_scc0 .LBB64_2007
; %bb.2006:
	v_lshlrev_b32_e32 v4, 16, v3
	v_cvt_i32_f32_e32 v4, v4
	s_mov_b64 s[0:1], 0
	global_store_byte v[1:2], v4, off
.LBB64_2007:
	s_andn2_b64 vcc, exec, s[0:1]
	s_cbranch_vccnz .LBB64_2009
; %bb.2008:
	v_lshlrev_b32_e32 v3, 16, v3
	v_trunc_f32_e32 v3, v3
	s_mov_b32 s0, 0x2f800000
	v_mul_f32_e64 v4, |v3|, s0
	v_floor_f32_e32 v4, v4
	s_mov_b32 s0, 0xcf800000
	v_fma_f32 v4, v4, s0, |v3|
	v_cvt_u32_f32_e32 v4, v4
	v_ashrrev_i32_e32 v3, 31, v3
	v_xor_b32_e32 v4, v4, v3
	v_sub_u32_e32 v3, v4, v3
	global_store_byte v[1:2], v3, off
.LBB64_2009:
	s_mov_b64 s[6:7], -1
.LBB64_2010:
	s_andn2_b64 vcc, exec, s[6:7]
	s_cbranch_vccnz .LBB64_2087
; %bb.2011:
	v_lshlrev_b32_e32 v1, 16, v9
	v_fma_f32 v2, |v1|, -0.5, 0.5
	v_mul_f32_e32 v3, v1, v1
	v_cmp_ge_f32_e64 vcc, |v1|, 0.5
	v_cndmask_b32_e32 v2, v3, v2, vcc
	v_mov_b32_e32 v3, 0x3c5fc5da
	v_fmac_f32_e32 v3, 0x3d1c21a7, v2
	v_mov_b32_e32 v4, 0x3d034c3c
	v_fmac_f32_e32 v4, v2, v3
	;; [unrolled: 2-line block ×4, first 2 shown]
	v_sqrt_f32_e32 v3, v2
	v_mov_b32_e32 v5, 0x3e2aaaac
	v_fmac_f32_e32 v5, v2, v4
	v_mul_f32_e32 v2, v2, v5
	v_fmac_f32_e32 v3, v3, v2
	v_add_f32_e32 v3, v3, v3
	v_sub_f32_e32 v3, 0x3fc90fdb, v3
	v_fma_f32 v2, |v1|, v2, |v1|
	v_cmp_lt_f32_e64 vcc, |v1|, 0.5
	v_cndmask_b32_e32 v2, v3, v2, vcc
	s_brev_b32 s0, -2
	v_bfi_b32 v1, s0, v2, v1
	v_bfe_u32 v2, v1, 16, 1
	s_movk_i32 s0, 0x7fff
	v_add3_u32 v2, v1, v2, s0
	v_cmp_o_f32_e32 vcc, v1, v1
	v_mov_b32_e32 v1, 0x7fc0
	v_cndmask_b32_sdwa v2, v1, v2, vcc dst_sel:DWORD dst_unused:UNUSED_PAD src0_sel:DWORD src1_sel:WORD_1
	v_mov_b32_e32 v1, s9
	v_add_co_u32_e32 v0, vcc, s8, v0
	s_cmp_lt_i32 s14, 11
	v_addc_co_u32_e32 v1, vcc, 0, v1, vcc
	s_cbranch_scc1 .LBB64_2132
; %bb.2012:
	s_and_b32 s12, 0xffff, s14
	s_mov_b64 s[6:7], -1
	s_mov_b64 s[4:5], 0
	s_cmp_gt_i32 s12, 25
	s_mov_b64 s[0:1], 0
	s_cbranch_scc0 .LBB64_2045
; %bb.2013:
	s_cmp_gt_i32 s12, 28
	s_cbranch_scc0 .LBB64_2029
; %bb.2014:
	s_cmp_gt_i32 s12, 43
	;; [unrolled: 3-line block ×3, first 2 shown]
	s_cbranch_scc0 .LBB64_2019
; %bb.2016:
	s_cmp_eq_u32 s12, 46
	s_mov_b64 s[0:1], -1
	s_cbranch_scc0 .LBB64_2018
; %bb.2017:
	v_and_b32_e32 v3, 0xffff, v2
	global_store_dword v[0:1], v3, off
	s_mov_b64 s[0:1], 0
.LBB64_2018:
	s_mov_b64 s[6:7], 0
.LBB64_2019:
	s_and_b64 vcc, exec, s[6:7]
	s_cbranch_vccz .LBB64_2024
; %bb.2020:
	s_cmp_eq_u32 s12, 44
	s_mov_b64 s[0:1], -1
	s_cbranch_scc0 .LBB64_2024
; %bb.2021:
	v_and_b32_e32 v4, 0xffff, v2
	v_bfe_u32 v3, v4, 7, 8
	s_movk_i32 s0, 0xff
	v_cmp_ne_u32_e32 vcc, s0, v3
	v_mov_b32_e32 v5, 0xff
	s_and_saveexec_b64 s[6:7], vcc
	s_cbranch_execz .LBB64_2023
; %bb.2022:
	v_lshlrev_b32_e32 v6, 16, v4
	s_mov_b32 s0, 0x3f0000
	v_lshrrev_b32_e32 v5, 7, v4
	v_and_b32_e32 v4, 64, v4
	v_and_or_b32 v3, v6, s0, v3
	v_cmp_ne_u32_e32 vcc, 0, v4
	v_cmp_ne_u32_e64 s[0:1], 0, v3
	s_and_b64 s[0:1], vcc, s[0:1]
	v_cndmask_b32_e64 v3, 0, 1, s[0:1]
	v_add_u32_e32 v5, v5, v3
.LBB64_2023:
	s_or_b64 exec, exec, s[6:7]
	s_mov_b64 s[0:1], 0
	global_store_byte v[0:1], v5, off
.LBB64_2024:
	s_mov_b64 s[6:7], 0
.LBB64_2025:
	s_and_b64 vcc, exec, s[6:7]
	s_cbranch_vccz .LBB64_2028
; %bb.2026:
	s_cmp_eq_u32 s12, 29
	s_mov_b64 s[0:1], -1
	s_cbranch_scc0 .LBB64_2028
; %bb.2027:
	v_lshlrev_b32_e32 v3, 16, v2
	v_trunc_f32_e32 v3, v3
	v_mul_f32_e32 v4, 0x2f800000, v3
	v_floor_f32_e32 v5, v4
	v_fmac_f32_e32 v3, 0xcf800000, v5
	v_cvt_u32_f32_e32 v4, v5
	v_cvt_u32_f32_e32 v3, v3
	s_mov_b64 s[0:1], 0
	global_store_dwordx2 v[0:1], v[3:4], off
.LBB64_2028:
	s_mov_b64 s[6:7], 0
.LBB64_2029:
	s_and_b64 vcc, exec, s[6:7]
	s_cbranch_vccz .LBB64_2044
; %bb.2030:
	s_cmp_lt_i32 s12, 27
	s_mov_b64 s[6:7], -1
	s_cbranch_scc1 .LBB64_2036
; %bb.2031:
	s_cmp_gt_i32 s12, 27
	s_cbranch_scc0 .LBB64_2033
; %bb.2032:
	v_lshlrev_b32_e32 v3, 16, v2
	v_cvt_u32_f32_e32 v3, v3
	s_mov_b64 s[6:7], 0
	global_store_dword v[0:1], v3, off
.LBB64_2033:
	s_andn2_b64 vcc, exec, s[6:7]
	s_cbranch_vccnz .LBB64_2035
; %bb.2034:
	v_lshlrev_b32_e32 v3, 16, v2
	v_cvt_u32_f32_e32 v3, v3
	global_store_short v[0:1], v3, off
.LBB64_2035:
	s_mov_b64 s[6:7], 0
.LBB64_2036:
	s_andn2_b64 vcc, exec, s[6:7]
	s_cbranch_vccnz .LBB64_2044
; %bb.2037:
	v_lshlrev_b32_e32 v5, 16, v2
	v_and_b32_e32 v4, 0x7fffffff, v5
	s_mov_b32 s6, 0x43800000
	v_cmp_gt_u32_e32 vcc, s6, v4
	v_mov_b32_e32 v6, 0x80
	s_and_saveexec_b64 s[6:7], vcc
	s_cbranch_execz .LBB64_2043
; %bb.2038:
	s_mov_b32 s8, 0x3bffffff
	v_and_b32_e32 v3, 0xffff, v2
	v_cmp_lt_u32_e32 vcc, s8, v4
	s_mov_b64 s[8:9], 0
                                        ; implicit-def: $vgpr4
	s_and_saveexec_b64 s[10:11], vcc
	s_xor_b64 s[10:11], exec, s[10:11]
	s_cbranch_execz .LBB64_2149
; %bb.2039:
	v_bfe_u32 v4, v3, 4, 1
	s_mov_b32 s13, 0x487ffff
	v_add3_u32 v4, v5, v4, s13
	s_mov_b64 s[8:9], exec
	v_lshrrev_b32_e32 v4, 20, v4
                                        ; implicit-def: $vgpr5
	s_andn2_saveexec_b64 s[10:11], s[10:11]
	s_cbranch_execnz .LBB64_2150
.LBB64_2040:
	s_or_b64 exec, exec, s[10:11]
	v_mov_b32_e32 v6, 0
	s_and_saveexec_b64 s[10:11], s[8:9]
.LBB64_2041:
	v_lshrrev_b32_e32 v3, 8, v3
	s_movk_i32 s8, 0x80
	v_and_or_b32 v6, v3, s8, v4
.LBB64_2042:
	s_or_b64 exec, exec, s[10:11]
.LBB64_2043:
	s_or_b64 exec, exec, s[6:7]
	global_store_byte v[0:1], v6, off
.LBB64_2044:
	s_mov_b64 s[6:7], 0
.LBB64_2045:
	s_and_b64 vcc, exec, s[6:7]
	s_cbranch_vccz .LBB64_2085
; %bb.2046:
	s_cmp_gt_i32 s12, 22
	s_mov_b64 s[4:5], -1
	s_cbranch_scc0 .LBB64_2078
; %bb.2047:
	s_cmp_lt_i32 s12, 24
	s_cbranch_scc1 .LBB64_2067
; %bb.2048:
	s_cmp_gt_i32 s12, 24
	s_cbranch_scc0 .LBB64_2056
; %bb.2049:
	v_lshlrev_b32_e32 v5, 16, v2
	v_and_b32_e32 v4, 0x7fffffff, v5
	s_mov_b32 s4, 0x47800000
	v_cmp_gt_u32_e32 vcc, s4, v4
	v_mov_b32_e32 v6, 0x80
	s_and_saveexec_b64 s[4:5], vcc
	s_cbranch_execz .LBB64_2055
; %bb.2050:
	s_mov_b32 s6, 0x37ffffff
	v_and_b32_e32 v3, 0xffff, v2
	v_cmp_lt_u32_e32 vcc, s6, v4
	s_mov_b64 s[6:7], 0
                                        ; implicit-def: $vgpr4
	s_and_saveexec_b64 s[8:9], vcc
	s_xor_b64 s[8:9], exec, s[8:9]
	s_cbranch_execz .LBB64_2152
; %bb.2051:
	v_bfe_u32 v4, v3, 5, 1
	s_mov_b32 s10, 0x88fffff
	v_add3_u32 v4, v5, v4, s10
	s_mov_b64 s[6:7], exec
	v_lshrrev_b32_e32 v4, 21, v4
                                        ; implicit-def: $vgpr5
	s_andn2_saveexec_b64 s[8:9], s[8:9]
	s_cbranch_execnz .LBB64_2153
.LBB64_2052:
	s_or_b64 exec, exec, s[8:9]
	v_mov_b32_e32 v6, 0
	s_and_saveexec_b64 s[8:9], s[6:7]
.LBB64_2053:
	v_lshrrev_b32_e32 v3, 8, v3
	s_movk_i32 s6, 0x80
	v_and_or_b32 v6, v3, s6, v4
.LBB64_2054:
	s_or_b64 exec, exec, s[8:9]
.LBB64_2055:
	s_or_b64 exec, exec, s[4:5]
	s_mov_b64 s[4:5], 0
	global_store_byte v[0:1], v6, off
.LBB64_2056:
	s_and_b64 vcc, exec, s[4:5]
	s_cbranch_vccz .LBB64_2066
; %bb.2057:
	v_lshlrev_b32_e32 v5, 16, v2
	v_and_b32_e32 v6, 0x7fffffff, v5
	s_mov_b32 s4, 0x43f00000
	v_and_b32_e32 v3, 0xffff, v2
	v_cmp_gt_u32_e32 vcc, s4, v6
                                        ; implicit-def: $vgpr4
	s_and_saveexec_b64 s[4:5], vcc
	s_xor_b64 s[4:5], exec, s[4:5]
	s_cbranch_execz .LBB64_2063
; %bb.2058:
	s_mov_b32 s6, 0x3c7fffff
	v_cmp_lt_u32_e32 vcc, s6, v6
                                        ; implicit-def: $vgpr4
	s_and_saveexec_b64 s[6:7], vcc
	s_xor_b64 s[6:7], exec, s[6:7]
; %bb.2059:
	v_bfe_u32 v4, v3, 4, 1
	s_mov_b32 s8, 0x407ffff
	v_add3_u32 v4, v5, v4, s8
	v_lshrrev_b32_e32 v5, 20, v4
	v_and_b32_e32 v4, 0xff00000, v4
	s_mov_b32 s8, 0x7f00000
	v_mov_b32_e32 v6, 0x7e
	v_cmp_ne_u32_e32 vcc, s8, v4
	v_cndmask_b32_e32 v4, v6, v5, vcc
                                        ; implicit-def: $vgpr5
; %bb.2060:
	s_andn2_saveexec_b64 s[6:7], s[6:7]
; %bb.2061:
	s_mov_b32 s8, 0x46800000
	v_add_f32_e64 v4, |v5|, s8
; %bb.2062:
	s_or_b64 exec, exec, s[6:7]
                                        ; implicit-def: $vgpr6
.LBB64_2063:
	s_andn2_saveexec_b64 s[4:5], s[4:5]
; %bb.2064:
	s_mov_b32 s6, 0x7f800000
	v_mov_b32_e32 v4, 0x7e
	v_mov_b32_e32 v5, 0x7f
	v_cmp_lt_u32_e32 vcc, s6, v6
	v_cndmask_b32_e32 v4, v4, v5, vcc
; %bb.2065:
	s_or_b64 exec, exec, s[4:5]
	v_lshrrev_b32_e32 v3, 8, v3
	s_movk_i32 s4, 0x80
	v_and_or_b32 v3, v3, s4, v4
	global_store_byte v[0:1], v3, off
.LBB64_2066:
	s_mov_b64 s[4:5], 0
.LBB64_2067:
	s_andn2_b64 vcc, exec, s[4:5]
	s_cbranch_vccnz .LBB64_2077
; %bb.2068:
	v_lshlrev_b32_e32 v5, 16, v2
	v_and_b32_e32 v6, 0x7fffffff, v5
	s_mov_b32 s4, 0x47800000
	v_and_b32_e32 v3, 0xffff, v2
	v_cmp_gt_u32_e32 vcc, s4, v6
                                        ; implicit-def: $vgpr4
	s_and_saveexec_b64 s[4:5], vcc
	s_xor_b64 s[4:5], exec, s[4:5]
	s_cbranch_execz .LBB64_2074
; %bb.2069:
	s_mov_b32 s6, 0x387fffff
	v_cmp_lt_u32_e32 vcc, s6, v6
                                        ; implicit-def: $vgpr4
	s_and_saveexec_b64 s[6:7], vcc
	s_xor_b64 s[6:7], exec, s[6:7]
; %bb.2070:
	v_bfe_u32 v4, v3, 5, 1
	s_mov_b32 s8, 0x80fffff
	v_add3_u32 v4, v5, v4, s8
	v_lshrrev_b32_e32 v4, 21, v4
                                        ; implicit-def: $vgpr5
; %bb.2071:
	s_andn2_saveexec_b64 s[6:7], s[6:7]
; %bb.2072:
	s_mov_b32 s8, 0x43000000
	v_add_f32_e64 v4, |v5|, s8
; %bb.2073:
	s_or_b64 exec, exec, s[6:7]
                                        ; implicit-def: $vgpr6
.LBB64_2074:
	s_andn2_saveexec_b64 s[4:5], s[4:5]
; %bb.2075:
	s_mov_b32 s6, 0x7f800000
	v_mov_b32_e32 v4, 0x7c
	v_mov_b32_e32 v5, 0x7f
	v_cmp_lt_u32_e32 vcc, s6, v6
	v_cndmask_b32_e32 v4, v4, v5, vcc
; %bb.2076:
	s_or_b64 exec, exec, s[4:5]
	v_lshrrev_b32_e32 v3, 8, v3
	s_movk_i32 s4, 0x80
	v_and_or_b32 v3, v3, s4, v4
	global_store_byte v[0:1], v3, off
.LBB64_2077:
	s_mov_b64 s[4:5], 0
.LBB64_2078:
	s_andn2_b64 vcc, exec, s[4:5]
	s_mov_b64 s[4:5], 0
	s_cbranch_vccnz .LBB64_2085
; %bb.2079:
	s_cmp_gt_i32 s12, 14
	s_mov_b64 s[6:7], -1
	s_cbranch_scc0 .LBB64_2083
; %bb.2080:
	s_cmp_eq_u32 s12, 15
	s_mov_b64 s[0:1], -1
	s_cbranch_scc0 .LBB64_2082
; %bb.2081:
	global_store_short v[0:1], v2, off
	s_mov_b64 s[0:1], 0
.LBB64_2082:
	s_mov_b64 s[6:7], 0
.LBB64_2083:
	s_and_b64 vcc, exec, s[6:7]
	s_cbranch_vccz .LBB64_2085
; %bb.2084:
	s_cmp_lg_u32 s12, 11
	s_mov_b64 s[4:5], -1
	s_cselect_b64 s[0:1], -1, 0
.LBB64_2085:
	s_and_b64 vcc, exec, s[0:1]
	s_cbranch_vccnz .LBB64_2151
.LBB64_2086:
	s_mov_b64 s[0:1], 0
	s_branch .LBB64_2088
.LBB64_2087:
	s_mov_b64 s[0:1], 0
	s_mov_b64 s[4:5], 0
                                        ; implicit-def: $vgpr0_vgpr1
                                        ; implicit-def: $sgpr14
                                        ; implicit-def: $vgpr2
.LBB64_2088:
	s_and_b64 s[6:7], s[4:5], exec
	s_andn2_b64 s[4:5], s[28:29], exec
	s_and_b64 s[2:3], s[2:3], exec
	s_and_b64 s[0:1], s[0:1], exec
	s_or_b64 s[28:29], s[4:5], s[2:3]
.LBB64_2089:
	s_or_b64 exec, exec, s[30:31]
	s_and_saveexec_b64 s[2:3], s[28:29]
	s_cbranch_execz .LBB64_2092
; %bb.2090:
	; divergent unreachable
	s_or_b64 exec, exec, s[2:3]
	s_and_saveexec_b64 s[2:3], s[6:7]
	s_xor_b64 s[2:3], exec, s[2:3]
	s_cbranch_execnz .LBB64_2093
.LBB64_2091:
	s_or_b64 exec, exec, s[2:3]
	s_and_saveexec_b64 s[2:3], s[0:1]
	s_cbranch_execnz .LBB64_2094
	s_branch .LBB64_2131
.LBB64_2092:
	s_or_b64 exec, exec, s[2:3]
	s_and_saveexec_b64 s[2:3], s[6:7]
	s_xor_b64 s[2:3], exec, s[2:3]
	s_cbranch_execz .LBB64_2091
.LBB64_2093:
	s_waitcnt vmcnt(0)
	v_and_b32_e32 v3, 0x7fff, v2
	v_cmp_ne_u16_e32 vcc, 0, v3
	v_cndmask_b32_e64 v3, 0, 1, vcc
	global_store_byte v[0:1], v3, off
	s_or_b64 exec, exec, s[2:3]
	s_and_saveexec_b64 s[2:3], s[0:1]
	s_cbranch_execz .LBB64_2131
.LBB64_2094:
	s_sext_i32_i16 s2, s14
	s_cmp_lt_i32 s2, 5
	s_mov_b64 s[0:1], -1
	s_cbranch_scc1 .LBB64_2115
; %bb.2095:
	s_cmp_lt_i32 s2, 8
	s_cbranch_scc1 .LBB64_2105
; %bb.2096:
	s_cmp_lt_i32 s2, 9
	s_cbranch_scc1 .LBB64_2102
; %bb.2097:
	s_cmp_gt_i32 s2, 9
	s_cbranch_scc0 .LBB64_2099
; %bb.2098:
	s_waitcnt vmcnt(0)
	v_lshlrev_b32_e32 v3, 16, v2
	v_cvt_f64_f32_e32 v[3:4], v3
	v_mov_b32_e32 v5, 0
	v_mov_b32_e32 v6, v5
	s_mov_b64 s[0:1], 0
	global_store_dwordx4 v[0:1], v[3:6], off
.LBB64_2099:
	s_andn2_b64 vcc, exec, s[0:1]
	s_cbranch_vccnz .LBB64_2101
; %bb.2100:
	s_waitcnt vmcnt(0)
	v_lshlrev_b32_e32 v3, 16, v2
	v_mov_b32_e32 v4, 0
	global_store_dwordx2 v[0:1], v[3:4], off
.LBB64_2101:
	s_mov_b64 s[0:1], 0
.LBB64_2102:
	s_andn2_b64 vcc, exec, s[0:1]
	s_cbranch_vccnz .LBB64_2104
; %bb.2103:
	s_waitcnt vmcnt(0)
	v_lshlrev_b32_e32 v3, 16, v2
	v_cvt_f16_f32_e32 v3, v3
	global_store_dword v[0:1], v3, off
.LBB64_2104:
	s_mov_b64 s[0:1], 0
.LBB64_2105:
	s_andn2_b64 vcc, exec, s[0:1]
	s_cbranch_vccnz .LBB64_2114
; %bb.2106:
	s_sext_i32_i16 s2, s14
	s_cmp_lt_i32 s2, 6
	s_mov_b64 s[0:1], -1
	s_cbranch_scc1 .LBB64_2112
; %bb.2107:
	s_cmp_gt_i32 s2, 6
	s_cbranch_scc0 .LBB64_2109
; %bb.2108:
	s_waitcnt vmcnt(0)
	v_lshlrev_b32_e32 v3, 16, v2
	v_cvt_f64_f32_e32 v[3:4], v3
	s_mov_b64 s[0:1], 0
	global_store_dwordx2 v[0:1], v[3:4], off
.LBB64_2109:
	s_andn2_b64 vcc, exec, s[0:1]
	s_cbranch_vccnz .LBB64_2111
; %bb.2110:
	s_waitcnt vmcnt(0)
	v_lshlrev_b32_e32 v3, 16, v2
	global_store_dword v[0:1], v3, off
.LBB64_2111:
	s_mov_b64 s[0:1], 0
.LBB64_2112:
	s_andn2_b64 vcc, exec, s[0:1]
	s_cbranch_vccnz .LBB64_2114
; %bb.2113:
	s_waitcnt vmcnt(0)
	v_lshlrev_b32_e32 v3, 16, v2
	v_cvt_f16_f32_e32 v3, v3
	global_store_short v[0:1], v3, off
.LBB64_2114:
	s_mov_b64 s[0:1], 0
.LBB64_2115:
	s_andn2_b64 vcc, exec, s[0:1]
	s_cbranch_vccnz .LBB64_2131
; %bb.2116:
	s_sext_i32_i16 s2, s14
	s_cmp_lt_i32 s2, 2
	s_mov_b64 s[0:1], -1
	s_cbranch_scc1 .LBB64_2126
; %bb.2117:
	s_cmp_lt_i32 s2, 3
	s_cbranch_scc1 .LBB64_2123
; %bb.2118:
	s_cmp_gt_i32 s2, 3
	s_cbranch_scc0 .LBB64_2120
; %bb.2119:
	s_waitcnt vmcnt(0)
	v_lshlrev_b32_e32 v3, 16, v2
	v_trunc_f32_e32 v3, v3
	s_mov_b32 s0, 0x2f800000
	v_mul_f32_e64 v4, |v3|, s0
	v_floor_f32_e32 v4, v4
	s_mov_b32 s0, 0xcf800000
	v_cvt_u32_f32_e32 v5, v4
	v_fma_f32 v4, v4, s0, |v3|
	v_cvt_u32_f32_e32 v4, v4
	v_ashrrev_i32_e32 v6, 31, v3
	v_xor_b32_e32 v5, v5, v6
	s_mov_b64 s[0:1], 0
	v_xor_b32_e32 v3, v4, v6
	v_sub_co_u32_e32 v3, vcc, v3, v6
	v_subb_co_u32_e32 v4, vcc, v5, v6, vcc
	global_store_dwordx2 v[0:1], v[3:4], off
.LBB64_2120:
	s_andn2_b64 vcc, exec, s[0:1]
	s_cbranch_vccnz .LBB64_2122
; %bb.2121:
	s_waitcnt vmcnt(0)
	v_lshlrev_b32_e32 v3, 16, v2
	v_cvt_i32_f32_e32 v3, v3
	global_store_dword v[0:1], v3, off
.LBB64_2122:
	s_mov_b64 s[0:1], 0
.LBB64_2123:
	s_andn2_b64 vcc, exec, s[0:1]
	s_cbranch_vccnz .LBB64_2125
; %bb.2124:
	s_waitcnt vmcnt(0)
	v_lshlrev_b32_e32 v3, 16, v2
	v_cvt_i32_f32_e32 v3, v3
	global_store_short v[0:1], v3, off
.LBB64_2125:
	s_mov_b64 s[0:1], 0
.LBB64_2126:
	s_andn2_b64 vcc, exec, s[0:1]
	s_cbranch_vccnz .LBB64_2131
; %bb.2127:
	s_sext_i32_i16 s0, s14
	s_cmp_gt_i32 s0, 0
	s_mov_b64 s[0:1], -1
	s_cbranch_scc0 .LBB64_2129
; %bb.2128:
	s_waitcnt vmcnt(0)
	v_lshlrev_b32_e32 v3, 16, v2
	v_cvt_i32_f32_e32 v3, v3
	s_mov_b64 s[0:1], 0
	global_store_byte v[0:1], v3, off
.LBB64_2129:
	s_andn2_b64 vcc, exec, s[0:1]
	s_cbranch_vccnz .LBB64_2131
; %bb.2130:
	v_lshlrev_b32_e32 v2, 16, v2
	v_trunc_f32_e32 v2, v2
	s_mov_b32 s0, 0x2f800000
	s_waitcnt vmcnt(0)
	v_mul_f32_e64 v3, |v2|, s0
	v_floor_f32_e32 v3, v3
	s_mov_b32 s0, 0xcf800000
	v_fma_f32 v3, v3, s0, |v2|
	v_cvt_u32_f32_e32 v3, v3
	v_ashrrev_i32_e32 v2, 31, v2
	v_xor_b32_e32 v3, v3, v2
	v_sub_u32_e32 v2, v3, v2
	global_store_byte v[0:1], v2, off
	s_endpgm
.LBB64_2131:
	s_endpgm
.LBB64_2132:
	s_mov_b64 s[4:5], 0
	s_mov_b64 s[0:1], -1
	s_branch .LBB64_2088
.LBB64_2133:
	s_trap 2
	s_or_b64 s[2:3], s[2:3], exec
	s_cbranch_execz .LBB64_1602
	s_branch .LBB64_1603
.LBB64_2134:
	s_andn2_saveexec_b64 s[12:13], s[12:13]
	s_cbranch_execz .LBB64_1682
.LBB64_2135:
	s_mov_b32 s17, 0x46000000
	v_add_f32_e64 v8, |v11|, s17
	v_and_b32_e32 v8, 0xff, v8
	v_cmp_ne_u32_e32 vcc, 0, v8
	s_andn2_b64 s[10:11], s[10:11], exec
	s_and_b64 s[18:19], vcc, exec
	s_or_b64 s[10:11], s[10:11], s[18:19]
	s_or_b64 exec, exec, s[12:13]
	v_mov_b32_e32 v12, 0
	s_and_saveexec_b64 s[12:13], s[10:11]
	s_cbranch_execnz .LBB64_1683
	s_branch .LBB64_1684
.LBB64_2136:
	s_trap 2
	s_or_b64 s[2:3], s[2:3], exec
	s_cbranch_execz .LBB64_1730
	s_branch .LBB64_1731
.LBB64_2137:
	s_andn2_saveexec_b64 s[10:11], s[10:11]
	s_cbranch_execz .LBB64_1695
.LBB64_2138:
	s_mov_b32 s12, 0x42800000
	v_add_f32_e64 v8, |v11|, s12
	v_and_b32_e32 v8, 0xff, v8
	v_cmp_ne_u32_e32 vcc, 0, v8
	s_andn2_b64 s[6:7], s[6:7], exec
	s_and_b64 s[12:13], vcc, exec
	s_or_b64 s[6:7], s[6:7], s[12:13]
	s_or_b64 exec, exec, s[10:11]
	v_mov_b32_e32 v12, 0
	s_and_saveexec_b64 s[10:11], s[6:7]
	s_cbranch_execnz .LBB64_1696
	s_branch .LBB64_1697
.LBB64_2139:
	s_andn2_saveexec_b64 s[12:13], s[12:13]
	s_cbranch_execz .LBB64_1801
.LBB64_2140:
	s_mov_b32 s16, 0x46000000
	v_add_f32_e64 v6, |v7|, s16
	v_and_b32_e32 v6, 0xff, v6
	v_cmp_ne_u32_e32 vcc, 0, v6
	s_andn2_b64 s[10:11], s[10:11], exec
	s_and_b64 s[16:17], vcc, exec
	s_or_b64 s[10:11], s[10:11], s[16:17]
	s_or_b64 exec, exec, s[12:13]
	v_mov_b32_e32 v8, 0
	s_and_saveexec_b64 s[12:13], s[10:11]
	s_cbranch_execnz .LBB64_1802
	s_branch .LBB64_1803
.LBB64_2141:
	s_trap 2
	s_or_b64 s[2:3], s[2:3], exec
	s_cbranch_execz .LBB64_1849
	s_branch .LBB64_1850
.LBB64_2142:
	s_andn2_saveexec_b64 s[10:11], s[10:11]
	s_cbranch_execz .LBB64_1814
.LBB64_2143:
	s_mov_b32 s12, 0x42800000
	v_add_f32_e64 v6, |v7|, s12
	v_and_b32_e32 v6, 0xff, v6
	v_cmp_ne_u32_e32 vcc, 0, v6
	s_andn2_b64 s[6:7], s[6:7], exec
	s_and_b64 s[12:13], vcc, exec
	s_or_b64 s[6:7], s[6:7], s[12:13]
	s_or_b64 exec, exec, s[10:11]
	v_mov_b32_e32 v8, 0
	s_and_saveexec_b64 s[10:11], s[6:7]
	s_cbranch_execnz .LBB64_1815
	s_branch .LBB64_1816
.LBB64_2144:
	s_andn2_saveexec_b64 s[12:13], s[12:13]
	s_cbranch_execz .LBB64_1920
.LBB64_2145:
	s_mov_b32 s16, 0x46000000
	v_add_f32_e64 v5, |v6|, s16
	v_and_b32_e32 v5, 0xff, v5
	v_cmp_ne_u32_e32 vcc, 0, v5
	s_andn2_b64 s[10:11], s[10:11], exec
	s_and_b64 s[16:17], vcc, exec
	s_or_b64 s[10:11], s[10:11], s[16:17]
	s_or_b64 exec, exec, s[12:13]
	v_mov_b32_e32 v7, 0
	s_and_saveexec_b64 s[12:13], s[10:11]
	s_cbranch_execnz .LBB64_1921
	s_branch .LBB64_1922
.LBB64_2146:
	s_trap 2
	s_or_b64 s[2:3], s[2:3], exec
	s_cbranch_execz .LBB64_1968
	s_branch .LBB64_1969
.LBB64_2147:
	s_andn2_saveexec_b64 s[10:11], s[10:11]
	s_cbranch_execz .LBB64_1933
.LBB64_2148:
	s_mov_b32 s12, 0x42800000
	v_add_f32_e64 v5, |v6|, s12
	v_and_b32_e32 v5, 0xff, v5
	v_cmp_ne_u32_e32 vcc, 0, v5
	s_andn2_b64 s[6:7], s[6:7], exec
	s_and_b64 s[12:13], vcc, exec
	s_or_b64 s[6:7], s[6:7], s[12:13]
	s_or_b64 exec, exec, s[10:11]
	v_mov_b32_e32 v7, 0
	s_and_saveexec_b64 s[10:11], s[6:7]
	s_cbranch_execnz .LBB64_1934
	s_branch .LBB64_1935
.LBB64_2149:
	s_andn2_saveexec_b64 s[10:11], s[10:11]
	s_cbranch_execz .LBB64_2040
.LBB64_2150:
	s_mov_b32 s13, 0x46000000
	v_add_f32_e64 v4, |v5|, s13
	v_and_b32_e32 v4, 0xff, v4
	v_cmp_ne_u32_e32 vcc, 0, v4
	s_andn2_b64 s[8:9], s[8:9], exec
	s_and_b64 s[16:17], vcc, exec
	s_or_b64 s[8:9], s[8:9], s[16:17]
	s_or_b64 exec, exec, s[10:11]
	v_mov_b32_e32 v6, 0
	s_and_saveexec_b64 s[10:11], s[8:9]
	s_cbranch_execnz .LBB64_2041
	s_branch .LBB64_2042
.LBB64_2151:
	s_mov_b64 s[4:5], 0
	s_or_b64 s[2:3], s[2:3], exec
	s_trap 2
	s_branch .LBB64_2086
.LBB64_2152:
	s_andn2_saveexec_b64 s[8:9], s[8:9]
	s_cbranch_execz .LBB64_2052
.LBB64_2153:
	s_mov_b32 s10, 0x42800000
	v_add_f32_e64 v4, |v5|, s10
	v_and_b32_e32 v4, 0xff, v4
	v_cmp_ne_u32_e32 vcc, 0, v4
	s_andn2_b64 s[6:7], s[6:7], exec
	s_and_b64 s[10:11], vcc, exec
	s_or_b64 s[6:7], s[6:7], s[10:11]
	s_or_b64 exec, exec, s[8:9]
	v_mov_b32_e32 v6, 0
	s_and_saveexec_b64 s[8:9], s[6:7]
	s_cbranch_execnz .LBB64_2053
	s_branch .LBB64_2054
	.section	.rodata,"a",@progbits
	.p2align	6, 0x0
	.amdhsa_kernel _ZN2at6native32elementwise_kernel_manual_unrollILi128ELi4EZNS0_15gpu_kernel_implIZZZNS0_16asin_kernel_cudaERNS_18TensorIteratorBaseEENKUlvE0_clEvENKUlvE2_clEvEUlN3c108BFloat16EE_EEvS4_RKT_EUlibE0_EEviT1_
		.amdhsa_group_segment_fixed_size 0
		.amdhsa_private_segment_fixed_size 0
		.amdhsa_kernarg_size 360
		.amdhsa_user_sgpr_count 6
		.amdhsa_user_sgpr_private_segment_buffer 1
		.amdhsa_user_sgpr_dispatch_ptr 0
		.amdhsa_user_sgpr_queue_ptr 0
		.amdhsa_user_sgpr_kernarg_segment_ptr 1
		.amdhsa_user_sgpr_dispatch_id 0
		.amdhsa_user_sgpr_flat_scratch_init 0
		.amdhsa_user_sgpr_private_segment_size 0
		.amdhsa_uses_dynamic_stack 0
		.amdhsa_system_sgpr_private_segment_wavefront_offset 0
		.amdhsa_system_sgpr_workgroup_id_x 1
		.amdhsa_system_sgpr_workgroup_id_y 0
		.amdhsa_system_sgpr_workgroup_id_z 0
		.amdhsa_system_sgpr_workgroup_info 0
		.amdhsa_system_vgpr_workitem_id 0
		.amdhsa_next_free_vgpr 18
		.amdhsa_next_free_sgpr 78
		.amdhsa_reserve_vcc 1
		.amdhsa_reserve_flat_scratch 0
		.amdhsa_float_round_mode_32 0
		.amdhsa_float_round_mode_16_64 0
		.amdhsa_float_denorm_mode_32 3
		.amdhsa_float_denorm_mode_16_64 3
		.amdhsa_dx10_clamp 1
		.amdhsa_ieee_mode 1
		.amdhsa_fp16_overflow 0
		.amdhsa_exception_fp_ieee_invalid_op 0
		.amdhsa_exception_fp_denorm_src 0
		.amdhsa_exception_fp_ieee_div_zero 0
		.amdhsa_exception_fp_ieee_overflow 0
		.amdhsa_exception_fp_ieee_underflow 0
		.amdhsa_exception_fp_ieee_inexact 0
		.amdhsa_exception_int_div_zero 0
	.end_amdhsa_kernel
	.section	.text._ZN2at6native32elementwise_kernel_manual_unrollILi128ELi4EZNS0_15gpu_kernel_implIZZZNS0_16asin_kernel_cudaERNS_18TensorIteratorBaseEENKUlvE0_clEvENKUlvE2_clEvEUlN3c108BFloat16EE_EEvS4_RKT_EUlibE0_EEviT1_,"axG",@progbits,_ZN2at6native32elementwise_kernel_manual_unrollILi128ELi4EZNS0_15gpu_kernel_implIZZZNS0_16asin_kernel_cudaERNS_18TensorIteratorBaseEENKUlvE0_clEvENKUlvE2_clEvEUlN3c108BFloat16EE_EEvS4_RKT_EUlibE0_EEviT1_,comdat
.Lfunc_end64:
	.size	_ZN2at6native32elementwise_kernel_manual_unrollILi128ELi4EZNS0_15gpu_kernel_implIZZZNS0_16asin_kernel_cudaERNS_18TensorIteratorBaseEENKUlvE0_clEvENKUlvE2_clEvEUlN3c108BFloat16EE_EEvS4_RKT_EUlibE0_EEviT1_, .Lfunc_end64-_ZN2at6native32elementwise_kernel_manual_unrollILi128ELi4EZNS0_15gpu_kernel_implIZZZNS0_16asin_kernel_cudaERNS_18TensorIteratorBaseEENKUlvE0_clEvENKUlvE2_clEvEUlN3c108BFloat16EE_EEvS4_RKT_EUlibE0_EEviT1_
                                        ; -- End function
	.set _ZN2at6native32elementwise_kernel_manual_unrollILi128ELi4EZNS0_15gpu_kernel_implIZZZNS0_16asin_kernel_cudaERNS_18TensorIteratorBaseEENKUlvE0_clEvENKUlvE2_clEvEUlN3c108BFloat16EE_EEvS4_RKT_EUlibE0_EEviT1_.num_vgpr, 18
	.set _ZN2at6native32elementwise_kernel_manual_unrollILi128ELi4EZNS0_15gpu_kernel_implIZZZNS0_16asin_kernel_cudaERNS_18TensorIteratorBaseEENKUlvE0_clEvENKUlvE2_clEvEUlN3c108BFloat16EE_EEvS4_RKT_EUlibE0_EEviT1_.num_agpr, 0
	.set _ZN2at6native32elementwise_kernel_manual_unrollILi128ELi4EZNS0_15gpu_kernel_implIZZZNS0_16asin_kernel_cudaERNS_18TensorIteratorBaseEENKUlvE0_clEvENKUlvE2_clEvEUlN3c108BFloat16EE_EEvS4_RKT_EUlibE0_EEviT1_.numbered_sgpr, 78
	.set _ZN2at6native32elementwise_kernel_manual_unrollILi128ELi4EZNS0_15gpu_kernel_implIZZZNS0_16asin_kernel_cudaERNS_18TensorIteratorBaseEENKUlvE0_clEvENKUlvE2_clEvEUlN3c108BFloat16EE_EEvS4_RKT_EUlibE0_EEviT1_.num_named_barrier, 0
	.set _ZN2at6native32elementwise_kernel_manual_unrollILi128ELi4EZNS0_15gpu_kernel_implIZZZNS0_16asin_kernel_cudaERNS_18TensorIteratorBaseEENKUlvE0_clEvENKUlvE2_clEvEUlN3c108BFloat16EE_EEvS4_RKT_EUlibE0_EEviT1_.private_seg_size, 0
	.set _ZN2at6native32elementwise_kernel_manual_unrollILi128ELi4EZNS0_15gpu_kernel_implIZZZNS0_16asin_kernel_cudaERNS_18TensorIteratorBaseEENKUlvE0_clEvENKUlvE2_clEvEUlN3c108BFloat16EE_EEvS4_RKT_EUlibE0_EEviT1_.uses_vcc, 1
	.set _ZN2at6native32elementwise_kernel_manual_unrollILi128ELi4EZNS0_15gpu_kernel_implIZZZNS0_16asin_kernel_cudaERNS_18TensorIteratorBaseEENKUlvE0_clEvENKUlvE2_clEvEUlN3c108BFloat16EE_EEvS4_RKT_EUlibE0_EEviT1_.uses_flat_scratch, 0
	.set _ZN2at6native32elementwise_kernel_manual_unrollILi128ELi4EZNS0_15gpu_kernel_implIZZZNS0_16asin_kernel_cudaERNS_18TensorIteratorBaseEENKUlvE0_clEvENKUlvE2_clEvEUlN3c108BFloat16EE_EEvS4_RKT_EUlibE0_EEviT1_.has_dyn_sized_stack, 0
	.set _ZN2at6native32elementwise_kernel_manual_unrollILi128ELi4EZNS0_15gpu_kernel_implIZZZNS0_16asin_kernel_cudaERNS_18TensorIteratorBaseEENKUlvE0_clEvENKUlvE2_clEvEUlN3c108BFloat16EE_EEvS4_RKT_EUlibE0_EEviT1_.has_recursion, 0
	.set _ZN2at6native32elementwise_kernel_manual_unrollILi128ELi4EZNS0_15gpu_kernel_implIZZZNS0_16asin_kernel_cudaERNS_18TensorIteratorBaseEENKUlvE0_clEvENKUlvE2_clEvEUlN3c108BFloat16EE_EEvS4_RKT_EUlibE0_EEviT1_.has_indirect_call, 0
	.section	.AMDGPU.csdata,"",@progbits
; Kernel info:
; codeLenInByte = 44448
; TotalNumSgprs: 82
; NumVgprs: 18
; ScratchSize: 0
; MemoryBound: 0
; FloatMode: 240
; IeeeMode: 1
; LDSByteSize: 0 bytes/workgroup (compile time only)
; SGPRBlocks: 10
; VGPRBlocks: 4
; NumSGPRsForWavesPerEU: 82
; NumVGPRsForWavesPerEU: 18
; Occupancy: 9
; WaveLimiterHint : 1
; COMPUTE_PGM_RSRC2:SCRATCH_EN: 0
; COMPUTE_PGM_RSRC2:USER_SGPR: 6
; COMPUTE_PGM_RSRC2:TRAP_HANDLER: 0
; COMPUTE_PGM_RSRC2:TGID_X_EN: 1
; COMPUTE_PGM_RSRC2:TGID_Y_EN: 0
; COMPUTE_PGM_RSRC2:TGID_Z_EN: 0
; COMPUTE_PGM_RSRC2:TIDIG_COMP_CNT: 0
	.section	.AMDGPU.gpr_maximums,"",@progbits
	.set amdgpu.max_num_vgpr, 50
	.set amdgpu.max_num_agpr, 0
	.set amdgpu.max_num_sgpr, 42
	.section	.AMDGPU.csdata,"",@progbits
	.type	__hip_cuid_7c4f9c356461eda5,@object ; @__hip_cuid_7c4f9c356461eda5
	.section	.bss,"aw",@nobits
	.globl	__hip_cuid_7c4f9c356461eda5
__hip_cuid_7c4f9c356461eda5:
	.byte	0                               ; 0x0
	.size	__hip_cuid_7c4f9c356461eda5, 1

	.ident	"AMD clang version 22.0.0git (https://github.com/RadeonOpenCompute/llvm-project roc-7.2.4 26084 f58b06dce1f9c15707c5f808fd002e18c2accf7e)"
	.section	".note.GNU-stack","",@progbits
	.addrsig
	.addrsig_sym __hip_cuid_7c4f9c356461eda5
	.amdgpu_metadata
---
amdhsa.kernels:
  - .args:
      - .offset:         0
        .size:           4
        .value_kind:     by_value
      - .offset:         4
        .size:           1
        .value_kind:     by_value
      - .offset:         8
        .size:           16
        .value_kind:     by_value
    .group_segment_fixed_size: 0
    .kernarg_segment_align: 8
    .kernarg_segment_size: 24
    .language:       OpenCL C
    .language_version:
      - 2
      - 0
    .max_flat_workgroup_size: 256
    .name:           _ZN2at6native29vectorized_elementwise_kernelILi16EZZZNS0_16asin_kernel_cudaERNS_18TensorIteratorBaseEENKUlvE_clEvENKUlvE_clEvEUlN3c107complexIdEEE_St5arrayIPcLm2EEEEviT0_T1_
    .private_segment_fixed_size: 12
    .sgpr_count:     52
    .sgpr_spill_count: 0
    .symbol:         _ZN2at6native29vectorized_elementwise_kernelILi16EZZZNS0_16asin_kernel_cudaERNS_18TensorIteratorBaseEENKUlvE_clEvENKUlvE_clEvEUlN3c107complexIdEEE_St5arrayIPcLm2EEEEviT0_T1_.kd
    .uniform_work_group_size: 1
    .uses_dynamic_stack: false
    .vgpr_count:     69
    .vgpr_spill_count: 0
    .wavefront_size: 64
  - .args:
      - .offset:         0
        .size:           4
        .value_kind:     by_value
      - .offset:         4
        .size:           1
        .value_kind:     by_value
      - .offset:         8
        .size:           16
        .value_kind:     by_value
    .group_segment_fixed_size: 0
    .kernarg_segment_align: 8
    .kernarg_segment_size: 24
    .language:       OpenCL C
    .language_version:
      - 2
      - 0
    .max_flat_workgroup_size: 256
    .name:           _ZN2at6native29vectorized_elementwise_kernelILi8EZZZNS0_16asin_kernel_cudaERNS_18TensorIteratorBaseEENKUlvE_clEvENKUlvE_clEvEUlN3c107complexIdEEE_St5arrayIPcLm2EEEEviT0_T1_
    .private_segment_fixed_size: 12
    .sgpr_count:     52
    .sgpr_spill_count: 0
    .symbol:         _ZN2at6native29vectorized_elementwise_kernelILi8EZZZNS0_16asin_kernel_cudaERNS_18TensorIteratorBaseEENKUlvE_clEvENKUlvE_clEvEUlN3c107complexIdEEE_St5arrayIPcLm2EEEEviT0_T1_.kd
    .uniform_work_group_size: 1
    .uses_dynamic_stack: false
    .vgpr_count:     69
    .vgpr_spill_count: 0
    .wavefront_size: 64
  - .args:
      - .offset:         0
        .size:           4
        .value_kind:     by_value
      - .offset:         4
        .size:           1
        .value_kind:     by_value
      - .offset:         8
        .size:           16
        .value_kind:     by_value
    .group_segment_fixed_size: 0
    .kernarg_segment_align: 8
    .kernarg_segment_size: 24
    .language:       OpenCL C
    .language_version:
      - 2
      - 0
    .max_flat_workgroup_size: 256
    .name:           _ZN2at6native29vectorized_elementwise_kernelILi4EZZZNS0_16asin_kernel_cudaERNS_18TensorIteratorBaseEENKUlvE_clEvENKUlvE_clEvEUlN3c107complexIdEEE_St5arrayIPcLm2EEEEviT0_T1_
    .private_segment_fixed_size: 12
    .sgpr_count:     52
    .sgpr_spill_count: 0
    .symbol:         _ZN2at6native29vectorized_elementwise_kernelILi4EZZZNS0_16asin_kernel_cudaERNS_18TensorIteratorBaseEENKUlvE_clEvENKUlvE_clEvEUlN3c107complexIdEEE_St5arrayIPcLm2EEEEviT0_T1_.kd
    .uniform_work_group_size: 1
    .uses_dynamic_stack: false
    .vgpr_count:     69
    .vgpr_spill_count: 0
    .wavefront_size: 64
  - .args:
      - .offset:         0
        .size:           4
        .value_kind:     by_value
      - .offset:         4
        .size:           1
        .value_kind:     by_value
      - .offset:         8
        .size:           16
        .value_kind:     by_value
    .group_segment_fixed_size: 0
    .kernarg_segment_align: 8
    .kernarg_segment_size: 24
    .language:       OpenCL C
    .language_version:
      - 2
      - 0
    .max_flat_workgroup_size: 256
    .name:           _ZN2at6native29vectorized_elementwise_kernelILi2EZZZNS0_16asin_kernel_cudaERNS_18TensorIteratorBaseEENKUlvE_clEvENKUlvE_clEvEUlN3c107complexIdEEE_St5arrayIPcLm2EEEEviT0_T1_
    .private_segment_fixed_size: 12
    .sgpr_count:     52
    .sgpr_spill_count: 0
    .symbol:         _ZN2at6native29vectorized_elementwise_kernelILi2EZZZNS0_16asin_kernel_cudaERNS_18TensorIteratorBaseEENKUlvE_clEvENKUlvE_clEvEUlN3c107complexIdEEE_St5arrayIPcLm2EEEEviT0_T1_.kd
    .uniform_work_group_size: 1
    .uses_dynamic_stack: false
    .vgpr_count:     69
    .vgpr_spill_count: 0
    .wavefront_size: 64
  - .args:
      - .offset:         0
        .size:           4
        .value_kind:     by_value
      - .offset:         4
        .size:           1
        .value_kind:     by_value
      - .offset:         8
        .size:           16
        .value_kind:     by_value
      - .offset:         24
        .size:           1
        .value_kind:     by_value
      - .offset:         25
        .size:           1
        .value_kind:     by_value
      - .offset:         26
        .size:           1
        .value_kind:     by_value
      - .offset:         27
        .size:           1
        .value_kind:     by_value
    .group_segment_fixed_size: 0
    .kernarg_segment_align: 8
    .kernarg_segment_size: 28
    .language:       OpenCL C
    .language_version:
      - 2
      - 0
    .max_flat_workgroup_size: 256
    .name:           _ZN2at6native27unrolled_elementwise_kernelIZZZNS0_16asin_kernel_cudaERNS_18TensorIteratorBaseEENKUlvE_clEvENKUlvE_clEvEUlN3c107complexIdEEE_St5arrayIPcLm2EELi4E23TrivialOffsetCalculatorILi1EjESE_NS0_6memory15LoadWithoutCastENSF_16StoreWithoutCastEEEviT_T0_T2_T3_T4_T5_
    .private_segment_fixed_size: 12
    .sgpr_count:     48
    .sgpr_spill_count: 0
    .symbol:         _ZN2at6native27unrolled_elementwise_kernelIZZZNS0_16asin_kernel_cudaERNS_18TensorIteratorBaseEENKUlvE_clEvENKUlvE_clEvEUlN3c107complexIdEEE_St5arrayIPcLm2EELi4E23TrivialOffsetCalculatorILi1EjESE_NS0_6memory15LoadWithoutCastENSF_16StoreWithoutCastEEEviT_T0_T2_T3_T4_T5_.kd
    .uniform_work_group_size: 1
    .uses_dynamic_stack: false
    .vgpr_count:     69
    .vgpr_spill_count: 0
    .wavefront_size: 64
  - .args:
      - .offset:         0
        .size:           4
        .value_kind:     by_value
      - .offset:         8
        .size:           352
        .value_kind:     by_value
    .group_segment_fixed_size: 0
    .kernarg_segment_align: 8
    .kernarg_segment_size: 360
    .language:       OpenCL C
    .language_version:
      - 2
      - 0
    .max_flat_workgroup_size: 128
    .name:           _ZN2at6native32elementwise_kernel_manual_unrollILi128ELi4EZNS0_22gpu_kernel_impl_nocastIZZZNS0_16asin_kernel_cudaERNS_18TensorIteratorBaseEENKUlvE_clEvENKUlvE_clEvEUlN3c107complexIdEEE_EEvS4_RKT_EUlibE_EEviT1_
    .private_segment_fixed_size: 12
    .sgpr_count:     73
    .sgpr_spill_count: 0
    .symbol:         _ZN2at6native32elementwise_kernel_manual_unrollILi128ELi4EZNS0_22gpu_kernel_impl_nocastIZZZNS0_16asin_kernel_cudaERNS_18TensorIteratorBaseEENKUlvE_clEvENKUlvE_clEvEUlN3c107complexIdEEE_EEvS4_RKT_EUlibE_EEviT1_.kd
    .uniform_work_group_size: 1
    .uses_dynamic_stack: false
    .vgpr_count:     62
    .vgpr_spill_count: 0
    .wavefront_size: 64
  - .args:
      - .offset:         0
        .size:           4
        .value_kind:     by_value
      - .offset:         8
        .size:           32
        .value_kind:     by_value
    .group_segment_fixed_size: 0
    .kernarg_segment_align: 8
    .kernarg_segment_size: 40
    .language:       OpenCL C
    .language_version:
      - 2
      - 0
    .max_flat_workgroup_size: 128
    .name:           _ZN2at6native32elementwise_kernel_manual_unrollILi128ELi4EZNS0_15gpu_kernel_implIZZZNS0_16asin_kernel_cudaERNS_18TensorIteratorBaseEENKUlvE_clEvENKUlvE_clEvEUlN3c107complexIdEEE_EEvS4_RKT_EUlibE_EEviT1_
    .private_segment_fixed_size: 12
    .sgpr_count:     69
    .sgpr_spill_count: 0
    .symbol:         _ZN2at6native32elementwise_kernel_manual_unrollILi128ELi4EZNS0_15gpu_kernel_implIZZZNS0_16asin_kernel_cudaERNS_18TensorIteratorBaseEENKUlvE_clEvENKUlvE_clEvEUlN3c107complexIdEEE_EEvS4_RKT_EUlibE_EEviT1_.kd
    .uniform_work_group_size: 1
    .uses_dynamic_stack: false
    .vgpr_count:     55
    .vgpr_spill_count: 0
    .wavefront_size: 64
  - .args:
      - .offset:         0
        .size:           4
        .value_kind:     by_value
      - .offset:         8
        .size:           352
        .value_kind:     by_value
    .group_segment_fixed_size: 0
    .kernarg_segment_align: 8
    .kernarg_segment_size: 360
    .language:       OpenCL C
    .language_version:
      - 2
      - 0
    .max_flat_workgroup_size: 128
    .name:           _ZN2at6native32elementwise_kernel_manual_unrollILi128ELi4EZNS0_15gpu_kernel_implIZZZNS0_16asin_kernel_cudaERNS_18TensorIteratorBaseEENKUlvE_clEvENKUlvE_clEvEUlN3c107complexIdEEE_EEvS4_RKT_EUlibE0_EEviT1_
    .private_segment_fixed_size: 12
    .sgpr_count:     93
    .sgpr_spill_count: 0
    .symbol:         _ZN2at6native32elementwise_kernel_manual_unrollILi128ELi4EZNS0_15gpu_kernel_implIZZZNS0_16asin_kernel_cudaERNS_18TensorIteratorBaseEENKUlvE_clEvENKUlvE_clEvEUlN3c107complexIdEEE_EEvS4_RKT_EUlibE0_EEviT1_.kd
    .uniform_work_group_size: 1
    .uses_dynamic_stack: false
    .vgpr_count:     63
    .vgpr_spill_count: 0
    .wavefront_size: 64
  - .args:
      - .offset:         0
        .size:           4
        .value_kind:     by_value
      - .offset:         4
        .size:           1
        .value_kind:     by_value
      - .offset:         8
        .size:           16
        .value_kind:     by_value
    .group_segment_fixed_size: 0
    .kernarg_segment_align: 8
    .kernarg_segment_size: 24
    .language:       OpenCL C
    .language_version:
      - 2
      - 0
    .max_flat_workgroup_size: 256
    .name:           _ZN2at6native29vectorized_elementwise_kernelILi16EZZZNS0_16asin_kernel_cudaERNS_18TensorIteratorBaseEENKUlvE_clEvENKUlvE0_clEvEUlN3c107complexIfEEE_St5arrayIPcLm2EEEEviT0_T1_
    .private_segment_fixed_size: 12
    .sgpr_count:     46
    .sgpr_spill_count: 0
    .symbol:         _ZN2at6native29vectorized_elementwise_kernelILi16EZZZNS0_16asin_kernel_cudaERNS_18TensorIteratorBaseEENKUlvE_clEvENKUlvE0_clEvEUlN3c107complexIfEEE_St5arrayIPcLm2EEEEviT0_T1_.kd
    .uniform_work_group_size: 1
    .uses_dynamic_stack: false
    .vgpr_count:     36
    .vgpr_spill_count: 0
    .wavefront_size: 64
  - .args:
      - .offset:         0
        .size:           4
        .value_kind:     by_value
      - .offset:         4
        .size:           1
        .value_kind:     by_value
      - .offset:         8
        .size:           16
        .value_kind:     by_value
    .group_segment_fixed_size: 0
    .kernarg_segment_align: 8
    .kernarg_segment_size: 24
    .language:       OpenCL C
    .language_version:
      - 2
      - 0
    .max_flat_workgroup_size: 256
    .name:           _ZN2at6native29vectorized_elementwise_kernelILi8EZZZNS0_16asin_kernel_cudaERNS_18TensorIteratorBaseEENKUlvE_clEvENKUlvE0_clEvEUlN3c107complexIfEEE_St5arrayIPcLm2EEEEviT0_T1_
    .private_segment_fixed_size: 12
    .sgpr_count:     46
    .sgpr_spill_count: 0
    .symbol:         _ZN2at6native29vectorized_elementwise_kernelILi8EZZZNS0_16asin_kernel_cudaERNS_18TensorIteratorBaseEENKUlvE_clEvENKUlvE0_clEvEUlN3c107complexIfEEE_St5arrayIPcLm2EEEEviT0_T1_.kd
    .uniform_work_group_size: 1
    .uses_dynamic_stack: false
    .vgpr_count:     36
    .vgpr_spill_count: 0
    .wavefront_size: 64
  - .args:
      - .offset:         0
        .size:           4
        .value_kind:     by_value
      - .offset:         4
        .size:           1
        .value_kind:     by_value
      - .offset:         8
        .size:           16
        .value_kind:     by_value
    .group_segment_fixed_size: 0
    .kernarg_segment_align: 8
    .kernarg_segment_size: 24
    .language:       OpenCL C
    .language_version:
      - 2
      - 0
    .max_flat_workgroup_size: 256
    .name:           _ZN2at6native29vectorized_elementwise_kernelILi4EZZZNS0_16asin_kernel_cudaERNS_18TensorIteratorBaseEENKUlvE_clEvENKUlvE0_clEvEUlN3c107complexIfEEE_St5arrayIPcLm2EEEEviT0_T1_
    .private_segment_fixed_size: 12
    .sgpr_count:     46
    .sgpr_spill_count: 0
    .symbol:         _ZN2at6native29vectorized_elementwise_kernelILi4EZZZNS0_16asin_kernel_cudaERNS_18TensorIteratorBaseEENKUlvE_clEvENKUlvE0_clEvEUlN3c107complexIfEEE_St5arrayIPcLm2EEEEviT0_T1_.kd
    .uniform_work_group_size: 1
    .uses_dynamic_stack: false
    .vgpr_count:     36
    .vgpr_spill_count: 0
    .wavefront_size: 64
  - .args:
      - .offset:         0
        .size:           4
        .value_kind:     by_value
      - .offset:         4
        .size:           1
        .value_kind:     by_value
      - .offset:         8
        .size:           16
        .value_kind:     by_value
    .group_segment_fixed_size: 0
    .kernarg_segment_align: 8
    .kernarg_segment_size: 24
    .language:       OpenCL C
    .language_version:
      - 2
      - 0
    .max_flat_workgroup_size: 256
    .name:           _ZN2at6native29vectorized_elementwise_kernelILi2EZZZNS0_16asin_kernel_cudaERNS_18TensorIteratorBaseEENKUlvE_clEvENKUlvE0_clEvEUlN3c107complexIfEEE_St5arrayIPcLm2EEEEviT0_T1_
    .private_segment_fixed_size: 12
    .sgpr_count:     46
    .sgpr_spill_count: 0
    .symbol:         _ZN2at6native29vectorized_elementwise_kernelILi2EZZZNS0_16asin_kernel_cudaERNS_18TensorIteratorBaseEENKUlvE_clEvENKUlvE0_clEvEUlN3c107complexIfEEE_St5arrayIPcLm2EEEEviT0_T1_.kd
    .uniform_work_group_size: 1
    .uses_dynamic_stack: false
    .vgpr_count:     36
    .vgpr_spill_count: 0
    .wavefront_size: 64
  - .args:
      - .offset:         0
        .size:           4
        .value_kind:     by_value
      - .offset:         4
        .size:           1
        .value_kind:     by_value
      - .offset:         8
        .size:           16
        .value_kind:     by_value
      - .offset:         24
        .size:           1
        .value_kind:     by_value
      - .offset:         25
        .size:           1
        .value_kind:     by_value
      - .offset:         26
        .size:           1
        .value_kind:     by_value
      - .offset:         27
        .size:           1
        .value_kind:     by_value
    .group_segment_fixed_size: 0
    .kernarg_segment_align: 8
    .kernarg_segment_size: 28
    .language:       OpenCL C
    .language_version:
      - 2
      - 0
    .max_flat_workgroup_size: 256
    .name:           _ZN2at6native27unrolled_elementwise_kernelIZZZNS0_16asin_kernel_cudaERNS_18TensorIteratorBaseEENKUlvE_clEvENKUlvE0_clEvEUlN3c107complexIfEEE_St5arrayIPcLm2EELi4E23TrivialOffsetCalculatorILi1EjESE_NS0_6memory15LoadWithoutCastENSF_16StoreWithoutCastEEEviT_T0_T2_T3_T4_T5_
    .private_segment_fixed_size: 12
    .sgpr_count:     43
    .sgpr_spill_count: 0
    .symbol:         _ZN2at6native27unrolled_elementwise_kernelIZZZNS0_16asin_kernel_cudaERNS_18TensorIteratorBaseEENKUlvE_clEvENKUlvE0_clEvEUlN3c107complexIfEEE_St5arrayIPcLm2EELi4E23TrivialOffsetCalculatorILi1EjESE_NS0_6memory15LoadWithoutCastENSF_16StoreWithoutCastEEEviT_T0_T2_T3_T4_T5_.kd
    .uniform_work_group_size: 1
    .uses_dynamic_stack: false
    .vgpr_count:     36
    .vgpr_spill_count: 0
    .wavefront_size: 64
  - .args:
      - .offset:         0
        .size:           4
        .value_kind:     by_value
      - .offset:         8
        .size:           352
        .value_kind:     by_value
    .group_segment_fixed_size: 0
    .kernarg_segment_align: 8
    .kernarg_segment_size: 360
    .language:       OpenCL C
    .language_version:
      - 2
      - 0
    .max_flat_workgroup_size: 128
    .name:           _ZN2at6native32elementwise_kernel_manual_unrollILi128ELi4EZNS0_22gpu_kernel_impl_nocastIZZZNS0_16asin_kernel_cudaERNS_18TensorIteratorBaseEENKUlvE_clEvENKUlvE0_clEvEUlN3c107complexIfEEE_EEvS4_RKT_EUlibE_EEviT1_
    .private_segment_fixed_size: 12
    .sgpr_count:     70
    .sgpr_spill_count: 0
    .symbol:         _ZN2at6native32elementwise_kernel_manual_unrollILi128ELi4EZNS0_22gpu_kernel_impl_nocastIZZZNS0_16asin_kernel_cudaERNS_18TensorIteratorBaseEENKUlvE_clEvENKUlvE0_clEvEUlN3c107complexIfEEE_EEvS4_RKT_EUlibE_EEviT1_.kd
    .uniform_work_group_size: 1
    .uses_dynamic_stack: false
    .vgpr_count:     33
    .vgpr_spill_count: 0
    .wavefront_size: 64
  - .args:
      - .offset:         0
        .size:           4
        .value_kind:     by_value
      - .offset:         8
        .size:           32
        .value_kind:     by_value
    .group_segment_fixed_size: 0
    .kernarg_segment_align: 8
    .kernarg_segment_size: 40
    .language:       OpenCL C
    .language_version:
      - 2
      - 0
    .max_flat_workgroup_size: 128
    .name:           _ZN2at6native32elementwise_kernel_manual_unrollILi128ELi4EZNS0_15gpu_kernel_implIZZZNS0_16asin_kernel_cudaERNS_18TensorIteratorBaseEENKUlvE_clEvENKUlvE0_clEvEUlN3c107complexIfEEE_EEvS4_RKT_EUlibE_EEviT1_
    .private_segment_fixed_size: 12
    .sgpr_count:     62
    .sgpr_spill_count: 0
    .symbol:         _ZN2at6native32elementwise_kernel_manual_unrollILi128ELi4EZNS0_15gpu_kernel_implIZZZNS0_16asin_kernel_cudaERNS_18TensorIteratorBaseEENKUlvE_clEvENKUlvE0_clEvEUlN3c107complexIfEEE_EEvS4_RKT_EUlibE_EEviT1_.kd
    .uniform_work_group_size: 1
    .uses_dynamic_stack: false
    .vgpr_count:     29
    .vgpr_spill_count: 0
    .wavefront_size: 64
  - .args:
      - .offset:         0
        .size:           4
        .value_kind:     by_value
      - .offset:         8
        .size:           352
        .value_kind:     by_value
    .group_segment_fixed_size: 0
    .kernarg_segment_align: 8
    .kernarg_segment_size: 360
    .language:       OpenCL C
    .language_version:
      - 2
      - 0
    .max_flat_workgroup_size: 128
    .name:           _ZN2at6native32elementwise_kernel_manual_unrollILi128ELi4EZNS0_15gpu_kernel_implIZZZNS0_16asin_kernel_cudaERNS_18TensorIteratorBaseEENKUlvE_clEvENKUlvE0_clEvEUlN3c107complexIfEEE_EEvS4_RKT_EUlibE0_EEviT1_
    .private_segment_fixed_size: 12
    .sgpr_count:     85
    .sgpr_spill_count: 0
    .symbol:         _ZN2at6native32elementwise_kernel_manual_unrollILi128ELi4EZNS0_15gpu_kernel_implIZZZNS0_16asin_kernel_cudaERNS_18TensorIteratorBaseEENKUlvE_clEvENKUlvE0_clEvEUlN3c107complexIfEEE_EEvS4_RKT_EUlibE0_EEviT1_.kd
    .uniform_work_group_size: 1
    .uses_dynamic_stack: false
    .vgpr_count:     36
    .vgpr_spill_count: 0
    .wavefront_size: 64
  - .args:
      - .offset:         0
        .size:           4
        .value_kind:     by_value
      - .offset:         4
        .size:           1
        .value_kind:     by_value
      - .offset:         8
        .size:           16
        .value_kind:     by_value
    .group_segment_fixed_size: 0
    .kernarg_segment_align: 8
    .kernarg_segment_size: 24
    .language:       OpenCL C
    .language_version:
      - 2
      - 0
    .max_flat_workgroup_size: 256
    .name:           _ZN2at6native29vectorized_elementwise_kernelILi16EZZZNS0_16asin_kernel_cudaERNS_18TensorIteratorBaseEENKUlvE_clEvENKUlvE1_clEvEUlN3c107complexINS6_4HalfEEEE_St5arrayIPcLm2EEEEviT0_T1_
    .private_segment_fixed_size: 12
    .sgpr_count:     46
    .sgpr_spill_count: 0
    .symbol:         _ZN2at6native29vectorized_elementwise_kernelILi16EZZZNS0_16asin_kernel_cudaERNS_18TensorIteratorBaseEENKUlvE_clEvENKUlvE1_clEvEUlN3c107complexINS6_4HalfEEEE_St5arrayIPcLm2EEEEviT0_T1_.kd
    .uniform_work_group_size: 1
    .uses_dynamic_stack: false
    .vgpr_count:     29
    .vgpr_spill_count: 0
    .wavefront_size: 64
  - .args:
      - .offset:         0
        .size:           4
        .value_kind:     by_value
      - .offset:         4
        .size:           1
        .value_kind:     by_value
      - .offset:         8
        .size:           16
        .value_kind:     by_value
    .group_segment_fixed_size: 0
    .kernarg_segment_align: 8
    .kernarg_segment_size: 24
    .language:       OpenCL C
    .language_version:
      - 2
      - 0
    .max_flat_workgroup_size: 256
    .name:           _ZN2at6native29vectorized_elementwise_kernelILi8EZZZNS0_16asin_kernel_cudaERNS_18TensorIteratorBaseEENKUlvE_clEvENKUlvE1_clEvEUlN3c107complexINS6_4HalfEEEE_St5arrayIPcLm2EEEEviT0_T1_
    .private_segment_fixed_size: 12
    .sgpr_count:     46
    .sgpr_spill_count: 0
    .symbol:         _ZN2at6native29vectorized_elementwise_kernelILi8EZZZNS0_16asin_kernel_cudaERNS_18TensorIteratorBaseEENKUlvE_clEvENKUlvE1_clEvEUlN3c107complexINS6_4HalfEEEE_St5arrayIPcLm2EEEEviT0_T1_.kd
    .uniform_work_group_size: 1
    .uses_dynamic_stack: false
    .vgpr_count:     29
    .vgpr_spill_count: 0
    .wavefront_size: 64
  - .args:
      - .offset:         0
        .size:           4
        .value_kind:     by_value
      - .offset:         4
        .size:           1
        .value_kind:     by_value
      - .offset:         8
        .size:           16
        .value_kind:     by_value
    .group_segment_fixed_size: 0
    .kernarg_segment_align: 8
    .kernarg_segment_size: 24
    .language:       OpenCL C
    .language_version:
      - 2
      - 0
    .max_flat_workgroup_size: 256
    .name:           _ZN2at6native29vectorized_elementwise_kernelILi4EZZZNS0_16asin_kernel_cudaERNS_18TensorIteratorBaseEENKUlvE_clEvENKUlvE1_clEvEUlN3c107complexINS6_4HalfEEEE_St5arrayIPcLm2EEEEviT0_T1_
    .private_segment_fixed_size: 12
    .sgpr_count:     46
    .sgpr_spill_count: 0
    .symbol:         _ZN2at6native29vectorized_elementwise_kernelILi4EZZZNS0_16asin_kernel_cudaERNS_18TensorIteratorBaseEENKUlvE_clEvENKUlvE1_clEvEUlN3c107complexINS6_4HalfEEEE_St5arrayIPcLm2EEEEviT0_T1_.kd
    .uniform_work_group_size: 1
    .uses_dynamic_stack: false
    .vgpr_count:     29
    .vgpr_spill_count: 0
    .wavefront_size: 64
  - .args:
      - .offset:         0
        .size:           4
        .value_kind:     by_value
      - .offset:         4
        .size:           1
        .value_kind:     by_value
      - .offset:         8
        .size:           16
        .value_kind:     by_value
    .group_segment_fixed_size: 0
    .kernarg_segment_align: 8
    .kernarg_segment_size: 24
    .language:       OpenCL C
    .language_version:
      - 2
      - 0
    .max_flat_workgroup_size: 256
    .name:           _ZN2at6native29vectorized_elementwise_kernelILi2EZZZNS0_16asin_kernel_cudaERNS_18TensorIteratorBaseEENKUlvE_clEvENKUlvE1_clEvEUlN3c107complexINS6_4HalfEEEE_St5arrayIPcLm2EEEEviT0_T1_
    .private_segment_fixed_size: 12
    .sgpr_count:     46
    .sgpr_spill_count: 0
    .symbol:         _ZN2at6native29vectorized_elementwise_kernelILi2EZZZNS0_16asin_kernel_cudaERNS_18TensorIteratorBaseEENKUlvE_clEvENKUlvE1_clEvEUlN3c107complexINS6_4HalfEEEE_St5arrayIPcLm2EEEEviT0_T1_.kd
    .uniform_work_group_size: 1
    .uses_dynamic_stack: false
    .vgpr_count:     29
    .vgpr_spill_count: 0
    .wavefront_size: 64
  - .args:
      - .offset:         0
        .size:           4
        .value_kind:     by_value
      - .offset:         4
        .size:           1
        .value_kind:     by_value
      - .offset:         8
        .size:           16
        .value_kind:     by_value
      - .offset:         24
        .size:           1
        .value_kind:     by_value
      - .offset:         25
        .size:           1
        .value_kind:     by_value
      - .offset:         26
        .size:           1
        .value_kind:     by_value
      - .offset:         27
        .size:           1
        .value_kind:     by_value
    .group_segment_fixed_size: 0
    .kernarg_segment_align: 8
    .kernarg_segment_size: 28
    .language:       OpenCL C
    .language_version:
      - 2
      - 0
    .max_flat_workgroup_size: 256
    .name:           _ZN2at6native27unrolled_elementwise_kernelIZZZNS0_16asin_kernel_cudaERNS_18TensorIteratorBaseEENKUlvE_clEvENKUlvE1_clEvEUlN3c107complexINS6_4HalfEEEE_St5arrayIPcLm2EELi4E23TrivialOffsetCalculatorILi1EjESF_NS0_6memory15LoadWithoutCastENSG_16StoreWithoutCastEEEviT_T0_T2_T3_T4_T5_
    .private_segment_fixed_size: 12
    .sgpr_count:     43
    .sgpr_spill_count: 0
    .symbol:         _ZN2at6native27unrolled_elementwise_kernelIZZZNS0_16asin_kernel_cudaERNS_18TensorIteratorBaseEENKUlvE_clEvENKUlvE1_clEvEUlN3c107complexINS6_4HalfEEEE_St5arrayIPcLm2EELi4E23TrivialOffsetCalculatorILi1EjESF_NS0_6memory15LoadWithoutCastENSG_16StoreWithoutCastEEEviT_T0_T2_T3_T4_T5_.kd
    .uniform_work_group_size: 1
    .uses_dynamic_stack: false
    .vgpr_count:     29
    .vgpr_spill_count: 0
    .wavefront_size: 64
  - .args:
      - .offset:         0
        .size:           4
        .value_kind:     by_value
      - .offset:         8
        .size:           352
        .value_kind:     by_value
    .group_segment_fixed_size: 0
    .kernarg_segment_align: 8
    .kernarg_segment_size: 360
    .language:       OpenCL C
    .language_version:
      - 2
      - 0
    .max_flat_workgroup_size: 128
    .name:           _ZN2at6native32elementwise_kernel_manual_unrollILi128ELi4EZNS0_22gpu_kernel_impl_nocastIZZZNS0_16asin_kernel_cudaERNS_18TensorIteratorBaseEENKUlvE_clEvENKUlvE1_clEvEUlN3c107complexINS7_4HalfEEEE_EEvS4_RKT_EUlibE_EEviT1_
    .private_segment_fixed_size: 12
    .sgpr_count:     70
    .sgpr_spill_count: 0
    .symbol:         _ZN2at6native32elementwise_kernel_manual_unrollILi128ELi4EZNS0_22gpu_kernel_impl_nocastIZZZNS0_16asin_kernel_cudaERNS_18TensorIteratorBaseEENKUlvE_clEvENKUlvE1_clEvEUlN3c107complexINS7_4HalfEEEE_EEvS4_RKT_EUlibE_EEviT1_.kd
    .uniform_work_group_size: 1
    .uses_dynamic_stack: false
    .vgpr_count:     29
    .vgpr_spill_count: 0
    .wavefront_size: 64
  - .args:
      - .offset:         0
        .size:           4
        .value_kind:     by_value
      - .offset:         8
        .size:           32
        .value_kind:     by_value
    .group_segment_fixed_size: 0
    .kernarg_segment_align: 8
    .kernarg_segment_size: 40
    .language:       OpenCL C
    .language_version:
      - 2
      - 0
    .max_flat_workgroup_size: 128
    .name:           _ZN2at6native32elementwise_kernel_manual_unrollILi128ELi4EZNS0_15gpu_kernel_implIZZZNS0_16asin_kernel_cudaERNS_18TensorIteratorBaseEENKUlvE_clEvENKUlvE1_clEvEUlN3c107complexINS7_4HalfEEEE_EEvS4_RKT_EUlibE_EEviT1_
    .private_segment_fixed_size: 12
    .sgpr_count:     62
    .sgpr_spill_count: 0
    .symbol:         _ZN2at6native32elementwise_kernel_manual_unrollILi128ELi4EZNS0_15gpu_kernel_implIZZZNS0_16asin_kernel_cudaERNS_18TensorIteratorBaseEENKUlvE_clEvENKUlvE1_clEvEUlN3c107complexINS7_4HalfEEEE_EEvS4_RKT_EUlibE_EEviT1_.kd
    .uniform_work_group_size: 1
    .uses_dynamic_stack: false
    .vgpr_count:     27
    .vgpr_spill_count: 0
    .wavefront_size: 64
  - .args:
      - .offset:         0
        .size:           4
        .value_kind:     by_value
      - .offset:         8
        .size:           352
        .value_kind:     by_value
    .group_segment_fixed_size: 0
    .kernarg_segment_align: 8
    .kernarg_segment_size: 360
    .language:       OpenCL C
    .language_version:
      - 2
      - 0
    .max_flat_workgroup_size: 128
    .name:           _ZN2at6native32elementwise_kernel_manual_unrollILi128ELi4EZNS0_15gpu_kernel_implIZZZNS0_16asin_kernel_cudaERNS_18TensorIteratorBaseEENKUlvE_clEvENKUlvE1_clEvEUlN3c107complexINS7_4HalfEEEE_EEvS4_RKT_EUlibE0_EEviT1_
    .private_segment_fixed_size: 12
    .sgpr_count:     85
    .sgpr_spill_count: 0
    .symbol:         _ZN2at6native32elementwise_kernel_manual_unrollILi128ELi4EZNS0_15gpu_kernel_implIZZZNS0_16asin_kernel_cudaERNS_18TensorIteratorBaseEENKUlvE_clEvENKUlvE1_clEvEUlN3c107complexINS7_4HalfEEEE_EEvS4_RKT_EUlibE0_EEviT1_.kd
    .uniform_work_group_size: 1
    .uses_dynamic_stack: false
    .vgpr_count:     33
    .vgpr_spill_count: 0
    .wavefront_size: 64
  - .args:
      - .offset:         0
        .size:           4
        .value_kind:     by_value
      - .offset:         4
        .size:           1
        .value_kind:     by_value
      - .offset:         8
        .size:           16
        .value_kind:     by_value
    .group_segment_fixed_size: 0
    .kernarg_segment_align: 8
    .kernarg_segment_size: 24
    .language:       OpenCL C
    .language_version:
      - 2
      - 0
    .max_flat_workgroup_size: 256
    .name:           _ZN2at6native29vectorized_elementwise_kernelILi16EZZZNS0_16asin_kernel_cudaERNS_18TensorIteratorBaseEENKUlvE0_clEvENKUlvE_clEvEUldE_St5arrayIPcLm2EEEEviT0_T1_
    .private_segment_fixed_size: 0
    .sgpr_count:     40
    .sgpr_spill_count: 0
    .symbol:         _ZN2at6native29vectorized_elementwise_kernelILi16EZZZNS0_16asin_kernel_cudaERNS_18TensorIteratorBaseEENKUlvE0_clEvENKUlvE_clEvEUldE_St5arrayIPcLm2EEEEviT0_T1_.kd
    .uniform_work_group_size: 1
    .uses_dynamic_stack: false
    .vgpr_count:     30
    .vgpr_spill_count: 0
    .wavefront_size: 64
  - .args:
      - .offset:         0
        .size:           4
        .value_kind:     by_value
      - .offset:         4
        .size:           1
        .value_kind:     by_value
      - .offset:         8
        .size:           16
        .value_kind:     by_value
    .group_segment_fixed_size: 0
    .kernarg_segment_align: 8
    .kernarg_segment_size: 24
    .language:       OpenCL C
    .language_version:
      - 2
      - 0
    .max_flat_workgroup_size: 256
    .name:           _ZN2at6native29vectorized_elementwise_kernelILi8EZZZNS0_16asin_kernel_cudaERNS_18TensorIteratorBaseEENKUlvE0_clEvENKUlvE_clEvEUldE_St5arrayIPcLm2EEEEviT0_T1_
    .private_segment_fixed_size: 0
    .sgpr_count:     40
    .sgpr_spill_count: 0
    .symbol:         _ZN2at6native29vectorized_elementwise_kernelILi8EZZZNS0_16asin_kernel_cudaERNS_18TensorIteratorBaseEENKUlvE0_clEvENKUlvE_clEvEUldE_St5arrayIPcLm2EEEEviT0_T1_.kd
    .uniform_work_group_size: 1
    .uses_dynamic_stack: false
    .vgpr_count:     30
    .vgpr_spill_count: 0
    .wavefront_size: 64
  - .args:
      - .offset:         0
        .size:           4
        .value_kind:     by_value
      - .offset:         4
        .size:           1
        .value_kind:     by_value
      - .offset:         8
        .size:           16
        .value_kind:     by_value
    .group_segment_fixed_size: 0
    .kernarg_segment_align: 8
    .kernarg_segment_size: 24
    .language:       OpenCL C
    .language_version:
      - 2
      - 0
    .max_flat_workgroup_size: 256
    .name:           _ZN2at6native29vectorized_elementwise_kernelILi4EZZZNS0_16asin_kernel_cudaERNS_18TensorIteratorBaseEENKUlvE0_clEvENKUlvE_clEvEUldE_St5arrayIPcLm2EEEEviT0_T1_
    .private_segment_fixed_size: 0
    .sgpr_count:     40
    .sgpr_spill_count: 0
    .symbol:         _ZN2at6native29vectorized_elementwise_kernelILi4EZZZNS0_16asin_kernel_cudaERNS_18TensorIteratorBaseEENKUlvE0_clEvENKUlvE_clEvEUldE_St5arrayIPcLm2EEEEviT0_T1_.kd
    .uniform_work_group_size: 1
    .uses_dynamic_stack: false
    .vgpr_count:     30
    .vgpr_spill_count: 0
    .wavefront_size: 64
  - .args:
      - .offset:         0
        .size:           4
        .value_kind:     by_value
      - .offset:         4
        .size:           1
        .value_kind:     by_value
      - .offset:         8
        .size:           16
        .value_kind:     by_value
    .group_segment_fixed_size: 0
    .kernarg_segment_align: 8
    .kernarg_segment_size: 24
    .language:       OpenCL C
    .language_version:
      - 2
      - 0
    .max_flat_workgroup_size: 256
    .name:           _ZN2at6native29vectorized_elementwise_kernelILi2EZZZNS0_16asin_kernel_cudaERNS_18TensorIteratorBaseEENKUlvE0_clEvENKUlvE_clEvEUldE_St5arrayIPcLm2EEEEviT0_T1_
    .private_segment_fixed_size: 0
    .sgpr_count:     40
    .sgpr_spill_count: 0
    .symbol:         _ZN2at6native29vectorized_elementwise_kernelILi2EZZZNS0_16asin_kernel_cudaERNS_18TensorIteratorBaseEENKUlvE0_clEvENKUlvE_clEvEUldE_St5arrayIPcLm2EEEEviT0_T1_.kd
    .uniform_work_group_size: 1
    .uses_dynamic_stack: false
    .vgpr_count:     34
    .vgpr_spill_count: 0
    .wavefront_size: 64
  - .args:
      - .offset:         0
        .size:           4
        .value_kind:     by_value
      - .offset:         4
        .size:           1
        .value_kind:     by_value
      - .offset:         8
        .size:           16
        .value_kind:     by_value
      - .offset:         24
        .size:           1
        .value_kind:     by_value
      - .offset:         25
        .size:           1
        .value_kind:     by_value
      - .offset:         26
        .size:           1
        .value_kind:     by_value
      - .offset:         27
        .size:           1
        .value_kind:     by_value
    .group_segment_fixed_size: 0
    .kernarg_segment_align: 8
    .kernarg_segment_size: 28
    .language:       OpenCL C
    .language_version:
      - 2
      - 0
    .max_flat_workgroup_size: 256
    .name:           _ZN2at6native27unrolled_elementwise_kernelIZZZNS0_16asin_kernel_cudaERNS_18TensorIteratorBaseEENKUlvE0_clEvENKUlvE_clEvEUldE_St5arrayIPcLm2EELi4E23TrivialOffsetCalculatorILi1EjESB_NS0_6memory15LoadWithoutCastENSC_16StoreWithoutCastEEEviT_T0_T2_T3_T4_T5_
    .private_segment_fixed_size: 0
    .sgpr_count:     16
    .sgpr_spill_count: 0
    .symbol:         _ZN2at6native27unrolled_elementwise_kernelIZZZNS0_16asin_kernel_cudaERNS_18TensorIteratorBaseEENKUlvE0_clEvENKUlvE_clEvEUldE_St5arrayIPcLm2EELi4E23TrivialOffsetCalculatorILi1EjESB_NS0_6memory15LoadWithoutCastENSC_16StoreWithoutCastEEEviT_T0_T2_T3_T4_T5_.kd
    .uniform_work_group_size: 1
    .uses_dynamic_stack: false
    .vgpr_count:     29
    .vgpr_spill_count: 0
    .wavefront_size: 64
  - .args:
      - .offset:         0
        .size:           4
        .value_kind:     by_value
      - .offset:         8
        .size:           352
        .value_kind:     by_value
    .group_segment_fixed_size: 0
    .kernarg_segment_align: 8
    .kernarg_segment_size: 360
    .language:       OpenCL C
    .language_version:
      - 2
      - 0
    .max_flat_workgroup_size: 128
    .name:           _ZN2at6native32elementwise_kernel_manual_unrollILi128ELi4EZNS0_22gpu_kernel_impl_nocastIZZZNS0_16asin_kernel_cudaERNS_18TensorIteratorBaseEENKUlvE0_clEvENKUlvE_clEvEUldE_EEvS4_RKT_EUlibE_EEviT1_
    .private_segment_fixed_size: 0
    .sgpr_count:     64
    .sgpr_spill_count: 0
    .symbol:         _ZN2at6native32elementwise_kernel_manual_unrollILi128ELi4EZNS0_22gpu_kernel_impl_nocastIZZZNS0_16asin_kernel_cudaERNS_18TensorIteratorBaseEENKUlvE0_clEvENKUlvE_clEvEUldE_EEvS4_RKT_EUlibE_EEviT1_.kd
    .uniform_work_group_size: 1
    .uses_dynamic_stack: false
    .vgpr_count:     38
    .vgpr_spill_count: 0
    .wavefront_size: 64
  - .args:
      - .offset:         0
        .size:           4
        .value_kind:     by_value
      - .offset:         8
        .size:           32
        .value_kind:     by_value
    .group_segment_fixed_size: 0
    .kernarg_segment_align: 8
    .kernarg_segment_size: 40
    .language:       OpenCL C
    .language_version:
      - 2
      - 0
    .max_flat_workgroup_size: 128
    .name:           _ZN2at6native32elementwise_kernel_manual_unrollILi128ELi4EZNS0_15gpu_kernel_implIZZZNS0_16asin_kernel_cudaERNS_18TensorIteratorBaseEENKUlvE0_clEvENKUlvE_clEvEUldE_EEvS4_RKT_EUlibE_EEviT1_
    .private_segment_fixed_size: 0
    .sgpr_count:     48
    .sgpr_spill_count: 0
    .symbol:         _ZN2at6native32elementwise_kernel_manual_unrollILi128ELi4EZNS0_15gpu_kernel_implIZZZNS0_16asin_kernel_cudaERNS_18TensorIteratorBaseEENKUlvE0_clEvENKUlvE_clEvEUldE_EEvS4_RKT_EUlibE_EEviT1_.kd
    .uniform_work_group_size: 1
    .uses_dynamic_stack: false
    .vgpr_count:     33
    .vgpr_spill_count: 0
    .wavefront_size: 64
  - .args:
      - .offset:         0
        .size:           4
        .value_kind:     by_value
      - .offset:         8
        .size:           352
        .value_kind:     by_value
    .group_segment_fixed_size: 0
    .kernarg_segment_align: 8
    .kernarg_segment_size: 360
    .language:       OpenCL C
    .language_version:
      - 2
      - 0
    .max_flat_workgroup_size: 128
    .name:           _ZN2at6native32elementwise_kernel_manual_unrollILi128ELi4EZNS0_15gpu_kernel_implIZZZNS0_16asin_kernel_cudaERNS_18TensorIteratorBaseEENKUlvE0_clEvENKUlvE_clEvEUldE_EEvS4_RKT_EUlibE0_EEviT1_
    .private_segment_fixed_size: 0
    .sgpr_count:     82
    .sgpr_spill_count: 0
    .symbol:         _ZN2at6native32elementwise_kernel_manual_unrollILi128ELi4EZNS0_15gpu_kernel_implIZZZNS0_16asin_kernel_cudaERNS_18TensorIteratorBaseEENKUlvE0_clEvENKUlvE_clEvEUldE_EEvS4_RKT_EUlibE0_EEviT1_.kd
    .uniform_work_group_size: 1
    .uses_dynamic_stack: false
    .vgpr_count:     39
    .vgpr_spill_count: 0
    .wavefront_size: 64
  - .args:
      - .offset:         0
        .size:           4
        .value_kind:     by_value
      - .offset:         4
        .size:           1
        .value_kind:     by_value
      - .offset:         8
        .size:           16
        .value_kind:     by_value
    .group_segment_fixed_size: 0
    .kernarg_segment_align: 8
    .kernarg_segment_size: 24
    .language:       OpenCL C
    .language_version:
      - 2
      - 0
    .max_flat_workgroup_size: 256
    .name:           _ZN2at6native29vectorized_elementwise_kernelILi16EZZZNS0_16asin_kernel_cudaERNS_18TensorIteratorBaseEENKUlvE0_clEvENKUlvE0_clEvEUlfE_St5arrayIPcLm2EEEEviT0_T1_
    .private_segment_fixed_size: 0
    .sgpr_count:     16
    .sgpr_spill_count: 0
    .symbol:         _ZN2at6native29vectorized_elementwise_kernelILi16EZZZNS0_16asin_kernel_cudaERNS_18TensorIteratorBaseEENKUlvE0_clEvENKUlvE0_clEvEUlfE_St5arrayIPcLm2EEEEviT0_T1_.kd
    .uniform_work_group_size: 1
    .uses_dynamic_stack: false
    .vgpr_count:     20
    .vgpr_spill_count: 0
    .wavefront_size: 64
  - .args:
      - .offset:         0
        .size:           4
        .value_kind:     by_value
      - .offset:         4
        .size:           1
        .value_kind:     by_value
      - .offset:         8
        .size:           16
        .value_kind:     by_value
    .group_segment_fixed_size: 0
    .kernarg_segment_align: 8
    .kernarg_segment_size: 24
    .language:       OpenCL C
    .language_version:
      - 2
      - 0
    .max_flat_workgroup_size: 256
    .name:           _ZN2at6native29vectorized_elementwise_kernelILi8EZZZNS0_16asin_kernel_cudaERNS_18TensorIteratorBaseEENKUlvE0_clEvENKUlvE0_clEvEUlfE_St5arrayIPcLm2EEEEviT0_T1_
    .private_segment_fixed_size: 0
    .sgpr_count:     16
    .sgpr_spill_count: 0
    .symbol:         _ZN2at6native29vectorized_elementwise_kernelILi8EZZZNS0_16asin_kernel_cudaERNS_18TensorIteratorBaseEENKUlvE0_clEvENKUlvE0_clEvEUlfE_St5arrayIPcLm2EEEEviT0_T1_.kd
    .uniform_work_group_size: 1
    .uses_dynamic_stack: false
    .vgpr_count:     20
    .vgpr_spill_count: 0
    .wavefront_size: 64
  - .args:
      - .offset:         0
        .size:           4
        .value_kind:     by_value
      - .offset:         4
        .size:           1
        .value_kind:     by_value
      - .offset:         8
        .size:           16
        .value_kind:     by_value
    .group_segment_fixed_size: 0
    .kernarg_segment_align: 8
    .kernarg_segment_size: 24
    .language:       OpenCL C
    .language_version:
      - 2
      - 0
    .max_flat_workgroup_size: 256
    .name:           _ZN2at6native29vectorized_elementwise_kernelILi4EZZZNS0_16asin_kernel_cudaERNS_18TensorIteratorBaseEENKUlvE0_clEvENKUlvE0_clEvEUlfE_St5arrayIPcLm2EEEEviT0_T1_
    .private_segment_fixed_size: 0
    .sgpr_count:     16
    .sgpr_spill_count: 0
    .symbol:         _ZN2at6native29vectorized_elementwise_kernelILi4EZZZNS0_16asin_kernel_cudaERNS_18TensorIteratorBaseEENKUlvE0_clEvENKUlvE0_clEvEUlfE_St5arrayIPcLm2EEEEviT0_T1_.kd
    .uniform_work_group_size: 1
    .uses_dynamic_stack: false
    .vgpr_count:     20
    .vgpr_spill_count: 0
    .wavefront_size: 64
  - .args:
      - .offset:         0
        .size:           4
        .value_kind:     by_value
      - .offset:         4
        .size:           1
        .value_kind:     by_value
      - .offset:         8
        .size:           16
        .value_kind:     by_value
    .group_segment_fixed_size: 0
    .kernarg_segment_align: 8
    .kernarg_segment_size: 24
    .language:       OpenCL C
    .language_version:
      - 2
      - 0
    .max_flat_workgroup_size: 256
    .name:           _ZN2at6native29vectorized_elementwise_kernelILi2EZZZNS0_16asin_kernel_cudaERNS_18TensorIteratorBaseEENKUlvE0_clEvENKUlvE0_clEvEUlfE_St5arrayIPcLm2EEEEviT0_T1_
    .private_segment_fixed_size: 0
    .sgpr_count:     16
    .sgpr_spill_count: 0
    .symbol:         _ZN2at6native29vectorized_elementwise_kernelILi2EZZZNS0_16asin_kernel_cudaERNS_18TensorIteratorBaseEENKUlvE0_clEvENKUlvE0_clEvEUlfE_St5arrayIPcLm2EEEEviT0_T1_.kd
    .uniform_work_group_size: 1
    .uses_dynamic_stack: false
    .vgpr_count:     20
    .vgpr_spill_count: 0
    .wavefront_size: 64
  - .args:
      - .offset:         0
        .size:           4
        .value_kind:     by_value
      - .offset:         4
        .size:           1
        .value_kind:     by_value
      - .offset:         8
        .size:           16
        .value_kind:     by_value
      - .offset:         24
        .size:           1
        .value_kind:     by_value
      - .offset:         25
        .size:           1
        .value_kind:     by_value
      - .offset:         26
        .size:           1
        .value_kind:     by_value
      - .offset:         27
        .size:           1
        .value_kind:     by_value
    .group_segment_fixed_size: 0
    .kernarg_segment_align: 8
    .kernarg_segment_size: 28
    .language:       OpenCL C
    .language_version:
      - 2
      - 0
    .max_flat_workgroup_size: 256
    .name:           _ZN2at6native27unrolled_elementwise_kernelIZZZNS0_16asin_kernel_cudaERNS_18TensorIteratorBaseEENKUlvE0_clEvENKUlvE0_clEvEUlfE_St5arrayIPcLm2EELi4E23TrivialOffsetCalculatorILi1EjESB_NS0_6memory15LoadWithoutCastENSC_16StoreWithoutCastEEEviT_T0_T2_T3_T4_T5_
    .private_segment_fixed_size: 0
    .sgpr_count:     16
    .sgpr_spill_count: 0
    .symbol:         _ZN2at6native27unrolled_elementwise_kernelIZZZNS0_16asin_kernel_cudaERNS_18TensorIteratorBaseEENKUlvE0_clEvENKUlvE0_clEvEUlfE_St5arrayIPcLm2EELi4E23TrivialOffsetCalculatorILi1EjESB_NS0_6memory15LoadWithoutCastENSC_16StoreWithoutCastEEEviT_T0_T2_T3_T4_T5_.kd
    .uniform_work_group_size: 1
    .uses_dynamic_stack: false
    .vgpr_count:     13
    .vgpr_spill_count: 0
    .wavefront_size: 64
  - .args:
      - .offset:         0
        .size:           4
        .value_kind:     by_value
      - .offset:         8
        .size:           352
        .value_kind:     by_value
    .group_segment_fixed_size: 0
    .kernarg_segment_align: 8
    .kernarg_segment_size: 360
    .language:       OpenCL C
    .language_version:
      - 2
      - 0
    .max_flat_workgroup_size: 128
    .name:           _ZN2at6native32elementwise_kernel_manual_unrollILi128ELi4EZNS0_22gpu_kernel_impl_nocastIZZZNS0_16asin_kernel_cudaERNS_18TensorIteratorBaseEENKUlvE0_clEvENKUlvE0_clEvEUlfE_EEvS4_RKT_EUlibE_EEviT1_
    .private_segment_fixed_size: 0
    .sgpr_count:     64
    .sgpr_spill_count: 0
    .symbol:         _ZN2at6native32elementwise_kernel_manual_unrollILi128ELi4EZNS0_22gpu_kernel_impl_nocastIZZZNS0_16asin_kernel_cudaERNS_18TensorIteratorBaseEENKUlvE0_clEvENKUlvE0_clEvEUlfE_EEvS4_RKT_EUlibE_EEviT1_.kd
    .uniform_work_group_size: 1
    .uses_dynamic_stack: false
    .vgpr_count:     18
    .vgpr_spill_count: 0
    .wavefront_size: 64
  - .args:
      - .offset:         0
        .size:           4
        .value_kind:     by_value
      - .offset:         8
        .size:           32
        .value_kind:     by_value
    .group_segment_fixed_size: 0
    .kernarg_segment_align: 8
    .kernarg_segment_size: 40
    .language:       OpenCL C
    .language_version:
      - 2
      - 0
    .max_flat_workgroup_size: 128
    .name:           _ZN2at6native32elementwise_kernel_manual_unrollILi128ELi4EZNS0_15gpu_kernel_implIZZZNS0_16asin_kernel_cudaERNS_18TensorIteratorBaseEENKUlvE0_clEvENKUlvE0_clEvEUlfE_EEvS4_RKT_EUlibE_EEviT1_
    .private_segment_fixed_size: 0
    .sgpr_count:     48
    .sgpr_spill_count: 0
    .symbol:         _ZN2at6native32elementwise_kernel_manual_unrollILi128ELi4EZNS0_15gpu_kernel_implIZZZNS0_16asin_kernel_cudaERNS_18TensorIteratorBaseEENKUlvE0_clEvENKUlvE0_clEvEUlfE_EEvS4_RKT_EUlibE_EEviT1_.kd
    .uniform_work_group_size: 1
    .uses_dynamic_stack: false
    .vgpr_count:     12
    .vgpr_spill_count: 0
    .wavefront_size: 64
  - .args:
      - .offset:         0
        .size:           4
        .value_kind:     by_value
      - .offset:         8
        .size:           352
        .value_kind:     by_value
    .group_segment_fixed_size: 0
    .kernarg_segment_align: 8
    .kernarg_segment_size: 360
    .language:       OpenCL C
    .language_version:
      - 2
      - 0
    .max_flat_workgroup_size: 128
    .name:           _ZN2at6native32elementwise_kernel_manual_unrollILi128ELi4EZNS0_15gpu_kernel_implIZZZNS0_16asin_kernel_cudaERNS_18TensorIteratorBaseEENKUlvE0_clEvENKUlvE0_clEvEUlfE_EEvS4_RKT_EUlibE0_EEviT1_
    .private_segment_fixed_size: 0
    .sgpr_count:     82
    .sgpr_spill_count: 0
    .symbol:         _ZN2at6native32elementwise_kernel_manual_unrollILi128ELi4EZNS0_15gpu_kernel_implIZZZNS0_16asin_kernel_cudaERNS_18TensorIteratorBaseEENKUlvE0_clEvENKUlvE0_clEvEUlfE_EEvS4_RKT_EUlibE0_EEviT1_.kd
    .uniform_work_group_size: 1
    .uses_dynamic_stack: false
    .vgpr_count:     18
    .vgpr_spill_count: 0
    .wavefront_size: 64
  - .args:
      - .offset:         0
        .size:           4
        .value_kind:     by_value
      - .offset:         4
        .size:           1
        .value_kind:     by_value
      - .offset:         8
        .size:           16
        .value_kind:     by_value
    .group_segment_fixed_size: 0
    .kernarg_segment_align: 8
    .kernarg_segment_size: 24
    .language:       OpenCL C
    .language_version:
      - 2
      - 0
    .max_flat_workgroup_size: 256
    .name:           _ZN2at6native29vectorized_elementwise_kernelILi16EZZZNS0_16asin_kernel_cudaERNS_18TensorIteratorBaseEENKUlvE0_clEvENKUlvE1_clEvEUlN3c104HalfEE_St5arrayIPcLm2EEEEviT0_T1_
    .private_segment_fixed_size: 0
    .sgpr_count:     16
    .sgpr_spill_count: 0
    .symbol:         _ZN2at6native29vectorized_elementwise_kernelILi16EZZZNS0_16asin_kernel_cudaERNS_18TensorIteratorBaseEENKUlvE0_clEvENKUlvE1_clEvEUlN3c104HalfEE_St5arrayIPcLm2EEEEviT0_T1_.kd
    .uniform_work_group_size: 1
    .uses_dynamic_stack: false
    .vgpr_count:     20
    .vgpr_spill_count: 0
    .wavefront_size: 64
  - .args:
      - .offset:         0
        .size:           4
        .value_kind:     by_value
      - .offset:         4
        .size:           1
        .value_kind:     by_value
      - .offset:         8
        .size:           16
        .value_kind:     by_value
    .group_segment_fixed_size: 0
    .kernarg_segment_align: 8
    .kernarg_segment_size: 24
    .language:       OpenCL C
    .language_version:
      - 2
      - 0
    .max_flat_workgroup_size: 256
    .name:           _ZN2at6native29vectorized_elementwise_kernelILi8EZZZNS0_16asin_kernel_cudaERNS_18TensorIteratorBaseEENKUlvE0_clEvENKUlvE1_clEvEUlN3c104HalfEE_St5arrayIPcLm2EEEEviT0_T1_
    .private_segment_fixed_size: 0
    .sgpr_count:     16
    .sgpr_spill_count: 0
    .symbol:         _ZN2at6native29vectorized_elementwise_kernelILi8EZZZNS0_16asin_kernel_cudaERNS_18TensorIteratorBaseEENKUlvE0_clEvENKUlvE1_clEvEUlN3c104HalfEE_St5arrayIPcLm2EEEEviT0_T1_.kd
    .uniform_work_group_size: 1
    .uses_dynamic_stack: false
    .vgpr_count:     20
    .vgpr_spill_count: 0
    .wavefront_size: 64
  - .args:
      - .offset:         0
        .size:           4
        .value_kind:     by_value
      - .offset:         4
        .size:           1
        .value_kind:     by_value
      - .offset:         8
        .size:           16
        .value_kind:     by_value
    .group_segment_fixed_size: 0
    .kernarg_segment_align: 8
    .kernarg_segment_size: 24
    .language:       OpenCL C
    .language_version:
      - 2
      - 0
    .max_flat_workgroup_size: 256
    .name:           _ZN2at6native29vectorized_elementwise_kernelILi4EZZZNS0_16asin_kernel_cudaERNS_18TensorIteratorBaseEENKUlvE0_clEvENKUlvE1_clEvEUlN3c104HalfEE_St5arrayIPcLm2EEEEviT0_T1_
    .private_segment_fixed_size: 0
    .sgpr_count:     23
    .sgpr_spill_count: 0
    .symbol:         _ZN2at6native29vectorized_elementwise_kernelILi4EZZZNS0_16asin_kernel_cudaERNS_18TensorIteratorBaseEENKUlvE0_clEvENKUlvE1_clEvEUlN3c104HalfEE_St5arrayIPcLm2EEEEviT0_T1_.kd
    .uniform_work_group_size: 1
    .uses_dynamic_stack: false
    .vgpr_count:     20
    .vgpr_spill_count: 0
    .wavefront_size: 64
  - .args:
      - .offset:         0
        .size:           4
        .value_kind:     by_value
      - .offset:         4
        .size:           1
        .value_kind:     by_value
      - .offset:         8
        .size:           16
        .value_kind:     by_value
    .group_segment_fixed_size: 0
    .kernarg_segment_align: 8
    .kernarg_segment_size: 24
    .language:       OpenCL C
    .language_version:
      - 2
      - 0
    .max_flat_workgroup_size: 256
    .name:           _ZN2at6native29vectorized_elementwise_kernelILi2EZZZNS0_16asin_kernel_cudaERNS_18TensorIteratorBaseEENKUlvE0_clEvENKUlvE1_clEvEUlN3c104HalfEE_St5arrayIPcLm2EEEEviT0_T1_
    .private_segment_fixed_size: 0
    .sgpr_count:     16
    .sgpr_spill_count: 0
    .symbol:         _ZN2at6native29vectorized_elementwise_kernelILi2EZZZNS0_16asin_kernel_cudaERNS_18TensorIteratorBaseEENKUlvE0_clEvENKUlvE1_clEvEUlN3c104HalfEE_St5arrayIPcLm2EEEEviT0_T1_.kd
    .uniform_work_group_size: 1
    .uses_dynamic_stack: false
    .vgpr_count:     22
    .vgpr_spill_count: 0
    .wavefront_size: 64
  - .args:
      - .offset:         0
        .size:           4
        .value_kind:     by_value
      - .offset:         4
        .size:           1
        .value_kind:     by_value
      - .offset:         8
        .size:           16
        .value_kind:     by_value
      - .offset:         24
        .size:           1
        .value_kind:     by_value
      - .offset:         25
        .size:           1
        .value_kind:     by_value
      - .offset:         26
        .size:           1
        .value_kind:     by_value
      - .offset:         27
        .size:           1
        .value_kind:     by_value
    .group_segment_fixed_size: 0
    .kernarg_segment_align: 8
    .kernarg_segment_size: 28
    .language:       OpenCL C
    .language_version:
      - 2
      - 0
    .max_flat_workgroup_size: 256
    .name:           _ZN2at6native27unrolled_elementwise_kernelIZZZNS0_16asin_kernel_cudaERNS_18TensorIteratorBaseEENKUlvE0_clEvENKUlvE1_clEvEUlN3c104HalfEE_St5arrayIPcLm2EELi4E23TrivialOffsetCalculatorILi1EjESD_NS0_6memory15LoadWithoutCastENSE_16StoreWithoutCastEEEviT_T0_T2_T3_T4_T5_
    .private_segment_fixed_size: 0
    .sgpr_count:     16
    .sgpr_spill_count: 0
    .symbol:         _ZN2at6native27unrolled_elementwise_kernelIZZZNS0_16asin_kernel_cudaERNS_18TensorIteratorBaseEENKUlvE0_clEvENKUlvE1_clEvEUlN3c104HalfEE_St5arrayIPcLm2EELi4E23TrivialOffsetCalculatorILi1EjESD_NS0_6memory15LoadWithoutCastENSE_16StoreWithoutCastEEEviT_T0_T2_T3_T4_T5_.kd
    .uniform_work_group_size: 1
    .uses_dynamic_stack: false
    .vgpr_count:     11
    .vgpr_spill_count: 0
    .wavefront_size: 64
  - .args:
      - .offset:         0
        .size:           4
        .value_kind:     by_value
      - .offset:         8
        .size:           352
        .value_kind:     by_value
    .group_segment_fixed_size: 0
    .kernarg_segment_align: 8
    .kernarg_segment_size: 360
    .language:       OpenCL C
    .language_version:
      - 2
      - 0
    .max_flat_workgroup_size: 128
    .name:           _ZN2at6native32elementwise_kernel_manual_unrollILi128ELi8EZNS0_22gpu_kernel_impl_nocastIZZZNS0_16asin_kernel_cudaERNS_18TensorIteratorBaseEENKUlvE0_clEvENKUlvE1_clEvEUlN3c104HalfEE_EEvS4_RKT_EUlibE_EEviT1_
    .private_segment_fixed_size: 0
    .sgpr_count:     64
    .sgpr_spill_count: 0
    .symbol:         _ZN2at6native32elementwise_kernel_manual_unrollILi128ELi8EZNS0_22gpu_kernel_impl_nocastIZZZNS0_16asin_kernel_cudaERNS_18TensorIteratorBaseEENKUlvE0_clEvENKUlvE1_clEvEUlN3c104HalfEE_EEvS4_RKT_EUlibE_EEviT1_.kd
    .uniform_work_group_size: 1
    .uses_dynamic_stack: false
    .vgpr_count:     28
    .vgpr_spill_count: 0
    .wavefront_size: 64
  - .args:
      - .offset:         0
        .size:           4
        .value_kind:     by_value
      - .offset:         8
        .size:           32
        .value_kind:     by_value
    .group_segment_fixed_size: 0
    .kernarg_segment_align: 8
    .kernarg_segment_size: 40
    .language:       OpenCL C
    .language_version:
      - 2
      - 0
    .max_flat_workgroup_size: 128
    .name:           _ZN2at6native32elementwise_kernel_manual_unrollILi128ELi4EZNS0_15gpu_kernel_implIZZZNS0_16asin_kernel_cudaERNS_18TensorIteratorBaseEENKUlvE0_clEvENKUlvE1_clEvEUlN3c104HalfEE_EEvS4_RKT_EUlibE_EEviT1_
    .private_segment_fixed_size: 0
    .sgpr_count:     48
    .sgpr_spill_count: 0
    .symbol:         _ZN2at6native32elementwise_kernel_manual_unrollILi128ELi4EZNS0_15gpu_kernel_implIZZZNS0_16asin_kernel_cudaERNS_18TensorIteratorBaseEENKUlvE0_clEvENKUlvE1_clEvEUlN3c104HalfEE_EEvS4_RKT_EUlibE_EEviT1_.kd
    .uniform_work_group_size: 1
    .uses_dynamic_stack: false
    .vgpr_count:     14
    .vgpr_spill_count: 0
    .wavefront_size: 64
  - .args:
      - .offset:         0
        .size:           4
        .value_kind:     by_value
      - .offset:         8
        .size:           352
        .value_kind:     by_value
    .group_segment_fixed_size: 0
    .kernarg_segment_align: 8
    .kernarg_segment_size: 360
    .language:       OpenCL C
    .language_version:
      - 2
      - 0
    .max_flat_workgroup_size: 128
    .name:           _ZN2at6native32elementwise_kernel_manual_unrollILi128ELi4EZNS0_15gpu_kernel_implIZZZNS0_16asin_kernel_cudaERNS_18TensorIteratorBaseEENKUlvE0_clEvENKUlvE1_clEvEUlN3c104HalfEE_EEvS4_RKT_EUlibE0_EEviT1_
    .private_segment_fixed_size: 0
    .sgpr_count:     82
    .sgpr_spill_count: 0
    .symbol:         _ZN2at6native32elementwise_kernel_manual_unrollILi128ELi4EZNS0_15gpu_kernel_implIZZZNS0_16asin_kernel_cudaERNS_18TensorIteratorBaseEENKUlvE0_clEvENKUlvE1_clEvEUlN3c104HalfEE_EEvS4_RKT_EUlibE0_EEviT1_.kd
    .uniform_work_group_size: 1
    .uses_dynamic_stack: false
    .vgpr_count:     18
    .vgpr_spill_count: 0
    .wavefront_size: 64
  - .args:
      - .offset:         0
        .size:           4
        .value_kind:     by_value
      - .offset:         4
        .size:           1
        .value_kind:     by_value
      - .offset:         8
        .size:           16
        .value_kind:     by_value
    .group_segment_fixed_size: 0
    .kernarg_segment_align: 8
    .kernarg_segment_size: 24
    .language:       OpenCL C
    .language_version:
      - 2
      - 0
    .max_flat_workgroup_size: 256
    .name:           _ZN2at6native29vectorized_elementwise_kernelILi16EZZZNS0_16asin_kernel_cudaERNS_18TensorIteratorBaseEENKUlvE0_clEvENKUlvE2_clEvEUlN3c108BFloat16EE_St5arrayIPcLm2EEEEviT0_T1_
    .private_segment_fixed_size: 0
    .sgpr_count:     22
    .sgpr_spill_count: 0
    .symbol:         _ZN2at6native29vectorized_elementwise_kernelILi16EZZZNS0_16asin_kernel_cudaERNS_18TensorIteratorBaseEENKUlvE0_clEvENKUlvE2_clEvEUlN3c108BFloat16EE_St5arrayIPcLm2EEEEviT0_T1_.kd
    .uniform_work_group_size: 1
    .uses_dynamic_stack: false
    .vgpr_count:     20
    .vgpr_spill_count: 0
    .wavefront_size: 64
  - .args:
      - .offset:         0
        .size:           4
        .value_kind:     by_value
      - .offset:         4
        .size:           1
        .value_kind:     by_value
      - .offset:         8
        .size:           16
        .value_kind:     by_value
    .group_segment_fixed_size: 0
    .kernarg_segment_align: 8
    .kernarg_segment_size: 24
    .language:       OpenCL C
    .language_version:
      - 2
      - 0
    .max_flat_workgroup_size: 256
    .name:           _ZN2at6native29vectorized_elementwise_kernelILi8EZZZNS0_16asin_kernel_cudaERNS_18TensorIteratorBaseEENKUlvE0_clEvENKUlvE2_clEvEUlN3c108BFloat16EE_St5arrayIPcLm2EEEEviT0_T1_
    .private_segment_fixed_size: 0
    .sgpr_count:     22
    .sgpr_spill_count: 0
    .symbol:         _ZN2at6native29vectorized_elementwise_kernelILi8EZZZNS0_16asin_kernel_cudaERNS_18TensorIteratorBaseEENKUlvE0_clEvENKUlvE2_clEvEUlN3c108BFloat16EE_St5arrayIPcLm2EEEEviT0_T1_.kd
    .uniform_work_group_size: 1
    .uses_dynamic_stack: false
    .vgpr_count:     20
    .vgpr_spill_count: 0
    .wavefront_size: 64
  - .args:
      - .offset:         0
        .size:           4
        .value_kind:     by_value
      - .offset:         4
        .size:           1
        .value_kind:     by_value
      - .offset:         8
        .size:           16
        .value_kind:     by_value
    .group_segment_fixed_size: 0
    .kernarg_segment_align: 8
    .kernarg_segment_size: 24
    .language:       OpenCL C
    .language_version:
      - 2
      - 0
    .max_flat_workgroup_size: 256
    .name:           _ZN2at6native29vectorized_elementwise_kernelILi4EZZZNS0_16asin_kernel_cudaERNS_18TensorIteratorBaseEENKUlvE0_clEvENKUlvE2_clEvEUlN3c108BFloat16EE_St5arrayIPcLm2EEEEviT0_T1_
    .private_segment_fixed_size: 0
    .sgpr_count:     18
    .sgpr_spill_count: 0
    .symbol:         _ZN2at6native29vectorized_elementwise_kernelILi4EZZZNS0_16asin_kernel_cudaERNS_18TensorIteratorBaseEENKUlvE0_clEvENKUlvE2_clEvEUlN3c108BFloat16EE_St5arrayIPcLm2EEEEviT0_T1_.kd
    .uniform_work_group_size: 1
    .uses_dynamic_stack: false
    .vgpr_count:     20
    .vgpr_spill_count: 0
    .wavefront_size: 64
  - .args:
      - .offset:         0
        .size:           4
        .value_kind:     by_value
      - .offset:         4
        .size:           1
        .value_kind:     by_value
      - .offset:         8
        .size:           16
        .value_kind:     by_value
    .group_segment_fixed_size: 0
    .kernarg_segment_align: 8
    .kernarg_segment_size: 24
    .language:       OpenCL C
    .language_version:
      - 2
      - 0
    .max_flat_workgroup_size: 256
    .name:           _ZN2at6native29vectorized_elementwise_kernelILi2EZZZNS0_16asin_kernel_cudaERNS_18TensorIteratorBaseEENKUlvE0_clEvENKUlvE2_clEvEUlN3c108BFloat16EE_St5arrayIPcLm2EEEEviT0_T1_
    .private_segment_fixed_size: 0
    .sgpr_count:     18
    .sgpr_spill_count: 0
    .symbol:         _ZN2at6native29vectorized_elementwise_kernelILi2EZZZNS0_16asin_kernel_cudaERNS_18TensorIteratorBaseEENKUlvE0_clEvENKUlvE2_clEvEUlN3c108BFloat16EE_St5arrayIPcLm2EEEEviT0_T1_.kd
    .uniform_work_group_size: 1
    .uses_dynamic_stack: false
    .vgpr_count:     20
    .vgpr_spill_count: 0
    .wavefront_size: 64
  - .args:
      - .offset:         0
        .size:           4
        .value_kind:     by_value
      - .offset:         4
        .size:           1
        .value_kind:     by_value
      - .offset:         8
        .size:           16
        .value_kind:     by_value
      - .offset:         24
        .size:           1
        .value_kind:     by_value
      - .offset:         25
        .size:           1
        .value_kind:     by_value
      - .offset:         26
        .size:           1
        .value_kind:     by_value
      - .offset:         27
        .size:           1
        .value_kind:     by_value
    .group_segment_fixed_size: 0
    .kernarg_segment_align: 8
    .kernarg_segment_size: 28
    .language:       OpenCL C
    .language_version:
      - 2
      - 0
    .max_flat_workgroup_size: 256
    .name:           _ZN2at6native27unrolled_elementwise_kernelIZZZNS0_16asin_kernel_cudaERNS_18TensorIteratorBaseEENKUlvE0_clEvENKUlvE2_clEvEUlN3c108BFloat16EE_St5arrayIPcLm2EELi4E23TrivialOffsetCalculatorILi1EjESD_NS0_6memory15LoadWithoutCastENSE_16StoreWithoutCastEEEviT_T0_T2_T3_T4_T5_
    .private_segment_fixed_size: 0
    .sgpr_count:     16
    .sgpr_spill_count: 0
    .symbol:         _ZN2at6native27unrolled_elementwise_kernelIZZZNS0_16asin_kernel_cudaERNS_18TensorIteratorBaseEENKUlvE0_clEvENKUlvE2_clEvEUlN3c108BFloat16EE_St5arrayIPcLm2EELi4E23TrivialOffsetCalculatorILi1EjESD_NS0_6memory15LoadWithoutCastENSE_16StoreWithoutCastEEEviT_T0_T2_T3_T4_T5_.kd
    .uniform_work_group_size: 1
    .uses_dynamic_stack: false
    .vgpr_count:     11
    .vgpr_spill_count: 0
    .wavefront_size: 64
  - .args:
      - .offset:         0
        .size:           4
        .value_kind:     by_value
      - .offset:         8
        .size:           352
        .value_kind:     by_value
    .group_segment_fixed_size: 0
    .kernarg_segment_align: 8
    .kernarg_segment_size: 360
    .language:       OpenCL C
    .language_version:
      - 2
      - 0
    .max_flat_workgroup_size: 128
    .name:           _ZN2at6native32elementwise_kernel_manual_unrollILi128ELi8EZNS0_22gpu_kernel_impl_nocastIZZZNS0_16asin_kernel_cudaERNS_18TensorIteratorBaseEENKUlvE0_clEvENKUlvE2_clEvEUlN3c108BFloat16EE_EEvS4_RKT_EUlibE_EEviT1_
    .private_segment_fixed_size: 0
    .sgpr_count:     64
    .sgpr_spill_count: 0
    .symbol:         _ZN2at6native32elementwise_kernel_manual_unrollILi128ELi8EZNS0_22gpu_kernel_impl_nocastIZZZNS0_16asin_kernel_cudaERNS_18TensorIteratorBaseEENKUlvE0_clEvENKUlvE2_clEvEUlN3c108BFloat16EE_EEvS4_RKT_EUlibE_EEviT1_.kd
    .uniform_work_group_size: 1
    .uses_dynamic_stack: false
    .vgpr_count:     26
    .vgpr_spill_count: 0
    .wavefront_size: 64
  - .args:
      - .offset:         0
        .size:           4
        .value_kind:     by_value
      - .offset:         8
        .size:           32
        .value_kind:     by_value
    .group_segment_fixed_size: 0
    .kernarg_segment_align: 8
    .kernarg_segment_size: 40
    .language:       OpenCL C
    .language_version:
      - 2
      - 0
    .max_flat_workgroup_size: 128
    .name:           _ZN2at6native32elementwise_kernel_manual_unrollILi128ELi4EZNS0_15gpu_kernel_implIZZZNS0_16asin_kernel_cudaERNS_18TensorIteratorBaseEENKUlvE0_clEvENKUlvE2_clEvEUlN3c108BFloat16EE_EEvS4_RKT_EUlibE_EEviT1_
    .private_segment_fixed_size: 0
    .sgpr_count:     48
    .sgpr_spill_count: 0
    .symbol:         _ZN2at6native32elementwise_kernel_manual_unrollILi128ELi4EZNS0_15gpu_kernel_implIZZZNS0_16asin_kernel_cudaERNS_18TensorIteratorBaseEENKUlvE0_clEvENKUlvE2_clEvEUlN3c108BFloat16EE_EEvS4_RKT_EUlibE_EEviT1_.kd
    .uniform_work_group_size: 1
    .uses_dynamic_stack: false
    .vgpr_count:     12
    .vgpr_spill_count: 0
    .wavefront_size: 64
  - .args:
      - .offset:         0
        .size:           4
        .value_kind:     by_value
      - .offset:         8
        .size:           352
        .value_kind:     by_value
    .group_segment_fixed_size: 0
    .kernarg_segment_align: 8
    .kernarg_segment_size: 360
    .language:       OpenCL C
    .language_version:
      - 2
      - 0
    .max_flat_workgroup_size: 128
    .name:           _ZN2at6native32elementwise_kernel_manual_unrollILi128ELi4EZNS0_15gpu_kernel_implIZZZNS0_16asin_kernel_cudaERNS_18TensorIteratorBaseEENKUlvE0_clEvENKUlvE2_clEvEUlN3c108BFloat16EE_EEvS4_RKT_EUlibE0_EEviT1_
    .private_segment_fixed_size: 0
    .sgpr_count:     82
    .sgpr_spill_count: 0
    .symbol:         _ZN2at6native32elementwise_kernel_manual_unrollILi128ELi4EZNS0_15gpu_kernel_implIZZZNS0_16asin_kernel_cudaERNS_18TensorIteratorBaseEENKUlvE0_clEvENKUlvE2_clEvEUlN3c108BFloat16EE_EEvS4_RKT_EUlibE0_EEviT1_.kd
    .uniform_work_group_size: 1
    .uses_dynamic_stack: false
    .vgpr_count:     18
    .vgpr_spill_count: 0
    .wavefront_size: 64
amdhsa.target:   amdgcn-amd-amdhsa--gfx906
amdhsa.version:
  - 1
  - 2
...

	.end_amdgpu_metadata
